;; amdgpu-corpus repo=ROCm/rccl kind=compiled arch=gfx90a opt=O3
	.text
	.amdgcn_target "amdgcn-amd-amdhsa--gfx90a"
	.amdhsa_code_object_version 6
	.p2align	2                               ; -- Begin function __ockl_fprintf_append_string_n
	.type	__ockl_fprintf_append_string_n,@function
__ockl_fprintf_append_string_n:         ; @__ockl_fprintf_append_string_n
; %bb.0:
	s_waitcnt vmcnt(0) expcnt(0) lgkmcnt(0)
	v_mov_b32_e32 v9, v3
	v_mov_b32_e32 v8, v2
	v_or_b32_e32 v2, 2, v0
	v_cmp_eq_u32_e32 vcc, 0, v6
	s_mov_b32 s22, 0
	v_cndmask_b32_e32 v0, v2, v0, vcc
	s_mov_b64 s[6:7], 0
	v_cmp_ne_u64_e32 vcc, 0, v[8:9]
	v_mbcnt_lo_u32_b32 v2, -1, 0
	s_and_saveexec_b64 s[4:5], vcc
	s_xor_b64 s[10:11], exec, s[4:5]
	s_cbranch_execz .LBB0_86
; %bb.1:
	s_load_dwordx2 s[12:13], s[8:9], 0x50
	v_and_b32_e32 v6, 2, v0
	v_mov_b32_e32 v31, 0
	v_and_b32_e32 v0, -3, v0
	v_mbcnt_hi_u32_b32 v32, -1, v2
	s_movk_i32 s23, 0xff1f
	v_mov_b32_e32 v12, 2
	v_mov_b32_e32 v13, 1
	s_branch .LBB0_3
.LBB0_2:                                ;   in Loop: Header=BB0_3 Depth=1
	s_or_b64 exec, exec, s[16:17]
	v_sub_co_u32_e32 v4, vcc, v4, v34
	v_subb_co_u32_e32 v5, vcc, v5, v35, vcc
	v_cmp_eq_u64_e32 vcc, 0, v[4:5]
	s_or_b64 s[6:7], vcc, s[6:7]
	v_add_co_u32_e32 v8, vcc, v8, v34
	v_addc_co_u32_e32 v9, vcc, v9, v35, vcc
	s_andn2_b64 exec, exec, s[6:7]
	s_cbranch_execz .LBB0_85
.LBB0_3:                                ; =>This Loop Header: Depth=1
                                        ;     Child Loop BB0_6 Depth 2
                                        ;     Child Loop BB0_14 Depth 2
	;; [unrolled: 1-line block ×11, first 2 shown]
	v_cmp_gt_u64_e32 vcc, 56, v[4:5]
	v_cndmask_b32_e32 v35, 0, v5, vcc
	v_cndmask_b32_e32 v34, 56, v4, vcc
	v_cmp_gt_u64_e32 vcc, 8, v[4:5]
                                        ; implicit-def: $vgpr2_vgpr3
                                        ; implicit-def: $sgpr14
	s_and_saveexec_b64 s[4:5], vcc
	s_xor_b64 s[4:5], exec, s[4:5]
	s_cbranch_execz .LBB0_9
; %bb.4:                                ;   in Loop: Header=BB0_3 Depth=1
	s_mov_b64 s[16:17], 0
	v_cmp_ne_u64_e32 vcc, 0, v[4:5]
	s_waitcnt vmcnt(0)
	v_pk_mov_b32 v[2:3], 0, 0
	s_and_saveexec_b64 s[14:15], vcc
	s_cbranch_execz .LBB0_8
; %bb.5:                                ;   in Loop: Header=BB0_3 Depth=1
	v_lshlrev_b64 v[10:11], 3, v[34:35]
	v_pk_mov_b32 v[2:3], 0, 0
	v_pk_mov_b32 v[14:15], v[8:9], v[8:9] op_sel:[0,1]
	s_mov_b64 s[18:19], 0
.LBB0_6:                                ;   Parent Loop BB0_3 Depth=1
                                        ; =>  This Inner Loop Header: Depth=2
	flat_load_ubyte v7, v[14:15]
	v_mov_b32_e32 v17, s22
	v_add_co_u32_e32 v14, vcc, 1, v14
	v_addc_co_u32_e32 v15, vcc, 0, v15, vcc
	s_waitcnt vmcnt(0) lgkmcnt(0)
	v_and_b32_e32 v16, 0xffff, v7
	v_lshlrev_b64 v[16:17], s18, v[16:17]
	s_add_u32 s18, s18, 8
	s_addc_u32 s19, s19, 0
	v_cmp_eq_u32_e32 vcc, s18, v10
	v_or_b32_e32 v3, v17, v3
	s_or_b64 s[16:17], vcc, s[16:17]
	v_or_b32_e32 v2, v16, v2
	s_andn2_b64 exec, exec, s[16:17]
	s_cbranch_execnz .LBB0_6
; %bb.7:                                ;   in Loop: Header=BB0_3 Depth=1
	s_or_b64 exec, exec, s[16:17]
.LBB0_8:                                ;   in Loop: Header=BB0_3 Depth=1
	s_or_b64 exec, exec, s[14:15]
	s_mov_b32 s14, 0
.LBB0_9:                                ;   in Loop: Header=BB0_3 Depth=1
	s_or_saveexec_b64 s[4:5], s[4:5]
	v_mov_b32_e32 v7, s14
	v_pk_mov_b32 v[10:11], v[8:9], v[8:9] op_sel:[0,1]
	s_xor_b64 exec, exec, s[4:5]
	s_cbranch_execz .LBB0_11
; %bb.10:                               ;   in Loop: Header=BB0_3 Depth=1
	s_waitcnt vmcnt(0)
	flat_load_dwordx2 v[2:3], v[8:9]
	v_add_u32_e32 v7, -8, v34
	s_waitcnt vmcnt(0) lgkmcnt(0)
	v_and_b32_e32 v10, 0xff, v3
	v_and_b32_e32 v11, 0xff00, v3
	;; [unrolled: 1-line block ×4, first 2 shown]
	v_or_b32_e32 v10, v10, v11
	v_or3_b32 v3, v10, v14, v3
	v_add_co_u32_e32 v10, vcc, 8, v8
	v_or3_b32 v2, v2, 0, 0
	v_addc_co_u32_e32 v11, vcc, 0, v9, vcc
.LBB0_11:                               ;   in Loop: Header=BB0_3 Depth=1
	s_or_b64 exec, exec, s[4:5]
	v_cmp_gt_u32_e32 vcc, 8, v7
                                        ; implicit-def: $vgpr14_vgpr15
                                        ; implicit-def: $sgpr14
	s_and_saveexec_b64 s[4:5], vcc
	s_xor_b64 s[4:5], exec, s[4:5]
	s_cbranch_execz .LBB0_17
; %bb.12:                               ;   in Loop: Header=BB0_3 Depth=1
	v_cmp_ne_u32_e32 vcc, 0, v7
	v_pk_mov_b32 v[14:15], 0, 0
	s_and_saveexec_b64 s[14:15], vcc
	s_cbranch_execz .LBB0_16
; %bb.13:                               ;   in Loop: Header=BB0_3 Depth=1
	s_mov_b64 s[16:17], 0
	v_pk_mov_b32 v[14:15], 0, 0
	s_mov_b64 s[18:19], 0
	s_mov_b64 s[20:21], 0
.LBB0_14:                               ;   Parent Loop BB0_3 Depth=1
                                        ; =>  This Inner Loop Header: Depth=2
	v_mov_b32_e32 v17, s21
	v_add_co_u32_e32 v16, vcc, s20, v10
	v_addc_co_u32_e32 v17, vcc, v11, v17, vcc
	flat_load_ubyte v16, v[16:17]
	s_add_u32 s20, s20, 1
	v_mov_b32_e32 v17, s22
	s_addc_u32 s21, s21, 0
	v_cmp_eq_u32_e32 vcc, s20, v7
	s_waitcnt vmcnt(0) lgkmcnt(0)
	v_and_b32_e32 v16, 0xffff, v16
	v_lshlrev_b64 v[16:17], s18, v[16:17]
	s_add_u32 s18, s18, 8
	s_addc_u32 s19, s19, 0
	v_or_b32_e32 v15, v17, v15
	s_or_b64 s[16:17], vcc, s[16:17]
	v_or_b32_e32 v14, v16, v14
	s_andn2_b64 exec, exec, s[16:17]
	s_cbranch_execnz .LBB0_14
; %bb.15:                               ;   in Loop: Header=BB0_3 Depth=1
	s_or_b64 exec, exec, s[16:17]
.LBB0_16:                               ;   in Loop: Header=BB0_3 Depth=1
	s_or_b64 exec, exec, s[14:15]
	s_mov_b32 s14, 0
                                        ; implicit-def: $vgpr7
.LBB0_17:                               ;   in Loop: Header=BB0_3 Depth=1
	s_or_saveexec_b64 s[4:5], s[4:5]
	v_mov_b32_e32 v18, s14
	s_xor_b64 exec, exec, s[4:5]
	s_cbranch_execz .LBB0_19
; %bb.18:                               ;   in Loop: Header=BB0_3 Depth=1
	flat_load_dwordx2 v[14:15], v[10:11]
	v_add_u32_e32 v18, -8, v7
	v_add_co_u32_e32 v10, vcc, 8, v10
	v_addc_co_u32_e32 v11, vcc, 0, v11, vcc
	s_waitcnt vmcnt(0) lgkmcnt(0)
	v_and_b32_e32 v7, 0xff, v15
	v_and_b32_e32 v16, 0xff00, v15
	;; [unrolled: 1-line block ×4, first 2 shown]
	v_or_b32_e32 v7, v7, v16
	v_or3_b32 v14, v14, 0, 0
	v_or3_b32 v15, v7, v17, v15
.LBB0_19:                               ;   in Loop: Header=BB0_3 Depth=1
	s_or_b64 exec, exec, s[4:5]
	v_cmp_gt_u32_e32 vcc, 8, v18
                                        ; implicit-def: $sgpr14
	s_and_saveexec_b64 s[4:5], vcc
	s_xor_b64 s[4:5], exec, s[4:5]
	s_cbranch_execz .LBB0_25
; %bb.20:                               ;   in Loop: Header=BB0_3 Depth=1
	v_cmp_ne_u32_e32 vcc, 0, v18
	v_pk_mov_b32 v[16:17], 0, 0
	s_and_saveexec_b64 s[14:15], vcc
	s_cbranch_execz .LBB0_24
; %bb.21:                               ;   in Loop: Header=BB0_3 Depth=1
	s_mov_b64 s[16:17], 0
	v_pk_mov_b32 v[16:17], 0, 0
	s_mov_b64 s[18:19], 0
	s_mov_b64 s[20:21], 0
.LBB0_22:                               ;   Parent Loop BB0_3 Depth=1
                                        ; =>  This Inner Loop Header: Depth=2
	v_mov_b32_e32 v7, s21
	v_add_co_u32_e32 v20, vcc, s20, v10
	v_addc_co_u32_e32 v21, vcc, v11, v7, vcc
	flat_load_ubyte v7, v[20:21]
	s_add_u32 s20, s20, 1
	v_mov_b32_e32 v21, s22
	s_addc_u32 s21, s21, 0
	v_cmp_eq_u32_e32 vcc, s20, v18
	s_waitcnt vmcnt(0) lgkmcnt(0)
	v_and_b32_e32 v20, 0xffff, v7
	v_lshlrev_b64 v[20:21], s18, v[20:21]
	s_add_u32 s18, s18, 8
	s_addc_u32 s19, s19, 0
	v_or_b32_e32 v17, v21, v17
	s_or_b64 s[16:17], vcc, s[16:17]
	v_or_b32_e32 v16, v20, v16
	s_andn2_b64 exec, exec, s[16:17]
	s_cbranch_execnz .LBB0_22
; %bb.23:                               ;   in Loop: Header=BB0_3 Depth=1
	s_or_b64 exec, exec, s[16:17]
.LBB0_24:                               ;   in Loop: Header=BB0_3 Depth=1
	s_or_b64 exec, exec, s[14:15]
	s_mov_b32 s14, 0
                                        ; implicit-def: $vgpr18
.LBB0_25:                               ;   in Loop: Header=BB0_3 Depth=1
	s_or_saveexec_b64 s[4:5], s[4:5]
	v_mov_b32_e32 v7, s14
	s_xor_b64 exec, exec, s[4:5]
	s_cbranch_execz .LBB0_27
; %bb.26:                               ;   in Loop: Header=BB0_3 Depth=1
	flat_load_dwordx2 v[16:17], v[10:11]
	v_add_u32_e32 v7, -8, v18
	v_add_co_u32_e32 v10, vcc, 8, v10
	v_addc_co_u32_e32 v11, vcc, 0, v11, vcc
	s_waitcnt vmcnt(0) lgkmcnt(0)
	v_and_b32_e32 v18, 0xff, v17
	v_and_b32_e32 v19, 0xff00, v17
	;; [unrolled: 1-line block ×4, first 2 shown]
	v_or_b32_e32 v18, v18, v19
	v_or3_b32 v16, v16, 0, 0
	v_or3_b32 v17, v18, v20, v17
.LBB0_27:                               ;   in Loop: Header=BB0_3 Depth=1
	s_or_b64 exec, exec, s[4:5]
	v_cmp_gt_u32_e32 vcc, 8, v7
                                        ; implicit-def: $vgpr18_vgpr19
                                        ; implicit-def: $sgpr14
	s_and_saveexec_b64 s[4:5], vcc
	s_xor_b64 s[4:5], exec, s[4:5]
	s_cbranch_execz .LBB0_33
; %bb.28:                               ;   in Loop: Header=BB0_3 Depth=1
	v_cmp_ne_u32_e32 vcc, 0, v7
	v_pk_mov_b32 v[18:19], 0, 0
	s_and_saveexec_b64 s[14:15], vcc
	s_cbranch_execz .LBB0_32
; %bb.29:                               ;   in Loop: Header=BB0_3 Depth=1
	s_mov_b64 s[16:17], 0
	v_pk_mov_b32 v[18:19], 0, 0
	s_mov_b64 s[18:19], 0
	s_mov_b64 s[20:21], 0
.LBB0_30:                               ;   Parent Loop BB0_3 Depth=1
                                        ; =>  This Inner Loop Header: Depth=2
	v_mov_b32_e32 v21, s21
	v_add_co_u32_e32 v20, vcc, s20, v10
	v_addc_co_u32_e32 v21, vcc, v11, v21, vcc
	flat_load_ubyte v20, v[20:21]
	s_add_u32 s20, s20, 1
	v_mov_b32_e32 v21, s22
	s_addc_u32 s21, s21, 0
	v_cmp_eq_u32_e32 vcc, s20, v7
	s_waitcnt vmcnt(0) lgkmcnt(0)
	v_and_b32_e32 v20, 0xffff, v20
	v_lshlrev_b64 v[20:21], s18, v[20:21]
	s_add_u32 s18, s18, 8
	s_addc_u32 s19, s19, 0
	v_or_b32_e32 v19, v21, v19
	s_or_b64 s[16:17], vcc, s[16:17]
	v_or_b32_e32 v18, v20, v18
	s_andn2_b64 exec, exec, s[16:17]
	s_cbranch_execnz .LBB0_30
; %bb.31:                               ;   in Loop: Header=BB0_3 Depth=1
	s_or_b64 exec, exec, s[16:17]
.LBB0_32:                               ;   in Loop: Header=BB0_3 Depth=1
	s_or_b64 exec, exec, s[14:15]
	s_mov_b32 s14, 0
                                        ; implicit-def: $vgpr7
.LBB0_33:                               ;   in Loop: Header=BB0_3 Depth=1
	s_or_saveexec_b64 s[4:5], s[4:5]
	v_mov_b32_e32 v22, s14
	s_xor_b64 exec, exec, s[4:5]
	s_cbranch_execz .LBB0_35
; %bb.34:                               ;   in Loop: Header=BB0_3 Depth=1
	flat_load_dwordx2 v[18:19], v[10:11]
	v_add_u32_e32 v22, -8, v7
	v_add_co_u32_e32 v10, vcc, 8, v10
	v_addc_co_u32_e32 v11, vcc, 0, v11, vcc
	s_waitcnt vmcnt(0) lgkmcnt(0)
	v_and_b32_e32 v7, 0xff, v19
	v_and_b32_e32 v20, 0xff00, v19
	;; [unrolled: 1-line block ×4, first 2 shown]
	v_or_b32_e32 v7, v7, v20
	v_or3_b32 v18, v18, 0, 0
	v_or3_b32 v19, v7, v21, v19
.LBB0_35:                               ;   in Loop: Header=BB0_3 Depth=1
	s_or_b64 exec, exec, s[4:5]
	v_cmp_gt_u32_e32 vcc, 8, v22
                                        ; implicit-def: $sgpr14
	s_and_saveexec_b64 s[4:5], vcc
	s_xor_b64 s[4:5], exec, s[4:5]
	s_cbranch_execz .LBB0_41
; %bb.36:                               ;   in Loop: Header=BB0_3 Depth=1
	v_cmp_ne_u32_e32 vcc, 0, v22
	v_pk_mov_b32 v[20:21], 0, 0
	s_and_saveexec_b64 s[14:15], vcc
	s_cbranch_execz .LBB0_40
; %bb.37:                               ;   in Loop: Header=BB0_3 Depth=1
	s_mov_b64 s[16:17], 0
	v_pk_mov_b32 v[20:21], 0, 0
	s_mov_b64 s[18:19], 0
	s_mov_b64 s[20:21], 0
.LBB0_38:                               ;   Parent Loop BB0_3 Depth=1
                                        ; =>  This Inner Loop Header: Depth=2
	v_mov_b32_e32 v7, s21
	v_add_co_u32_e32 v24, vcc, s20, v10
	v_addc_co_u32_e32 v25, vcc, v11, v7, vcc
	flat_load_ubyte v7, v[24:25]
	s_add_u32 s20, s20, 1
	v_mov_b32_e32 v25, s22
	s_addc_u32 s21, s21, 0
	v_cmp_eq_u32_e32 vcc, s20, v22
	s_waitcnt vmcnt(0) lgkmcnt(0)
	v_and_b32_e32 v24, 0xffff, v7
	v_lshlrev_b64 v[24:25], s18, v[24:25]
	s_add_u32 s18, s18, 8
	s_addc_u32 s19, s19, 0
	v_or_b32_e32 v21, v25, v21
	s_or_b64 s[16:17], vcc, s[16:17]
	v_or_b32_e32 v20, v24, v20
	s_andn2_b64 exec, exec, s[16:17]
	s_cbranch_execnz .LBB0_38
; %bb.39:                               ;   in Loop: Header=BB0_3 Depth=1
	s_or_b64 exec, exec, s[16:17]
.LBB0_40:                               ;   in Loop: Header=BB0_3 Depth=1
	s_or_b64 exec, exec, s[14:15]
	s_mov_b32 s14, 0
                                        ; implicit-def: $vgpr22
.LBB0_41:                               ;   in Loop: Header=BB0_3 Depth=1
	s_or_saveexec_b64 s[4:5], s[4:5]
	v_mov_b32_e32 v7, s14
	s_xor_b64 exec, exec, s[4:5]
	s_cbranch_execz .LBB0_43
; %bb.42:                               ;   in Loop: Header=BB0_3 Depth=1
	flat_load_dwordx2 v[20:21], v[10:11]
	v_add_u32_e32 v7, -8, v22
	v_add_co_u32_e32 v10, vcc, 8, v10
	v_addc_co_u32_e32 v11, vcc, 0, v11, vcc
	s_waitcnt vmcnt(0) lgkmcnt(0)
	v_and_b32_e32 v22, 0xff, v21
	v_and_b32_e32 v23, 0xff00, v21
	;; [unrolled: 1-line block ×4, first 2 shown]
	v_or_b32_e32 v22, v22, v23
	v_or3_b32 v20, v20, 0, 0
	v_or3_b32 v21, v22, v24, v21
.LBB0_43:                               ;   in Loop: Header=BB0_3 Depth=1
	s_or_b64 exec, exec, s[4:5]
	v_cmp_gt_u32_e32 vcc, 8, v7
                                        ; implicit-def: $vgpr22_vgpr23
                                        ; implicit-def: $sgpr14
	s_and_saveexec_b64 s[4:5], vcc
	s_xor_b64 s[4:5], exec, s[4:5]
	s_cbranch_execz .LBB0_49
; %bb.44:                               ;   in Loop: Header=BB0_3 Depth=1
	v_cmp_ne_u32_e32 vcc, 0, v7
	v_pk_mov_b32 v[22:23], 0, 0
	s_and_saveexec_b64 s[14:15], vcc
	s_cbranch_execz .LBB0_48
; %bb.45:                               ;   in Loop: Header=BB0_3 Depth=1
	s_mov_b64 s[16:17], 0
	v_pk_mov_b32 v[22:23], 0, 0
	s_mov_b64 s[18:19], 0
	s_mov_b64 s[20:21], 0
.LBB0_46:                               ;   Parent Loop BB0_3 Depth=1
                                        ; =>  This Inner Loop Header: Depth=2
	v_mov_b32_e32 v25, s21
	v_add_co_u32_e32 v24, vcc, s20, v10
	v_addc_co_u32_e32 v25, vcc, v11, v25, vcc
	flat_load_ubyte v24, v[24:25]
	s_add_u32 s20, s20, 1
	v_mov_b32_e32 v25, s22
	s_addc_u32 s21, s21, 0
	v_cmp_eq_u32_e32 vcc, s20, v7
	s_waitcnt vmcnt(0) lgkmcnt(0)
	v_and_b32_e32 v24, 0xffff, v24
	v_lshlrev_b64 v[24:25], s18, v[24:25]
	s_add_u32 s18, s18, 8
	s_addc_u32 s19, s19, 0
	v_or_b32_e32 v23, v25, v23
	s_or_b64 s[16:17], vcc, s[16:17]
	v_or_b32_e32 v22, v24, v22
	s_andn2_b64 exec, exec, s[16:17]
	s_cbranch_execnz .LBB0_46
; %bb.47:                               ;   in Loop: Header=BB0_3 Depth=1
	s_or_b64 exec, exec, s[16:17]
.LBB0_48:                               ;   in Loop: Header=BB0_3 Depth=1
	s_or_b64 exec, exec, s[14:15]
	s_mov_b32 s14, 0
                                        ; implicit-def: $vgpr7
.LBB0_49:                               ;   in Loop: Header=BB0_3 Depth=1
	s_or_saveexec_b64 s[4:5], s[4:5]
	v_mov_b32_e32 v26, s14
	s_xor_b64 exec, exec, s[4:5]
	s_cbranch_execz .LBB0_51
; %bb.50:                               ;   in Loop: Header=BB0_3 Depth=1
	flat_load_dwordx2 v[22:23], v[10:11]
	v_add_u32_e32 v26, -8, v7
	v_add_co_u32_e32 v10, vcc, 8, v10
	v_addc_co_u32_e32 v11, vcc, 0, v11, vcc
	s_waitcnt vmcnt(0) lgkmcnt(0)
	v_and_b32_e32 v7, 0xff, v23
	v_and_b32_e32 v24, 0xff00, v23
	v_and_b32_e32 v25, 0xff0000, v23
	v_and_b32_e32 v23, 0xff000000, v23
	v_or_b32_e32 v7, v7, v24
	v_or3_b32 v22, v22, 0, 0
	v_or3_b32 v23, v7, v25, v23
.LBB0_51:                               ;   in Loop: Header=BB0_3 Depth=1
	s_or_b64 exec, exec, s[4:5]
	v_cmp_gt_u32_e32 vcc, 8, v26
	s_and_saveexec_b64 s[4:5], vcc
	s_xor_b64 s[4:5], exec, s[4:5]
	s_cbranch_execz .LBB0_57
; %bb.52:                               ;   in Loop: Header=BB0_3 Depth=1
	v_cmp_ne_u32_e32 vcc, 0, v26
	v_pk_mov_b32 v[24:25], 0, 0
	s_and_saveexec_b64 s[14:15], vcc
	s_cbranch_execz .LBB0_56
; %bb.53:                               ;   in Loop: Header=BB0_3 Depth=1
	s_mov_b64 s[16:17], 0
	v_pk_mov_b32 v[24:25], 0, 0
	s_mov_b64 s[18:19], 0
.LBB0_54:                               ;   Parent Loop BB0_3 Depth=1
                                        ; =>  This Inner Loop Header: Depth=2
	flat_load_ubyte v7, v[10:11]
	v_mov_b32_e32 v29, s22
	v_add_co_u32_e32 v10, vcc, 1, v10
	v_add_u32_e32 v26, -1, v26
	v_addc_co_u32_e32 v11, vcc, 0, v11, vcc
	v_cmp_eq_u32_e32 vcc, 0, v26
	s_waitcnt vmcnt(0) lgkmcnt(0)
	v_and_b32_e32 v28, 0xffff, v7
	v_lshlrev_b64 v[28:29], s18, v[28:29]
	s_add_u32 s18, s18, 8
	s_addc_u32 s19, s19, 0
	v_or_b32_e32 v25, v29, v25
	s_or_b64 s[16:17], vcc, s[16:17]
	v_or_b32_e32 v24, v28, v24
	s_andn2_b64 exec, exec, s[16:17]
	s_cbranch_execnz .LBB0_54
; %bb.55:                               ;   in Loop: Header=BB0_3 Depth=1
	s_or_b64 exec, exec, s[16:17]
.LBB0_56:                               ;   in Loop: Header=BB0_3 Depth=1
	s_or_b64 exec, exec, s[14:15]
                                        ; implicit-def: $vgpr10_vgpr11
.LBB0_57:                               ;   in Loop: Header=BB0_3 Depth=1
	s_andn2_saveexec_b64 s[4:5], s[4:5]
	s_cbranch_execz .LBB0_59
; %bb.58:                               ;   in Loop: Header=BB0_3 Depth=1
	flat_load_dwordx2 v[10:11], v[10:11]
	s_waitcnt vmcnt(0) lgkmcnt(0)
	v_and_b32_e32 v7, 0xff, v11
	v_and_b32_e32 v24, 0xff00, v11
	;; [unrolled: 1-line block ×4, first 2 shown]
	v_or_b32_e32 v7, v7, v24
	v_or3_b32 v25, v7, v25, v11
	v_or3_b32 v24, v10, 0, 0
.LBB0_59:                               ;   in Loop: Header=BB0_3 Depth=1
	s_or_b64 exec, exec, s[4:5]
	v_readfirstlane_b32 s4, v32
	v_cmp_eq_u32_e64 s[4:5], s4, v32
	v_pk_mov_b32 v[10:11], 0, 0
	s_and_saveexec_b64 s[14:15], s[4:5]
	s_cbranch_execz .LBB0_65
; %bb.60:                               ;   in Loop: Header=BB0_3 Depth=1
	s_waitcnt lgkmcnt(0)
	global_load_dwordx2 v[28:29], v31, s[12:13] offset:24 glc
	s_waitcnt vmcnt(0)
	buffer_invl2
	buffer_wbinvl1_vol
	global_load_dwordx2 v[10:11], v31, s[12:13] offset:40
	global_load_dwordx2 v[26:27], v31, s[12:13]
	s_waitcnt vmcnt(1)
	v_and_b32_e32 v7, v10, v28
	v_and_b32_e32 v10, v11, v29
	v_mul_lo_u32 v10, v10, 24
	v_mul_hi_u32 v11, v7, 24
	v_mul_lo_u32 v7, v7, 24
	v_add_u32_e32 v11, v11, v10
	s_waitcnt vmcnt(0)
	v_add_co_u32_e32 v10, vcc, v26, v7
	v_addc_co_u32_e32 v11, vcc, v27, v11, vcc
	global_load_dwordx2 v[26:27], v[10:11], off glc
	s_waitcnt vmcnt(0)
	global_atomic_cmpswap_x2 v[10:11], v31, v[26:29], s[12:13] offset:24 glc
	s_waitcnt vmcnt(0)
	buffer_invl2
	buffer_wbinvl1_vol
	v_cmp_ne_u64_e32 vcc, v[10:11], v[28:29]
	s_and_saveexec_b64 s[16:17], vcc
	s_cbranch_execz .LBB0_64
; %bb.61:                               ;   in Loop: Header=BB0_3 Depth=1
	s_mov_b64 s[18:19], 0
.LBB0_62:                               ;   Parent Loop BB0_3 Depth=1
                                        ; =>  This Inner Loop Header: Depth=2
	s_sleep 1
	global_load_dwordx2 v[26:27], v31, s[12:13] offset:40
	global_load_dwordx2 v[36:37], v31, s[12:13]
	v_pk_mov_b32 v[28:29], v[10:11], v[10:11] op_sel:[0,1]
	s_waitcnt vmcnt(1)
	v_and_b32_e32 v10, v26, v28
	s_waitcnt vmcnt(0)
	v_mad_u64_u32 v[10:11], s[20:21], v10, 24, v[36:37]
	v_and_b32_e32 v7, v27, v29
	v_mov_b32_e32 v26, v11
	v_mad_u64_u32 v[26:27], s[20:21], v7, 24, v[26:27]
	v_mov_b32_e32 v11, v26
	global_load_dwordx2 v[26:27], v[10:11], off glc
	s_waitcnt vmcnt(0)
	global_atomic_cmpswap_x2 v[10:11], v31, v[26:29], s[12:13] offset:24 glc
	s_waitcnt vmcnt(0)
	buffer_invl2
	buffer_wbinvl1_vol
	v_cmp_eq_u64_e32 vcc, v[10:11], v[28:29]
	s_or_b64 s[18:19], vcc, s[18:19]
	s_andn2_b64 exec, exec, s[18:19]
	s_cbranch_execnz .LBB0_62
; %bb.63:                               ;   in Loop: Header=BB0_3 Depth=1
	s_or_b64 exec, exec, s[18:19]
.LBB0_64:                               ;   in Loop: Header=BB0_3 Depth=1
	s_or_b64 exec, exec, s[16:17]
.LBB0_65:                               ;   in Loop: Header=BB0_3 Depth=1
	s_or_b64 exec, exec, s[14:15]
	s_waitcnt lgkmcnt(0)
	global_load_dwordx2 v[36:37], v31, s[12:13] offset:40
	global_load_dwordx4 v[26:29], v31, s[12:13]
	v_readfirstlane_b32 s14, v10
	v_readfirstlane_b32 s15, v11
	s_mov_b64 s[16:17], exec
	s_waitcnt vmcnt(1)
	v_readfirstlane_b32 s18, v36
	v_readfirstlane_b32 s19, v37
	s_and_b64 s[18:19], s[14:15], s[18:19]
	s_mul_i32 s20, s19, 24
	s_mul_hi_u32 s21, s18, 24
	s_mul_i32 s24, s18, 24
	s_add_i32 s20, s21, s20
	v_mov_b32_e32 v7, s20
	s_waitcnt vmcnt(0)
	v_add_co_u32_e32 v36, vcc, s24, v26
	v_addc_co_u32_e32 v37, vcc, v27, v7, vcc
	s_and_saveexec_b64 s[20:21], s[4:5]
	s_cbranch_execz .LBB0_67
; %bb.66:                               ;   in Loop: Header=BB0_3 Depth=1
	v_pk_mov_b32 v[10:11], s[16:17], s[16:17] op_sel:[0,1]
	global_store_dwordx4 v[36:37], v[10:13], off offset:8
.LBB0_67:                               ;   in Loop: Header=BB0_3 Depth=1
	s_or_b64 exec, exec, s[20:21]
	s_lshl_b64 s[16:17], s[18:19], 12
	v_mov_b32_e32 v7, s17
	v_add_co_u32_e32 v10, vcc, s16, v28
	v_addc_co_u32_e32 v7, vcc, v29, v7, vcc
	v_or_b32_e32 v11, 0, v1
	v_cmp_lt_u64_e32 vcc, 56, v[4:5]
	v_or_b32_e32 v28, v0, v6
	v_cndmask_b32_e32 v1, v11, v1, vcc
	v_lshl_add_u32 v11, v34, 2, 28
	v_cndmask_b32_e32 v0, v28, v0, vcc
	v_and_b32_e32 v11, 0x1e0, v11
	v_and_or_b32 v0, v0, s23, v11
	v_lshlrev_b32_e32 v11, 6, v32
	v_readfirstlane_b32 s16, v10
	v_readfirstlane_b32 s17, v7
	s_nop 4
	global_store_dwordx4 v11, v[0:3], s[16:17]
	global_store_dwordx4 v11, v[14:17], s[16:17] offset:16
	global_store_dwordx4 v11, v[18:21], s[16:17] offset:32
	;; [unrolled: 1-line block ×3, first 2 shown]
	s_and_saveexec_b64 s[16:17], s[4:5]
	s_cbranch_execz .LBB0_75
; %bb.68:                               ;   in Loop: Header=BB0_3 Depth=1
	global_load_dwordx2 v[18:19], v31, s[12:13] offset:32 glc
	global_load_dwordx2 v[0:1], v31, s[12:13] offset:40
	v_mov_b32_e32 v16, s14
	v_mov_b32_e32 v17, s15
	s_waitcnt vmcnt(0)
	v_readfirstlane_b32 s18, v0
	v_readfirstlane_b32 s19, v1
	s_and_b64 s[18:19], s[18:19], s[14:15]
	s_mul_i32 s19, s19, 24
	s_mul_hi_u32 s20, s18, 24
	s_mul_i32 s18, s18, 24
	s_add_i32 s19, s20, s19
	v_mov_b32_e32 v0, s19
	v_add_co_u32_e32 v14, vcc, s18, v26
	v_addc_co_u32_e32 v15, vcc, v27, v0, vcc
	global_store_dwordx2 v[14:15], v[18:19], off
	buffer_wbl2
	s_waitcnt vmcnt(0)
	global_atomic_cmpswap_x2 v[2:3], v31, v[16:19], s[12:13] offset:32 glc
	s_waitcnt vmcnt(0)
	v_cmp_ne_u64_e32 vcc, v[2:3], v[18:19]
	s_and_saveexec_b64 s[18:19], vcc
	s_cbranch_execz .LBB0_71
; %bb.69:                               ;   in Loop: Header=BB0_3 Depth=1
	s_mov_b64 s[20:21], 0
.LBB0_70:                               ;   Parent Loop BB0_3 Depth=1
                                        ; =>  This Inner Loop Header: Depth=2
	s_sleep 1
	global_store_dwordx2 v[14:15], v[2:3], off
	v_mov_b32_e32 v0, s14
	v_mov_b32_e32 v1, s15
	buffer_wbl2
	s_waitcnt vmcnt(0)
	global_atomic_cmpswap_x2 v[0:1], v31, v[0:3], s[12:13] offset:32 glc
	s_waitcnt vmcnt(0)
	v_cmp_eq_u64_e32 vcc, v[0:1], v[2:3]
	s_or_b64 s[20:21], vcc, s[20:21]
	v_pk_mov_b32 v[2:3], v[0:1], v[0:1] op_sel:[0,1]
	s_andn2_b64 exec, exec, s[20:21]
	s_cbranch_execnz .LBB0_70
.LBB0_71:                               ;   in Loop: Header=BB0_3 Depth=1
	s_or_b64 exec, exec, s[18:19]
	global_load_dwordx2 v[0:1], v31, s[12:13] offset:16
	s_mov_b64 s[20:21], exec
	v_mbcnt_lo_u32_b32 v2, s20, 0
	v_mbcnt_hi_u32_b32 v2, s21, v2
	v_cmp_eq_u32_e32 vcc, 0, v2
	s_and_saveexec_b64 s[18:19], vcc
	s_cbranch_execz .LBB0_73
; %bb.72:                               ;   in Loop: Header=BB0_3 Depth=1
	s_bcnt1_i32_b64 s20, s[20:21]
	v_mov_b32_e32 v30, s20
	buffer_wbl2
	s_waitcnt vmcnt(0)
	global_atomic_add_x2 v[0:1], v[30:31], off offset:8
.LBB0_73:                               ;   in Loop: Header=BB0_3 Depth=1
	s_or_b64 exec, exec, s[18:19]
	s_waitcnt vmcnt(0)
	global_load_dwordx2 v[2:3], v[0:1], off offset:16
	s_waitcnt vmcnt(0)
	v_cmp_eq_u64_e32 vcc, 0, v[2:3]
	s_cbranch_vccnz .LBB0_75
; %bb.74:                               ;   in Loop: Header=BB0_3 Depth=1
	global_load_dword v30, v[0:1], off offset:24
	s_waitcnt vmcnt(0)
	v_and_b32_e32 v0, 0xffffff, v30
	v_readfirstlane_b32 m0, v0
	buffer_wbl2
	global_store_dwordx2 v[2:3], v[30:31], off
	s_sendmsg sendmsg(MSG_INTERRUPT)
.LBB0_75:                               ;   in Loop: Header=BB0_3 Depth=1
	s_or_b64 exec, exec, s[16:17]
	v_add_co_u32_e32 v0, vcc, v10, v11
	v_addc_co_u32_e32 v1, vcc, 0, v7, vcc
	s_branch .LBB0_79
.LBB0_76:                               ;   in Loop: Header=BB0_79 Depth=2
	s_or_b64 exec, exec, s[16:17]
	v_readfirstlane_b32 s16, v2
	s_cmp_eq_u32 s16, 0
	s_cbranch_scc1 .LBB0_78
; %bb.77:                               ;   in Loop: Header=BB0_79 Depth=2
	s_sleep 1
	s_cbranch_execnz .LBB0_79
	s_branch .LBB0_81
.LBB0_78:                               ;   in Loop: Header=BB0_3 Depth=1
	s_branch .LBB0_81
.LBB0_79:                               ;   Parent Loop BB0_3 Depth=1
                                        ; =>  This Inner Loop Header: Depth=2
	v_mov_b32_e32 v2, 1
	s_and_saveexec_b64 s[16:17], s[4:5]
	s_cbranch_execz .LBB0_76
; %bb.80:                               ;   in Loop: Header=BB0_79 Depth=2
	global_load_dword v2, v[36:37], off offset:20 glc
	s_waitcnt vmcnt(0)
	buffer_invl2
	buffer_wbinvl1_vol
	v_and_b32_e32 v2, 1, v2
	s_branch .LBB0_76
.LBB0_81:                               ;   in Loop: Header=BB0_3 Depth=1
	global_load_dwordx4 v[0:3], v[0:1], off
	s_and_saveexec_b64 s[16:17], s[4:5]
	s_cbranch_execz .LBB0_2
; %bb.82:                               ;   in Loop: Header=BB0_3 Depth=1
	global_load_dwordx2 v[2:3], v31, s[12:13] offset:40
	global_load_dwordx2 v[10:11], v31, s[12:13] offset:24 glc
	global_load_dwordx2 v[18:19], v31, s[12:13]
	v_mov_b32_e32 v7, s15
	s_waitcnt vmcnt(2)
	v_add_co_u32_e32 v17, vcc, 1, v2
	v_addc_co_u32_e32 v20, vcc, 0, v3, vcc
	v_add_co_u32_e32 v14, vcc, s14, v17
	v_addc_co_u32_e32 v15, vcc, v20, v7, vcc
	v_cmp_eq_u64_e32 vcc, 0, v[14:15]
	v_cndmask_b32_e32 v15, v15, v20, vcc
	v_cndmask_b32_e32 v14, v14, v17, vcc
	v_and_b32_e32 v3, v15, v3
	v_and_b32_e32 v2, v14, v2
	v_mul_lo_u32 v3, v3, 24
	v_mul_hi_u32 v7, v2, 24
	v_mul_lo_u32 v2, v2, 24
	v_add_u32_e32 v3, v7, v3
	s_waitcnt vmcnt(0)
	v_add_co_u32_e32 v2, vcc, v18, v2
	v_addc_co_u32_e32 v3, vcc, v19, v3, vcc
	v_mov_b32_e32 v16, v10
	global_store_dwordx2 v[2:3], v[10:11], off
	v_mov_b32_e32 v17, v11
	buffer_wbl2
	s_waitcnt vmcnt(0)
	global_atomic_cmpswap_x2 v[16:17], v31, v[14:17], s[12:13] offset:24 glc
	s_waitcnt vmcnt(0)
	v_cmp_ne_u64_e32 vcc, v[16:17], v[10:11]
	s_and_b64 exec, exec, vcc
	s_cbranch_execz .LBB0_2
; %bb.83:                               ;   in Loop: Header=BB0_3 Depth=1
	s_mov_b64 s[4:5], 0
.LBB0_84:                               ;   Parent Loop BB0_3 Depth=1
                                        ; =>  This Inner Loop Header: Depth=2
	s_sleep 1
	global_store_dwordx2 v[2:3], v[16:17], off
	buffer_wbl2
	s_waitcnt vmcnt(0)
	global_atomic_cmpswap_x2 v[10:11], v31, v[14:17], s[12:13] offset:24 glc
	s_waitcnt vmcnt(0)
	v_cmp_eq_u64_e32 vcc, v[10:11], v[16:17]
	s_or_b64 s[4:5], vcc, s[4:5]
	v_pk_mov_b32 v[16:17], v[10:11], v[10:11] op_sel:[0,1]
	s_andn2_b64 exec, exec, s[4:5]
	s_cbranch_execnz .LBB0_84
	s_branch .LBB0_2
.LBB0_85:
	s_or_b64 exec, exec, s[6:7]
                                        ; implicit-def: $vgpr0
                                        ; implicit-def: $vgpr1
                                        ; implicit-def: $vgpr2
.LBB0_86:
	s_andn2_saveexec_b64 s[6:7], s[10:11]
	s_cbranch_execz .LBB0_109
; %bb.87:
	s_load_dwordx2 s[8:9], s[8:9], 0x50
	s_waitcnt vmcnt(0)
	v_mbcnt_hi_u32_b32 v3, -1, v2
	v_readfirstlane_b32 s4, v3
	v_cmp_eq_u32_e64 s[4:5], s4, v3
	v_pk_mov_b32 v[8:9], 0, 0
	s_and_saveexec_b64 s[10:11], s[4:5]
	s_cbranch_execz .LBB0_93
; %bb.88:
	v_mov_b32_e32 v2, 0
	s_waitcnt lgkmcnt(0)
	global_load_dwordx2 v[6:7], v2, s[8:9] offset:24 glc
	s_waitcnt vmcnt(0)
	buffer_invl2
	buffer_wbinvl1_vol
	global_load_dwordx2 v[4:5], v2, s[8:9] offset:40
	global_load_dwordx2 v[8:9], v2, s[8:9]
	s_waitcnt vmcnt(1)
	v_and_b32_e32 v4, v4, v6
	v_and_b32_e32 v5, v5, v7
	v_mul_lo_u32 v5, v5, 24
	v_mul_hi_u32 v10, v4, 24
	v_mul_lo_u32 v4, v4, 24
	v_add_u32_e32 v5, v10, v5
	s_waitcnt vmcnt(0)
	v_add_co_u32_e32 v4, vcc, v8, v4
	v_addc_co_u32_e32 v5, vcc, v9, v5, vcc
	global_load_dwordx2 v[4:5], v[4:5], off glc
	s_waitcnt vmcnt(0)
	global_atomic_cmpswap_x2 v[8:9], v2, v[4:7], s[8:9] offset:24 glc
	s_waitcnt vmcnt(0)
	buffer_invl2
	buffer_wbinvl1_vol
	v_cmp_ne_u64_e32 vcc, v[8:9], v[6:7]
	s_and_saveexec_b64 s[12:13], vcc
	s_cbranch_execz .LBB0_92
; %bb.89:
	s_mov_b64 s[14:15], 0
.LBB0_90:                               ; =>This Inner Loop Header: Depth=1
	s_sleep 1
	global_load_dwordx2 v[4:5], v2, s[8:9] offset:40
	global_load_dwordx2 v[10:11], v2, s[8:9]
	v_pk_mov_b32 v[6:7], v[8:9], v[8:9] op_sel:[0,1]
	s_waitcnt vmcnt(1)
	v_and_b32_e32 v4, v4, v6
	v_and_b32_e32 v9, v5, v7
	s_waitcnt vmcnt(0)
	v_mad_u64_u32 v[4:5], s[16:17], v4, 24, v[10:11]
	v_mov_b32_e32 v8, v5
	v_mad_u64_u32 v[8:9], s[16:17], v9, 24, v[8:9]
	v_mov_b32_e32 v5, v8
	global_load_dwordx2 v[4:5], v[4:5], off glc
	s_waitcnt vmcnt(0)
	global_atomic_cmpswap_x2 v[8:9], v2, v[4:7], s[8:9] offset:24 glc
	s_waitcnt vmcnt(0)
	buffer_invl2
	buffer_wbinvl1_vol
	v_cmp_eq_u64_e32 vcc, v[8:9], v[6:7]
	s_or_b64 s[14:15], vcc, s[14:15]
	s_andn2_b64 exec, exec, s[14:15]
	s_cbranch_execnz .LBB0_90
; %bb.91:
	s_or_b64 exec, exec, s[14:15]
.LBB0_92:
	s_or_b64 exec, exec, s[12:13]
.LBB0_93:
	s_or_b64 exec, exec, s[10:11]
	v_mov_b32_e32 v2, 0
	s_waitcnt lgkmcnt(0)
	global_load_dwordx2 v[10:11], v2, s[8:9] offset:40
	global_load_dwordx4 v[4:7], v2, s[8:9]
	v_readfirstlane_b32 s10, v8
	v_readfirstlane_b32 s11, v9
	s_mov_b64 s[12:13], exec
	s_waitcnt vmcnt(1)
	v_readfirstlane_b32 s14, v10
	v_readfirstlane_b32 s15, v11
	s_and_b64 s[14:15], s[10:11], s[14:15]
	s_mul_i32 s16, s15, 24
	s_mul_hi_u32 s17, s14, 24
	s_mul_i32 s18, s14, 24
	s_add_i32 s16, s17, s16
	v_mov_b32_e32 v9, s16
	s_waitcnt vmcnt(0)
	v_add_co_u32_e32 v8, vcc, s18, v4
	v_addc_co_u32_e32 v9, vcc, v5, v9, vcc
	s_and_saveexec_b64 s[16:17], s[4:5]
	s_cbranch_execz .LBB0_95
; %bb.94:
	v_pk_mov_b32 v[10:11], s[12:13], s[12:13] op_sel:[0,1]
	v_mov_b32_e32 v12, 2
	v_mov_b32_e32 v13, 1
	global_store_dwordx4 v[8:9], v[10:13], off offset:8
.LBB0_95:
	s_or_b64 exec, exec, s[16:17]
	s_lshl_b64 s[12:13], s[14:15], 12
	v_mov_b32_e32 v10, s13
	v_add_co_u32_e32 v6, vcc, s12, v6
	s_movk_i32 s12, 0xff1f
	v_addc_co_u32_e32 v7, vcc, v7, v10, vcc
	v_and_or_b32 v0, v0, s12, 32
	s_mov_b32 s12, 0
	v_lshlrev_b32_e32 v10, 6, v3
	v_mov_b32_e32 v3, v2
	v_readfirstlane_b32 s16, v6
	v_readfirstlane_b32 s17, v7
	s_mov_b32 s13, s12
	s_mov_b32 s14, s12
	;; [unrolled: 1-line block ×3, first 2 shown]
	s_nop 1
	global_store_dwordx4 v10, v[0:3], s[16:17]
	s_nop 0
	v_pk_mov_b32 v[0:1], s[12:13], s[12:13] op_sel:[0,1]
	v_pk_mov_b32 v[2:3], s[14:15], s[14:15] op_sel:[0,1]
	global_store_dwordx4 v10, v[0:3], s[16:17] offset:16
	global_store_dwordx4 v10, v[0:3], s[16:17] offset:32
	;; [unrolled: 1-line block ×3, first 2 shown]
	s_and_saveexec_b64 s[12:13], s[4:5]
	s_cbranch_execz .LBB0_103
; %bb.96:
	v_mov_b32_e32 v6, 0
	global_load_dwordx2 v[12:13], v6, s[8:9] offset:32 glc
	global_load_dwordx2 v[0:1], v6, s[8:9] offset:40
	v_mov_b32_e32 v10, s10
	v_mov_b32_e32 v11, s11
	s_waitcnt vmcnt(0)
	v_and_b32_e32 v0, s10, v0
	v_and_b32_e32 v1, s11, v1
	v_mul_lo_u32 v1, v1, 24
	v_mul_hi_u32 v2, v0, 24
	v_mul_lo_u32 v0, v0, 24
	v_add_u32_e32 v1, v2, v1
	v_add_co_u32_e32 v4, vcc, v4, v0
	v_addc_co_u32_e32 v5, vcc, v5, v1, vcc
	global_store_dwordx2 v[4:5], v[12:13], off
	buffer_wbl2
	s_waitcnt vmcnt(0)
	global_atomic_cmpswap_x2 v[2:3], v6, v[10:13], s[8:9] offset:32 glc
	s_waitcnt vmcnt(0)
	v_cmp_ne_u64_e32 vcc, v[2:3], v[12:13]
	s_and_saveexec_b64 s[14:15], vcc
	s_cbranch_execz .LBB0_99
; %bb.97:
	s_mov_b64 s[16:17], 0
.LBB0_98:                               ; =>This Inner Loop Header: Depth=1
	s_sleep 1
	global_store_dwordx2 v[4:5], v[2:3], off
	v_mov_b32_e32 v0, s10
	v_mov_b32_e32 v1, s11
	buffer_wbl2
	s_waitcnt vmcnt(0)
	global_atomic_cmpswap_x2 v[0:1], v6, v[0:3], s[8:9] offset:32 glc
	s_waitcnt vmcnt(0)
	v_cmp_eq_u64_e32 vcc, v[0:1], v[2:3]
	s_or_b64 s[16:17], vcc, s[16:17]
	v_pk_mov_b32 v[2:3], v[0:1], v[0:1] op_sel:[0,1]
	s_andn2_b64 exec, exec, s[16:17]
	s_cbranch_execnz .LBB0_98
.LBB0_99:
	s_or_b64 exec, exec, s[14:15]
	v_mov_b32_e32 v3, 0
	global_load_dwordx2 v[0:1], v3, s[8:9] offset:16
	s_mov_b64 s[14:15], exec
	v_mbcnt_lo_u32_b32 v2, s14, 0
	v_mbcnt_hi_u32_b32 v2, s15, v2
	v_cmp_eq_u32_e32 vcc, 0, v2
	s_and_saveexec_b64 s[16:17], vcc
	s_cbranch_execz .LBB0_101
; %bb.100:
	s_bcnt1_i32_b64 s14, s[14:15]
	v_mov_b32_e32 v2, s14
	buffer_wbl2
	s_waitcnt vmcnt(0)
	global_atomic_add_x2 v[0:1], v[2:3], off offset:8
.LBB0_101:
	s_or_b64 exec, exec, s[16:17]
	s_waitcnt vmcnt(0)
	global_load_dwordx2 v[2:3], v[0:1], off offset:16
	s_waitcnt vmcnt(0)
	v_cmp_eq_u64_e32 vcc, 0, v[2:3]
	s_cbranch_vccnz .LBB0_103
; %bb.102:
	global_load_dword v0, v[0:1], off offset:24
	v_mov_b32_e32 v1, 0
	buffer_wbl2
	s_waitcnt vmcnt(0)
	global_store_dwordx2 v[2:3], v[0:1], off
	v_and_b32_e32 v0, 0xffffff, v0
	v_readfirstlane_b32 m0, v0
	s_sendmsg sendmsg(MSG_INTERRUPT)
.LBB0_103:
	s_or_b64 exec, exec, s[12:13]
	s_branch .LBB0_107
.LBB0_104:                              ;   in Loop: Header=BB0_107 Depth=1
	s_or_b64 exec, exec, s[12:13]
	v_readfirstlane_b32 s12, v0
	s_cmp_eq_u32 s12, 0
	s_cbranch_scc1 .LBB0_106
; %bb.105:                              ;   in Loop: Header=BB0_107 Depth=1
	s_sleep 1
	s_cbranch_execnz .LBB0_107
	s_branch .LBB0_110
.LBB0_106:
	s_branch .LBB0_110
.LBB0_107:                              ; =>This Inner Loop Header: Depth=1
	v_mov_b32_e32 v0, 1
	s_and_saveexec_b64 s[12:13], s[4:5]
	s_cbranch_execz .LBB0_104
; %bb.108:                              ;   in Loop: Header=BB0_107 Depth=1
	global_load_dword v0, v[8:9], off offset:20 glc
	s_waitcnt vmcnt(0)
	buffer_invl2
	buffer_wbinvl1_vol
	v_and_b32_e32 v0, 1, v0
	s_branch .LBB0_104
.LBB0_109:
	s_or_b64 exec, exec, s[6:7]
	s_waitcnt vmcnt(0) lgkmcnt(0)
	s_setpc_b64 s[30:31]
.LBB0_110:
	s_and_saveexec_b64 s[12:13], s[4:5]
	s_cbranch_execz .LBB0_113
; %bb.111:
	v_mov_b32_e32 v6, 0
	global_load_dwordx2 v[4:5], v6, s[8:9] offset:40
	global_load_dwordx2 v[8:9], v6, s[8:9] offset:24 glc
	global_load_dwordx2 v[10:11], v6, s[8:9]
	v_mov_b32_e32 v1, s11
	s_mov_b64 s[4:5], 0
	s_waitcnt vmcnt(2)
	v_add_co_u32_e32 v3, vcc, 1, v4
	v_addc_co_u32_e32 v7, vcc, 0, v5, vcc
	v_add_co_u32_e32 v0, vcc, s10, v3
	v_addc_co_u32_e32 v1, vcc, v7, v1, vcc
	v_cmp_eq_u64_e32 vcc, 0, v[0:1]
	v_cndmask_b32_e32 v1, v1, v7, vcc
	v_cndmask_b32_e32 v0, v0, v3, vcc
	v_and_b32_e32 v3, v1, v5
	v_and_b32_e32 v4, v0, v4
	v_mul_lo_u32 v3, v3, 24
	v_mul_hi_u32 v5, v4, 24
	v_mul_lo_u32 v4, v4, 24
	v_add_u32_e32 v3, v5, v3
	s_waitcnt vmcnt(0)
	v_add_co_u32_e32 v4, vcc, v10, v4
	v_addc_co_u32_e32 v5, vcc, v11, v3, vcc
	v_mov_b32_e32 v2, v8
	global_store_dwordx2 v[4:5], v[8:9], off
	v_mov_b32_e32 v3, v9
	buffer_wbl2
	s_waitcnt vmcnt(0)
	global_atomic_cmpswap_x2 v[2:3], v6, v[0:3], s[8:9] offset:24 glc
	s_waitcnt vmcnt(0)
	v_cmp_ne_u64_e32 vcc, v[2:3], v[8:9]
	s_and_b64 exec, exec, vcc
	s_cbranch_execz .LBB0_113
.LBB0_112:                              ; =>This Inner Loop Header: Depth=1
	s_sleep 1
	global_store_dwordx2 v[4:5], v[2:3], off
	buffer_wbl2
	s_waitcnt vmcnt(0)
	global_atomic_cmpswap_x2 v[8:9], v6, v[0:3], s[8:9] offset:24 glc
	s_waitcnt vmcnt(0)
	v_cmp_eq_u64_e32 vcc, v[8:9], v[2:3]
	s_or_b64 s[4:5], vcc, s[4:5]
	v_pk_mov_b32 v[2:3], v[8:9], v[8:9] op_sel:[0,1]
	s_andn2_b64 exec, exec, s[4:5]
	s_cbranch_execnz .LBB0_112
.LBB0_113:
	s_or_b64 exec, exec, s[12:13]
	s_or_b64 exec, exec, s[6:7]
	s_waitcnt vmcnt(0) lgkmcnt(0)
	s_setpc_b64 s[30:31]
.Lfunc_end0:
	.size	__ockl_fprintf_append_string_n, .Lfunc_end0-__ockl_fprintf_append_string_n
                                        ; -- End function
	.section	.AMDGPU.csdata,"",@progbits
; Function info:
; codeLenInByte = 4372
; NumSgprs: 36
; NumVgprs: 38
; NumAgprs: 0
; TotalNumVgprs: 38
; ScratchSize: 0
; MemoryBound: 0
	.text
	.p2align	2                               ; -- Begin function __assert_fail
	.type	__assert_fail,@function
__assert_fail:                          ; @__assert_fail
; %bb.0:
	s_waitcnt vmcnt(0) expcnt(0) lgkmcnt(0)
	s_mov_b32 s25, s33
	s_mov_b32 s33, s32
	s_or_saveexec_b64 s[4:5], -1
	buffer_store_dword v40, off, s[0:3], s33 offset:48 ; 4-byte Folded Spill
	s_mov_b64 exec, s[4:5]
	v_writelane_b32 v40, s30, 0
	s_addk_i32 s32, 0x1000
	v_writelane_b32 v40, s31, 1
	s_getpc_b64 s[4:5]
	s_add_u32 s4, s4, __const.__assert_fail.fmt@rel32@lo+4
	s_addc_u32 s5, s5, __const.__assert_fail.fmt@rel32@hi+12
	s_load_dwordx4 s[4:7], s[4:5], 0x0
	v_mov_b32_e32 v4, v0
	v_mov_b32_e32 v0, 0xa2e
	buffer_store_short v0, off, s[0:3], s33 offset:44
	v_mov_b32_e32 v0, 0x64656c69
	buffer_store_dword v0, off, s[0:3], s33 offset:40
	v_mov_b32_e32 v0, 0x61662027
	s_getpc_b64 s[10:11]
	s_add_u32 s10, s10, __const.__assert_fail.fmt@rel32@lo+20
	s_addc_u32 s11, s11, __const.__assert_fail.fmt@rel32@hi+28
	buffer_store_dword v0, off, s[0:3], s33 offset:36
	v_mov_b32_e32 v0, 0x73256020
	s_load_dwordx4 s[12:15], s[10:11], 0x0
	buffer_store_dword v0, off, s[0:3], s33 offset:32
	s_waitcnt lgkmcnt(0)
	v_mov_b32_e32 v0, s7
	buffer_store_dword v0, off, s[0:3], s33 offset:12
	v_mov_b32_e32 v0, s6
	buffer_store_dword v0, off, s[0:3], s33 offset:8
	v_mov_b32_e32 v0, s5
	buffer_store_dword v0, off, s[0:3], s33 offset:4
	v_mov_b32_e32 v0, s4
	buffer_store_dword v0, off, s[0:3], s33
	v_mov_b32_e32 v0, s15
	buffer_store_dword v0, off, s[0:3], s33 offset:28
	v_mov_b32_e32 v0, s14
	buffer_store_dword v0, off, s[0:3], s33 offset:24
	;; [unrolled: 2-line block ×3, first 2 shown]
	v_mov_b32_e32 v0, s12
	s_load_dwordx2 s[10:11], s[8:9], 0x50
	buffer_store_dword v0, off, s[0:3], s33 offset:16
	v_mbcnt_lo_u32_b32 v0, -1, 0
	v_mbcnt_hi_u32_b32 v37, -1, v0
	v_readfirstlane_b32 s4, v37
	v_mov_b32_e32 v5, v1
	v_mov_b32_e32 v8, 0
	v_cmp_eq_u32_e64 s[4:5], s4, v37
	v_pk_mov_b32 v[6:7], 0, 0
	buffer_store_byte v8, off, s[0:3], s33 offset:46
	s_and_saveexec_b64 s[6:7], s[4:5]
	s_cbranch_execz .LBB1_6
; %bb.1:
	s_waitcnt lgkmcnt(0)
	global_load_dwordx2 v[2:3], v8, s[10:11] offset:24 glc
	s_waitcnt vmcnt(0)
	buffer_invl2
	buffer_wbinvl1_vol
	global_load_dwordx2 v[0:1], v8, s[10:11] offset:40
	global_load_dwordx2 v[6:7], v8, s[10:11]
	s_waitcnt vmcnt(1)
	v_and_b32_e32 v0, v0, v2
	v_and_b32_e32 v1, v1, v3
	v_mul_lo_u32 v1, v1, 24
	v_mul_hi_u32 v9, v0, 24
	v_mul_lo_u32 v0, v0, 24
	v_add_u32_e32 v1, v9, v1
	s_waitcnt vmcnt(0)
	v_add_co_u32_e32 v0, vcc, v6, v0
	v_addc_co_u32_e32 v1, vcc, v7, v1, vcc
	global_load_dwordx2 v[0:1], v[0:1], off glc
	s_waitcnt vmcnt(0)
	global_atomic_cmpswap_x2 v[6:7], v8, v[0:3], s[10:11] offset:24 glc
	s_waitcnt vmcnt(0)
	buffer_invl2
	buffer_wbinvl1_vol
	v_cmp_ne_u64_e32 vcc, v[6:7], v[2:3]
	s_and_saveexec_b64 s[12:13], vcc
	s_cbranch_execz .LBB1_5
; %bb.2:
	s_mov_b64 s[14:15], 0
.LBB1_3:                                ; =>This Inner Loop Header: Depth=1
	s_sleep 1
	global_load_dwordx2 v[0:1], v8, s[10:11] offset:40
	global_load_dwordx2 v[10:11], v8, s[10:11]
	v_pk_mov_b32 v[2:3], v[6:7], v[6:7] op_sel:[0,1]
	s_waitcnt vmcnt(1)
	v_and_b32_e32 v0, v0, v2
	v_and_b32_e32 v7, v1, v3
	s_waitcnt vmcnt(0)
	v_mad_u64_u32 v[0:1], s[16:17], v0, 24, v[10:11]
	v_mov_b32_e32 v6, v1
	v_mad_u64_u32 v[6:7], s[16:17], v7, 24, v[6:7]
	v_mov_b32_e32 v1, v6
	global_load_dwordx2 v[0:1], v[0:1], off glc
	s_waitcnt vmcnt(0)
	global_atomic_cmpswap_x2 v[6:7], v8, v[0:3], s[10:11] offset:24 glc
	s_waitcnt vmcnt(0)
	buffer_invl2
	buffer_wbinvl1_vol
	v_cmp_eq_u64_e32 vcc, v[6:7], v[2:3]
	s_or_b64 s[14:15], vcc, s[14:15]
	s_andn2_b64 exec, exec, s[14:15]
	s_cbranch_execnz .LBB1_3
; %bb.4:
	s_or_b64 exec, exec, s[14:15]
.LBB1_5:
	s_or_b64 exec, exec, s[12:13]
.LBB1_6:
	s_or_b64 exec, exec, s[6:7]
	s_waitcnt lgkmcnt(0)
	global_load_dwordx2 v[10:11], v8, s[10:11] offset:40
	global_load_dwordx4 v[0:3], v8, s[10:11]
	v_readfirstlane_b32 s6, v6
	v_readfirstlane_b32 s7, v7
	s_mov_b64 s[12:13], exec
	s_waitcnt vmcnt(1)
	v_readfirstlane_b32 s14, v10
	v_readfirstlane_b32 s15, v11
	s_and_b64 s[14:15], s[6:7], s[14:15]
	s_mul_i32 s16, s15, 24
	s_mul_hi_u32 s17, s14, 24
	s_mul_i32 s18, s14, 24
	s_add_i32 s16, s17, s16
	v_mov_b32_e32 v6, s16
	s_waitcnt vmcnt(0)
	v_add_co_u32_e32 v10, vcc, s18, v0
	v_addc_co_u32_e32 v11, vcc, v1, v6, vcc
	s_and_saveexec_b64 s[16:17], s[4:5]
	s_cbranch_execz .LBB1_8
; %bb.7:
	v_pk_mov_b32 v[6:7], s[12:13], s[12:13] op_sel:[0,1]
	v_mov_b32_e32 v8, 2
	v_mov_b32_e32 v9, 1
	global_store_dwordx4 v[10:11], v[6:9], off offset:8
.LBB1_8:
	s_or_b64 exec, exec, s[16:17]
	s_lshl_b64 s[12:13], s[14:15], 12
	v_mov_b32_e32 v6, s13
	v_add_co_u32_e32 v2, vcc, s12, v2
	s_mov_b32 s12, 0
	v_addc_co_u32_e32 v3, vcc, v3, v6, vcc
	v_lshlrev_b32_e32 v36, 6, v37
	s_mov_b32 s14, s12
	s_mov_b32 s15, s12
	v_mov_b32_e32 v7, 0
	v_add_co_u32_e32 v12, vcc, v2, v36
	s_mov_b32 s13, s12
	v_pk_mov_b32 v[16:17], s[14:15], s[14:15] op_sel:[0,1]
	v_addc_co_u32_e32 v13, vcc, 0, v3, vcc
	v_mov_b32_e32 v6, 33
	v_mov_b32_e32 v8, 1
	;; [unrolled: 1-line block ×3, first 2 shown]
	v_readfirstlane_b32 s16, v2
	v_readfirstlane_b32 s17, v3
	v_pk_mov_b32 v[14:15], s[12:13], s[12:13] op_sel:[0,1]
	s_nop 3
	global_store_dwordx4 v36, v[6:9], s[16:17]
	global_store_dwordx4 v36, v[14:17], s[16:17] offset:16
	global_store_dwordx4 v36, v[14:17], s[16:17] offset:32
	global_store_dwordx4 v36, v[14:17], s[16:17] offset:48
	s_and_saveexec_b64 s[12:13], s[4:5]
	s_cbranch_execz .LBB1_16
; %bb.9:
	global_load_dwordx2 v[16:17], v7, s[10:11] offset:32 glc
	global_load_dwordx2 v[2:3], v7, s[10:11] offset:40
	v_mov_b32_e32 v14, s6
	v_mov_b32_e32 v15, s7
	s_waitcnt vmcnt(0)
	v_and_b32_e32 v2, s6, v2
	v_and_b32_e32 v3, s7, v3
	v_mul_lo_u32 v3, v3, 24
	v_mul_hi_u32 v6, v2, 24
	v_mul_lo_u32 v2, v2, 24
	v_add_u32_e32 v3, v6, v3
	v_add_co_u32_e32 v8, vcc, v0, v2
	v_addc_co_u32_e32 v9, vcc, v1, v3, vcc
	global_store_dwordx2 v[8:9], v[16:17], off
	buffer_wbl2
	s_waitcnt vmcnt(0)
	global_atomic_cmpswap_x2 v[2:3], v7, v[14:17], s[10:11] offset:32 glc
	s_waitcnt vmcnt(0)
	v_cmp_ne_u64_e32 vcc, v[2:3], v[16:17]
	s_and_saveexec_b64 s[14:15], vcc
	s_cbranch_execz .LBB1_12
; %bb.10:
	s_mov_b64 s[16:17], 0
.LBB1_11:                               ; =>This Inner Loop Header: Depth=1
	s_sleep 1
	global_store_dwordx2 v[8:9], v[2:3], off
	v_mov_b32_e32 v0, s6
	v_mov_b32_e32 v1, s7
	buffer_wbl2
	s_waitcnt vmcnt(0)
	global_atomic_cmpswap_x2 v[0:1], v7, v[0:3], s[10:11] offset:32 glc
	s_waitcnt vmcnt(0)
	v_cmp_eq_u64_e32 vcc, v[0:1], v[2:3]
	s_or_b64 s[16:17], vcc, s[16:17]
	v_pk_mov_b32 v[2:3], v[0:1], v[0:1] op_sel:[0,1]
	s_andn2_b64 exec, exec, s[16:17]
	s_cbranch_execnz .LBB1_11
.LBB1_12:
	s_or_b64 exec, exec, s[14:15]
	v_mov_b32_e32 v3, 0
	global_load_dwordx2 v[0:1], v3, s[10:11] offset:16
	s_mov_b64 s[14:15], exec
	v_mbcnt_lo_u32_b32 v2, s14, 0
	v_mbcnt_hi_u32_b32 v2, s15, v2
	v_cmp_eq_u32_e32 vcc, 0, v2
	s_and_saveexec_b64 s[16:17], vcc
	s_cbranch_execz .LBB1_14
; %bb.13:
	s_bcnt1_i32_b64 s14, s[14:15]
	v_mov_b32_e32 v2, s14
	buffer_wbl2
	s_waitcnt vmcnt(0)
	global_atomic_add_x2 v[0:1], v[2:3], off offset:8
.LBB1_14:
	s_or_b64 exec, exec, s[16:17]
	s_waitcnt vmcnt(0)
	global_load_dwordx2 v[2:3], v[0:1], off offset:16
	s_waitcnt vmcnt(0)
	v_cmp_eq_u64_e32 vcc, 0, v[2:3]
	s_cbranch_vccnz .LBB1_16
; %bb.15:
	global_load_dword v0, v[0:1], off offset:24
	v_mov_b32_e32 v1, 0
	buffer_wbl2
	s_waitcnt vmcnt(0)
	global_store_dwordx2 v[2:3], v[0:1], off
	v_and_b32_e32 v0, 0xffffff, v0
	v_readfirstlane_b32 m0, v0
	s_sendmsg sendmsg(MSG_INTERRUPT)
.LBB1_16:
	s_or_b64 exec, exec, s[12:13]
	s_branch .LBB1_20
.LBB1_17:                               ;   in Loop: Header=BB1_20 Depth=1
	s_or_b64 exec, exec, s[12:13]
	v_readfirstlane_b32 s12, v0
	s_cmp_eq_u32 s12, 0
	s_cbranch_scc1 .LBB1_19
; %bb.18:                               ;   in Loop: Header=BB1_20 Depth=1
	s_sleep 1
	s_cbranch_execnz .LBB1_20
	s_branch .LBB1_22
.LBB1_19:
	s_branch .LBB1_22
.LBB1_20:                               ; =>This Inner Loop Header: Depth=1
	v_mov_b32_e32 v0, 1
	s_and_saveexec_b64 s[12:13], s[4:5]
	s_cbranch_execz .LBB1_17
; %bb.21:                               ;   in Loop: Header=BB1_20 Depth=1
	global_load_dword v0, v[10:11], off offset:20 glc
	s_waitcnt vmcnt(0)
	buffer_invl2
	buffer_wbinvl1_vol
	v_and_b32_e32 v0, 1, v0
	s_branch .LBB1_17
.LBB1_22:
	global_load_dwordx2 v[6:7], v[12:13], off
	s_and_saveexec_b64 s[12:13], s[4:5]
	s_cbranch_execz .LBB1_25
; %bb.23:
	v_mov_b32_e32 v10, 0
	global_load_dwordx2 v[8:9], v10, s[10:11] offset:40
	global_load_dwordx2 v[12:13], v10, s[10:11] offset:24 glc
	global_load_dwordx2 v[14:15], v10, s[10:11]
	v_mov_b32_e32 v1, s7
	s_mov_b64 s[4:5], 0
	s_waitcnt vmcnt(2)
	v_add_co_u32_e32 v3, vcc, 1, v8
	v_addc_co_u32_e32 v11, vcc, 0, v9, vcc
	v_add_co_u32_e32 v0, vcc, s6, v3
	v_addc_co_u32_e32 v1, vcc, v11, v1, vcc
	v_cmp_eq_u64_e32 vcc, 0, v[0:1]
	v_cndmask_b32_e32 v1, v1, v11, vcc
	v_cndmask_b32_e32 v0, v0, v3, vcc
	v_and_b32_e32 v3, v1, v9
	v_and_b32_e32 v8, v0, v8
	v_mul_lo_u32 v3, v3, 24
	v_mul_hi_u32 v9, v8, 24
	v_mul_lo_u32 v8, v8, 24
	v_add_u32_e32 v3, v9, v3
	s_waitcnt vmcnt(0)
	v_add_co_u32_e32 v8, vcc, v14, v8
	v_addc_co_u32_e32 v9, vcc, v15, v3, vcc
	v_mov_b32_e32 v2, v12
	global_store_dwordx2 v[8:9], v[12:13], off
	v_mov_b32_e32 v3, v13
	buffer_wbl2
	s_waitcnt vmcnt(0)
	global_atomic_cmpswap_x2 v[2:3], v10, v[0:3], s[10:11] offset:24 glc
	s_waitcnt vmcnt(0)
	v_cmp_ne_u64_e32 vcc, v[2:3], v[12:13]
	s_and_b64 exec, exec, vcc
	s_cbranch_execz .LBB1_25
.LBB1_24:                               ; =>This Inner Loop Header: Depth=1
	s_sleep 1
	global_store_dwordx2 v[8:9], v[2:3], off
	buffer_wbl2
	s_waitcnt vmcnt(0)
	global_atomic_cmpswap_x2 v[12:13], v10, v[0:3], s[10:11] offset:24 glc
	s_waitcnt vmcnt(0)
	v_cmp_eq_u64_e32 vcc, v[12:13], v[2:3]
	s_or_b64 s[4:5], vcc, s[4:5]
	v_pk_mov_b32 v[2:3], v[12:13], v[12:13] op_sel:[0,1]
	s_andn2_b64 exec, exec, s[4:5]
	s_cbranch_execnz .LBB1_24
.LBB1_25:
	s_or_b64 exec, exec, s[12:13]
	v_lshrrev_b32_e64 v1, 6, s33
	s_mov_b64 s[4:5], 0
.LBB1_26:                               ; =>This Inner Loop Header: Depth=1
	buffer_load_ubyte v2, v1, s[0:3], 0 offen
	v_add_u32_e32 v0, 1, v1
	v_mov_b32_e32 v1, v0
	s_waitcnt vmcnt(0)
	v_cmp_eq_u16_e32 vcc, 0, v2
	s_or_b64 s[4:5], vcc, s[4:5]
	s_andn2_b64 exec, exec, s[4:5]
	s_cbranch_execnz .LBB1_26
; %bb.27:
	s_or_b64 exec, exec, s[4:5]
	v_lshrrev_b32_e64 v31, 6, s33
	v_cmp_ne_u32_e32 vcc, -1, v31
	s_cbranch_vccz .LBB1_112
; %bb.28:
	v_lshrrev_b32_e64 v1, 6, s33
	v_subrev_u32_e32 v28, v1, v0
	v_ashrrev_i32_e32 v29, 31, v28
	v_and_b32_e32 v30, 2, v6
	v_mov_b32_e32 v33, 0
	v_and_b32_e32 v0, -3, v6
	v_mov_b32_e32 v1, v7
	s_mov_b64 s[12:13], 0
	s_mov_b32 s20, 0
	s_movk_i32 s21, 0xff1f
	v_mov_b32_e32 v10, 2
	v_mov_b32_e32 v11, 1
	s_branch .LBB1_30
.LBB1_29:                               ;   in Loop: Header=BB1_30 Depth=1
	s_or_b64 exec, exec, s[6:7]
	v_sub_co_u32_e32 v28, vcc, v28, v38
	v_subb_co_u32_e32 v29, vcc, v29, v39, vcc
	v_cmp_eq_u64_e32 vcc, 0, v[28:29]
	s_or_b64 s[12:13], vcc, s[12:13]
	v_add_u32_e32 v31, v31, v38
	s_andn2_b64 exec, exec, s[12:13]
	s_cbranch_execz .LBB1_113
.LBB1_30:                               ; =>This Loop Header: Depth=1
                                        ;     Child Loop BB1_33 Depth 2
                                        ;     Child Loop BB1_41 Depth 2
	;; [unrolled: 1-line block ×11, first 2 shown]
	v_cmp_gt_u64_e32 vcc, 56, v[28:29]
	v_cndmask_b32_e32 v38, 56, v28, vcc
	v_cmp_gt_u64_e64 s[4:5], 8, v[28:29]
                                        ; implicit-def: $vgpr2_vgpr3
                                        ; implicit-def: $sgpr14
	s_and_saveexec_b64 s[6:7], s[4:5]
	s_xor_b64 s[6:7], exec, s[6:7]
	s_cbranch_execz .LBB1_36
; %bb.31:                               ;   in Loop: Header=BB1_30 Depth=1
	s_mov_b64 s[16:17], 0
	v_cmp_ne_u64_e64 s[4:5], 0, v[28:29]
	s_waitcnt vmcnt(0)
	v_pk_mov_b32 v[2:3], 0, 0
	s_and_saveexec_b64 s[14:15], s[4:5]
	s_cbranch_execz .LBB1_35
; %bb.32:                               ;   in Loop: Header=BB1_30 Depth=1
	s_mov_b32 s22, 0
	v_pk_mov_b32 v[2:3], 0, 0
	s_mov_b64 s[18:19], 0
.LBB1_33:                               ;   Parent Loop BB1_30 Depth=1
                                        ; =>  This Inner Loop Header: Depth=2
	v_add_u32_e32 v8, s22, v31
	buffer_load_ubyte v8, v8, s[0:3], 0 offen
	v_mov_b32_e32 v9, s20
	s_add_i32 s22, s22, 1
	v_cmp_eq_u32_e64 s[4:5], s22, v38
	s_waitcnt vmcnt(0)
	v_and_b32_e32 v8, 0xffff, v8
	v_lshlrev_b64 v[8:9], s18, v[8:9]
	s_add_u32 s18, s18, 8
	s_addc_u32 s19, s19, 0
	v_or_b32_e32 v3, v9, v3
	s_or_b64 s[16:17], s[4:5], s[16:17]
	v_or_b32_e32 v2, v8, v2
	s_andn2_b64 exec, exec, s[16:17]
	s_cbranch_execnz .LBB1_33
; %bb.34:                               ;   in Loop: Header=BB1_30 Depth=1
	s_or_b64 exec, exec, s[16:17]
.LBB1_35:                               ;   in Loop: Header=BB1_30 Depth=1
	s_or_b64 exec, exec, s[14:15]
	s_mov_b32 s14, 0
.LBB1_36:                               ;   in Loop: Header=BB1_30 Depth=1
	s_or_saveexec_b64 s[4:5], s[6:7]
	v_mov_b32_e32 v9, s14
	v_mov_b32_e32 v8, v31
	s_xor_b64 exec, exec, s[4:5]
	s_cbranch_execz .LBB1_38
; %bb.37:                               ;   in Loop: Header=BB1_30 Depth=1
	buffer_load_dword v2, v31, s[0:3], 0 offen offset:4
	buffer_load_dword v3, v31, s[0:3], 0 offen
	v_add_u32_e32 v9, -8, v38
	s_waitcnt vmcnt(1)
	v_and_b32_e32 v8, 0xff, v2
	v_and_b32_e32 v12, 0xff00, v2
	s_waitcnt vmcnt(0)
	v_or3_b32 v3, v3, 0, 0
	v_and_b32_e32 v13, 0xff0000, v2
	v_and_b32_e32 v14, 0xff000000, v2
	v_or3_b32 v8, 0, v8, v12
	v_or3_b32 v2, v3, 0, 0
	;; [unrolled: 1-line block ×3, first 2 shown]
	v_add_u32_e32 v8, 8, v31
.LBB1_38:                               ;   in Loop: Header=BB1_30 Depth=1
	s_or_b64 exec, exec, s[4:5]
	v_cmp_gt_u32_e64 s[4:5], 8, v9
                                        ; implicit-def: $vgpr12_vgpr13
                                        ; implicit-def: $sgpr14
	s_and_saveexec_b64 s[6:7], s[4:5]
	s_xor_b64 s[6:7], exec, s[6:7]
	s_cbranch_execz .LBB1_44
; %bb.39:                               ;   in Loop: Header=BB1_30 Depth=1
	v_cmp_ne_u32_e64 s[4:5], 0, v9
	v_pk_mov_b32 v[12:13], 0, 0
	s_and_saveexec_b64 s[14:15], s[4:5]
	s_cbranch_execz .LBB1_43
; %bb.40:                               ;   in Loop: Header=BB1_30 Depth=1
	s_mov_b32 s22, 0
	s_mov_b64 s[16:17], 0
	v_pk_mov_b32 v[12:13], 0, 0
	s_mov_b64 s[18:19], 0
.LBB1_41:                               ;   Parent Loop BB1_30 Depth=1
                                        ; =>  This Inner Loop Header: Depth=2
	v_add_u32_e32 v14, s22, v8
	buffer_load_ubyte v14, v14, s[0:3], 0 offen
	v_mov_b32_e32 v15, s20
	s_add_i32 s22, s22, 1
	v_cmp_eq_u32_e64 s[4:5], s22, v9
	s_waitcnt vmcnt(0)
	v_and_b32_e32 v14, 0xffff, v14
	v_lshlrev_b64 v[14:15], s18, v[14:15]
	s_add_u32 s18, s18, 8
	s_addc_u32 s19, s19, 0
	v_or_b32_e32 v13, v15, v13
	s_or_b64 s[16:17], s[4:5], s[16:17]
	v_or_b32_e32 v12, v14, v12
	s_andn2_b64 exec, exec, s[16:17]
	s_cbranch_execnz .LBB1_41
; %bb.42:                               ;   in Loop: Header=BB1_30 Depth=1
	s_or_b64 exec, exec, s[16:17]
.LBB1_43:                               ;   in Loop: Header=BB1_30 Depth=1
	s_or_b64 exec, exec, s[14:15]
	s_mov_b32 s14, 0
                                        ; implicit-def: $vgpr9
.LBB1_44:                               ;   in Loop: Header=BB1_30 Depth=1
	s_or_saveexec_b64 s[4:5], s[6:7]
	v_mov_b32_e32 v16, s14
	s_xor_b64 exec, exec, s[4:5]
	s_cbranch_execz .LBB1_46
; %bb.45:                               ;   in Loop: Header=BB1_30 Depth=1
	buffer_load_dword v12, v8, s[0:3], 0 offen offset:4
	buffer_load_dword v13, v8, s[0:3], 0 offen
	v_add_u32_e32 v16, -8, v9
	v_add_u32_e32 v8, 8, v8
	s_waitcnt vmcnt(1)
	v_and_b32_e32 v9, 0xff, v12
	v_and_b32_e32 v14, 0xff00, v12
	s_waitcnt vmcnt(0)
	v_or3_b32 v13, v13, 0, 0
	v_and_b32_e32 v15, 0xff0000, v12
	v_and_b32_e32 v17, 0xff000000, v12
	v_or3_b32 v9, 0, v9, v14
	v_or3_b32 v12, v13, 0, 0
	;; [unrolled: 1-line block ×3, first 2 shown]
.LBB1_46:                               ;   in Loop: Header=BB1_30 Depth=1
	s_or_b64 exec, exec, s[4:5]
	v_cmp_gt_u32_e64 s[4:5], 8, v16
                                        ; implicit-def: $sgpr14
	s_and_saveexec_b64 s[6:7], s[4:5]
	s_xor_b64 s[6:7], exec, s[6:7]
	s_cbranch_execz .LBB1_52
; %bb.47:                               ;   in Loop: Header=BB1_30 Depth=1
	v_cmp_ne_u32_e64 s[4:5], 0, v16
	v_pk_mov_b32 v[14:15], 0, 0
	s_and_saveexec_b64 s[14:15], s[4:5]
	s_cbranch_execz .LBB1_51
; %bb.48:                               ;   in Loop: Header=BB1_30 Depth=1
	s_mov_b32 s22, 0
	s_mov_b64 s[16:17], 0
	v_pk_mov_b32 v[14:15], 0, 0
	s_mov_b64 s[18:19], 0
.LBB1_49:                               ;   Parent Loop BB1_30 Depth=1
                                        ; =>  This Inner Loop Header: Depth=2
	v_add_u32_e32 v9, s22, v8
	buffer_load_ubyte v9, v9, s[0:3], 0 offen
	v_mov_b32_e32 v19, s20
	s_add_i32 s22, s22, 1
	v_cmp_eq_u32_e64 s[4:5], s22, v16
	s_waitcnt vmcnt(0)
	v_and_b32_e32 v18, 0xffff, v9
	v_lshlrev_b64 v[18:19], s18, v[18:19]
	s_add_u32 s18, s18, 8
	s_addc_u32 s19, s19, 0
	v_or_b32_e32 v15, v19, v15
	s_or_b64 s[16:17], s[4:5], s[16:17]
	v_or_b32_e32 v14, v18, v14
	s_andn2_b64 exec, exec, s[16:17]
	s_cbranch_execnz .LBB1_49
; %bb.50:                               ;   in Loop: Header=BB1_30 Depth=1
	s_or_b64 exec, exec, s[16:17]
.LBB1_51:                               ;   in Loop: Header=BB1_30 Depth=1
	s_or_b64 exec, exec, s[14:15]
	s_mov_b32 s14, 0
                                        ; implicit-def: $vgpr16
.LBB1_52:                               ;   in Loop: Header=BB1_30 Depth=1
	s_or_saveexec_b64 s[4:5], s[6:7]
	v_mov_b32_e32 v9, s14
	s_xor_b64 exec, exec, s[4:5]
	s_cbranch_execz .LBB1_54
; %bb.53:                               ;   in Loop: Header=BB1_30 Depth=1
	buffer_load_dword v14, v8, s[0:3], 0 offen offset:4
	buffer_load_dword v15, v8, s[0:3], 0 offen
	v_add_u32_e32 v9, -8, v16
	v_add_u32_e32 v8, 8, v8
	s_waitcnt vmcnt(1)
	v_and_b32_e32 v16, 0xff, v14
	v_and_b32_e32 v17, 0xff00, v14
	s_waitcnt vmcnt(0)
	v_or3_b32 v15, v15, 0, 0
	v_and_b32_e32 v18, 0xff0000, v14
	v_and_b32_e32 v19, 0xff000000, v14
	v_or3_b32 v16, 0, v16, v17
	v_or3_b32 v14, v15, 0, 0
	;; [unrolled: 1-line block ×3, first 2 shown]
.LBB1_54:                               ;   in Loop: Header=BB1_30 Depth=1
	s_or_b64 exec, exec, s[4:5]
	v_cmp_gt_u32_e64 s[4:5], 8, v9
                                        ; implicit-def: $vgpr16_vgpr17
                                        ; implicit-def: $sgpr14
	s_and_saveexec_b64 s[6:7], s[4:5]
	s_xor_b64 s[6:7], exec, s[6:7]
	s_cbranch_execz .LBB1_60
; %bb.55:                               ;   in Loop: Header=BB1_30 Depth=1
	v_cmp_ne_u32_e64 s[4:5], 0, v9
	v_pk_mov_b32 v[16:17], 0, 0
	s_and_saveexec_b64 s[14:15], s[4:5]
	s_cbranch_execz .LBB1_59
; %bb.56:                               ;   in Loop: Header=BB1_30 Depth=1
	s_mov_b32 s22, 0
	s_mov_b64 s[16:17], 0
	v_pk_mov_b32 v[16:17], 0, 0
	s_mov_b64 s[18:19], 0
.LBB1_57:                               ;   Parent Loop BB1_30 Depth=1
                                        ; =>  This Inner Loop Header: Depth=2
	v_add_u32_e32 v18, s22, v8
	buffer_load_ubyte v18, v18, s[0:3], 0 offen
	v_mov_b32_e32 v19, s20
	s_add_i32 s22, s22, 1
	v_cmp_eq_u32_e64 s[4:5], s22, v9
	s_waitcnt vmcnt(0)
	v_and_b32_e32 v18, 0xffff, v18
	v_lshlrev_b64 v[18:19], s18, v[18:19]
	s_add_u32 s18, s18, 8
	s_addc_u32 s19, s19, 0
	v_or_b32_e32 v17, v19, v17
	s_or_b64 s[16:17], s[4:5], s[16:17]
	v_or_b32_e32 v16, v18, v16
	s_andn2_b64 exec, exec, s[16:17]
	s_cbranch_execnz .LBB1_57
; %bb.58:                               ;   in Loop: Header=BB1_30 Depth=1
	s_or_b64 exec, exec, s[16:17]
.LBB1_59:                               ;   in Loop: Header=BB1_30 Depth=1
	s_or_b64 exec, exec, s[14:15]
	s_mov_b32 s14, 0
                                        ; implicit-def: $vgpr9
.LBB1_60:                               ;   in Loop: Header=BB1_30 Depth=1
	s_or_saveexec_b64 s[4:5], s[6:7]
	v_mov_b32_e32 v20, s14
	s_xor_b64 exec, exec, s[4:5]
	s_cbranch_execz .LBB1_62
; %bb.61:                               ;   in Loop: Header=BB1_30 Depth=1
	buffer_load_dword v16, v8, s[0:3], 0 offen offset:4
	buffer_load_dword v17, v8, s[0:3], 0 offen
	v_add_u32_e32 v20, -8, v9
	v_add_u32_e32 v8, 8, v8
	s_waitcnt vmcnt(1)
	v_and_b32_e32 v9, 0xff, v16
	v_and_b32_e32 v18, 0xff00, v16
	s_waitcnt vmcnt(0)
	v_or3_b32 v17, v17, 0, 0
	v_and_b32_e32 v19, 0xff0000, v16
	v_and_b32_e32 v21, 0xff000000, v16
	v_or3_b32 v9, 0, v9, v18
	v_or3_b32 v16, v17, 0, 0
	v_or3_b32 v17, v9, v19, v21
.LBB1_62:                               ;   in Loop: Header=BB1_30 Depth=1
	s_or_b64 exec, exec, s[4:5]
	v_cmp_gt_u32_e64 s[4:5], 8, v20
                                        ; implicit-def: $sgpr14
	s_and_saveexec_b64 s[6:7], s[4:5]
	s_xor_b64 s[6:7], exec, s[6:7]
	s_cbranch_execz .LBB1_68
; %bb.63:                               ;   in Loop: Header=BB1_30 Depth=1
	v_cmp_ne_u32_e64 s[4:5], 0, v20
	v_pk_mov_b32 v[18:19], 0, 0
	s_and_saveexec_b64 s[14:15], s[4:5]
	s_cbranch_execz .LBB1_67
; %bb.64:                               ;   in Loop: Header=BB1_30 Depth=1
	s_mov_b32 s22, 0
	s_mov_b64 s[16:17], 0
	v_pk_mov_b32 v[18:19], 0, 0
	s_mov_b64 s[18:19], 0
.LBB1_65:                               ;   Parent Loop BB1_30 Depth=1
                                        ; =>  This Inner Loop Header: Depth=2
	v_add_u32_e32 v9, s22, v8
	buffer_load_ubyte v9, v9, s[0:3], 0 offen
	v_mov_b32_e32 v23, s20
	s_add_i32 s22, s22, 1
	v_cmp_eq_u32_e64 s[4:5], s22, v20
	s_waitcnt vmcnt(0)
	v_and_b32_e32 v22, 0xffff, v9
	v_lshlrev_b64 v[22:23], s18, v[22:23]
	s_add_u32 s18, s18, 8
	s_addc_u32 s19, s19, 0
	v_or_b32_e32 v19, v23, v19
	s_or_b64 s[16:17], s[4:5], s[16:17]
	v_or_b32_e32 v18, v22, v18
	s_andn2_b64 exec, exec, s[16:17]
	s_cbranch_execnz .LBB1_65
; %bb.66:                               ;   in Loop: Header=BB1_30 Depth=1
	s_or_b64 exec, exec, s[16:17]
.LBB1_67:                               ;   in Loop: Header=BB1_30 Depth=1
	s_or_b64 exec, exec, s[14:15]
	s_mov_b32 s14, 0
                                        ; implicit-def: $vgpr20
.LBB1_68:                               ;   in Loop: Header=BB1_30 Depth=1
	s_or_saveexec_b64 s[4:5], s[6:7]
	v_mov_b32_e32 v9, s14
	s_xor_b64 exec, exec, s[4:5]
	s_cbranch_execz .LBB1_70
; %bb.69:                               ;   in Loop: Header=BB1_30 Depth=1
	buffer_load_dword v18, v8, s[0:3], 0 offen offset:4
	buffer_load_dword v19, v8, s[0:3], 0 offen
	v_add_u32_e32 v9, -8, v20
	v_add_u32_e32 v8, 8, v8
	s_waitcnt vmcnt(1)
	v_and_b32_e32 v20, 0xff, v18
	v_and_b32_e32 v21, 0xff00, v18
	s_waitcnt vmcnt(0)
	v_or3_b32 v19, v19, 0, 0
	v_and_b32_e32 v22, 0xff0000, v18
	v_and_b32_e32 v23, 0xff000000, v18
	v_or3_b32 v20, 0, v20, v21
	v_or3_b32 v18, v19, 0, 0
	v_or3_b32 v19, v20, v22, v23
.LBB1_70:                               ;   in Loop: Header=BB1_30 Depth=1
	s_or_b64 exec, exec, s[4:5]
	v_cmp_gt_u32_e64 s[4:5], 8, v9
                                        ; implicit-def: $vgpr20_vgpr21
                                        ; implicit-def: $sgpr14
	s_and_saveexec_b64 s[6:7], s[4:5]
	s_xor_b64 s[6:7], exec, s[6:7]
	s_cbranch_execz .LBB1_76
; %bb.71:                               ;   in Loop: Header=BB1_30 Depth=1
	v_cmp_ne_u32_e64 s[4:5], 0, v9
	v_pk_mov_b32 v[20:21], 0, 0
	s_and_saveexec_b64 s[14:15], s[4:5]
	s_cbranch_execz .LBB1_75
; %bb.72:                               ;   in Loop: Header=BB1_30 Depth=1
	s_mov_b32 s22, 0
	s_mov_b64 s[16:17], 0
	v_pk_mov_b32 v[20:21], 0, 0
	s_mov_b64 s[18:19], 0
.LBB1_73:                               ;   Parent Loop BB1_30 Depth=1
                                        ; =>  This Inner Loop Header: Depth=2
	v_add_u32_e32 v22, s22, v8
	buffer_load_ubyte v22, v22, s[0:3], 0 offen
	v_mov_b32_e32 v23, s20
	s_add_i32 s22, s22, 1
	v_cmp_eq_u32_e64 s[4:5], s22, v9
	s_waitcnt vmcnt(0)
	v_and_b32_e32 v22, 0xffff, v22
	v_lshlrev_b64 v[22:23], s18, v[22:23]
	s_add_u32 s18, s18, 8
	s_addc_u32 s19, s19, 0
	v_or_b32_e32 v21, v23, v21
	s_or_b64 s[16:17], s[4:5], s[16:17]
	v_or_b32_e32 v20, v22, v20
	s_andn2_b64 exec, exec, s[16:17]
	s_cbranch_execnz .LBB1_73
; %bb.74:                               ;   in Loop: Header=BB1_30 Depth=1
	s_or_b64 exec, exec, s[16:17]
.LBB1_75:                               ;   in Loop: Header=BB1_30 Depth=1
	s_or_b64 exec, exec, s[14:15]
	s_mov_b32 s14, 0
                                        ; implicit-def: $vgpr9
.LBB1_76:                               ;   in Loop: Header=BB1_30 Depth=1
	s_or_saveexec_b64 s[4:5], s[6:7]
	v_mov_b32_e32 v24, s14
	s_xor_b64 exec, exec, s[4:5]
	s_cbranch_execz .LBB1_78
; %bb.77:                               ;   in Loop: Header=BB1_30 Depth=1
	buffer_load_dword v20, v8, s[0:3], 0 offen offset:4
	buffer_load_dword v21, v8, s[0:3], 0 offen
	v_add_u32_e32 v24, -8, v9
	v_add_u32_e32 v8, 8, v8
	s_waitcnt vmcnt(1)
	v_and_b32_e32 v9, 0xff, v20
	v_and_b32_e32 v22, 0xff00, v20
	s_waitcnt vmcnt(0)
	v_or3_b32 v21, v21, 0, 0
	v_and_b32_e32 v23, 0xff0000, v20
	v_and_b32_e32 v25, 0xff000000, v20
	v_or3_b32 v9, 0, v9, v22
	v_or3_b32 v20, v21, 0, 0
	;; [unrolled: 1-line block ×3, first 2 shown]
.LBB1_78:                               ;   in Loop: Header=BB1_30 Depth=1
	s_or_b64 exec, exec, s[4:5]
	v_cmp_gt_u32_e64 s[4:5], 8, v24
	s_and_saveexec_b64 s[6:7], s[4:5]
	s_xor_b64 s[6:7], exec, s[6:7]
	s_cbranch_execz .LBB1_84
; %bb.79:                               ;   in Loop: Header=BB1_30 Depth=1
	v_cmp_ne_u32_e64 s[4:5], 0, v24
	v_pk_mov_b32 v[22:23], 0, 0
	s_and_saveexec_b64 s[14:15], s[4:5]
	s_cbranch_execz .LBB1_83
; %bb.80:                               ;   in Loop: Header=BB1_30 Depth=1
	s_mov_b64 s[16:17], 0
	v_pk_mov_b32 v[22:23], 0, 0
	s_mov_b64 s[18:19], 0
.LBB1_81:                               ;   Parent Loop BB1_30 Depth=1
                                        ; =>  This Inner Loop Header: Depth=2
	buffer_load_ubyte v9, v8, s[0:3], 0 offen
	v_mov_b32_e32 v27, s20
	v_add_u32_e32 v24, -1, v24
	v_cmp_eq_u32_e64 s[4:5], 0, v24
	v_add_u32_e32 v8, 1, v8
	s_waitcnt vmcnt(0)
	v_and_b32_e32 v26, 0xffff, v9
	v_lshlrev_b64 v[26:27], s18, v[26:27]
	s_add_u32 s18, s18, 8
	s_addc_u32 s19, s19, 0
	v_or_b32_e32 v23, v27, v23
	s_or_b64 s[16:17], s[4:5], s[16:17]
	v_or_b32_e32 v22, v26, v22
	s_andn2_b64 exec, exec, s[16:17]
	s_cbranch_execnz .LBB1_81
; %bb.82:                               ;   in Loop: Header=BB1_30 Depth=1
	s_or_b64 exec, exec, s[16:17]
.LBB1_83:                               ;   in Loop: Header=BB1_30 Depth=1
	s_or_b64 exec, exec, s[14:15]
                                        ; implicit-def: $vgpr8
.LBB1_84:                               ;   in Loop: Header=BB1_30 Depth=1
	s_andn2_saveexec_b64 s[4:5], s[6:7]
	s_cbranch_execz .LBB1_86
; %bb.85:                               ;   in Loop: Header=BB1_30 Depth=1
	buffer_load_dword v9, v8, s[0:3], 0 offen offset:4
	buffer_load_dword v22, v8, s[0:3], 0 offen
	s_waitcnt vmcnt(1)
	v_and_b32_e32 v8, 0xff, v9
	v_and_b32_e32 v23, 0xff00, v9
	s_waitcnt vmcnt(0)
	v_or3_b32 v22, v22, 0, 0
	v_and_b32_e32 v24, 0xff0000, v9
	v_and_b32_e32 v9, 0xff000000, v9
	v_or3_b32 v8, 0, v8, v23
	v_or3_b32 v23, v8, v24, v9
	;; [unrolled: 1-line block ×3, first 2 shown]
.LBB1_86:                               ;   in Loop: Header=BB1_30 Depth=1
	s_or_b64 exec, exec, s[4:5]
	v_readfirstlane_b32 s4, v37
	v_cmp_eq_u32_e64 s[4:5], s4, v37
	v_pk_mov_b32 v[8:9], 0, 0
	s_and_saveexec_b64 s[14:15], s[4:5]
	s_cbranch_execz .LBB1_92
; %bb.87:                               ;   in Loop: Header=BB1_30 Depth=1
	global_load_dwordx2 v[26:27], v33, s[10:11] offset:24 glc
	s_waitcnt vmcnt(0)
	buffer_invl2
	buffer_wbinvl1_vol
	global_load_dwordx2 v[8:9], v33, s[10:11] offset:40
	global_load_dwordx2 v[24:25], v33, s[10:11]
	s_waitcnt vmcnt(1)
	v_and_b32_e32 v8, v8, v26
	v_and_b32_e32 v9, v9, v27
	v_mul_lo_u32 v9, v9, 24
	v_mul_hi_u32 v32, v8, 24
	v_mul_lo_u32 v8, v8, 24
	v_add_u32_e32 v9, v32, v9
	s_waitcnt vmcnt(0)
	v_add_co_u32_e64 v8, s[6:7], v24, v8
	v_addc_co_u32_e64 v9, s[6:7], v25, v9, s[6:7]
	global_load_dwordx2 v[24:25], v[8:9], off glc
	s_waitcnt vmcnt(0)
	global_atomic_cmpswap_x2 v[8:9], v33, v[24:27], s[10:11] offset:24 glc
	s_waitcnt vmcnt(0)
	buffer_invl2
	buffer_wbinvl1_vol
	v_cmp_ne_u64_e64 s[6:7], v[8:9], v[26:27]
	s_and_saveexec_b64 s[16:17], s[6:7]
	s_cbranch_execz .LBB1_91
; %bb.88:                               ;   in Loop: Header=BB1_30 Depth=1
	s_mov_b64 s[18:19], 0
.LBB1_89:                               ;   Parent Loop BB1_30 Depth=1
                                        ; =>  This Inner Loop Header: Depth=2
	s_sleep 1
	global_load_dwordx2 v[24:25], v33, s[10:11] offset:40
	global_load_dwordx2 v[34:35], v33, s[10:11]
	v_pk_mov_b32 v[26:27], v[8:9], v[8:9] op_sel:[0,1]
	s_waitcnt vmcnt(1)
	v_and_b32_e32 v8, v24, v26
	s_waitcnt vmcnt(0)
	v_mad_u64_u32 v[8:9], s[6:7], v8, 24, v[34:35]
	v_and_b32_e32 v25, v25, v27
	v_mov_b32_e32 v24, v9
	v_mad_u64_u32 v[24:25], s[6:7], v25, 24, v[24:25]
	v_mov_b32_e32 v9, v24
	global_load_dwordx2 v[24:25], v[8:9], off glc
	s_waitcnt vmcnt(0)
	global_atomic_cmpswap_x2 v[8:9], v33, v[24:27], s[10:11] offset:24 glc
	s_waitcnt vmcnt(0)
	buffer_invl2
	buffer_wbinvl1_vol
	v_cmp_eq_u64_e64 s[6:7], v[8:9], v[26:27]
	s_or_b64 s[18:19], s[6:7], s[18:19]
	s_andn2_b64 exec, exec, s[18:19]
	s_cbranch_execnz .LBB1_89
; %bb.90:                               ;   in Loop: Header=BB1_30 Depth=1
	s_or_b64 exec, exec, s[18:19]
.LBB1_91:                               ;   in Loop: Header=BB1_30 Depth=1
	s_or_b64 exec, exec, s[16:17]
.LBB1_92:                               ;   in Loop: Header=BB1_30 Depth=1
	s_or_b64 exec, exec, s[14:15]
	global_load_dwordx2 v[34:35], v33, s[10:11] offset:40
	global_load_dwordx4 v[24:27], v33, s[10:11]
	v_readfirstlane_b32 s14, v8
	v_readfirstlane_b32 s15, v9
	s_mov_b64 s[16:17], exec
	s_waitcnt vmcnt(1)
	v_readfirstlane_b32 s6, v34
	v_readfirstlane_b32 s7, v35
	s_and_b64 s[18:19], s[14:15], s[6:7]
	s_mul_i32 s6, s19, 24
	s_mul_hi_u32 s7, s18, 24
	s_mul_i32 s22, s18, 24
	s_add_i32 s6, s7, s6
	v_mov_b32_e32 v8, s6
	s_waitcnt vmcnt(0)
	v_add_co_u32_e64 v34, s[6:7], s22, v24
	v_addc_co_u32_e64 v35, s[6:7], v25, v8, s[6:7]
	s_and_saveexec_b64 s[6:7], s[4:5]
	s_cbranch_execz .LBB1_94
; %bb.93:                               ;   in Loop: Header=BB1_30 Depth=1
	v_pk_mov_b32 v[8:9], s[16:17], s[16:17] op_sel:[0,1]
	global_store_dwordx4 v[34:35], v[8:11], off offset:8
.LBB1_94:                               ;   in Loop: Header=BB1_30 Depth=1
	s_or_b64 exec, exec, s[6:7]
	s_lshl_b64 s[6:7], s[18:19], 12
	v_cndmask_b32_e32 v39, 0, v29, vcc
	v_mov_b32_e32 v9, s7
	v_add_co_u32_e32 v8, vcc, s6, v26
	v_addc_co_u32_e32 v9, vcc, v27, v9, vcc
	v_or_b32_e32 v26, 0, v1
	v_cmp_lt_u64_e32 vcc, 56, v[28:29]
	v_or_b32_e32 v27, v0, v30
	v_cndmask_b32_e32 v1, v26, v1, vcc
	v_lshl_add_u32 v26, v38, 2, 28
	v_cndmask_b32_e32 v0, v27, v0, vcc
	v_and_b32_e32 v26, 0x1e0, v26
	v_and_or_b32 v0, v0, s21, v26
	v_readfirstlane_b32 s6, v8
	v_readfirstlane_b32 s7, v9
	s_nop 4
	global_store_dwordx4 v36, v[0:3], s[6:7]
	global_store_dwordx4 v36, v[12:15], s[6:7] offset:16
	global_store_dwordx4 v36, v[16:19], s[6:7] offset:32
	;; [unrolled: 1-line block ×3, first 2 shown]
	s_and_saveexec_b64 s[6:7], s[4:5]
	s_cbranch_execz .LBB1_102
; %bb.95:                               ;   in Loop: Header=BB1_30 Depth=1
	global_load_dwordx2 v[16:17], v33, s[10:11] offset:32 glc
	global_load_dwordx2 v[0:1], v33, s[10:11] offset:40
	v_mov_b32_e32 v14, s14
	v_mov_b32_e32 v15, s15
	s_waitcnt vmcnt(0)
	v_readfirstlane_b32 s16, v0
	v_readfirstlane_b32 s17, v1
	s_and_b64 s[16:17], s[16:17], s[14:15]
	s_mul_i32 s17, s17, 24
	s_mul_hi_u32 s18, s16, 24
	s_mul_i32 s16, s16, 24
	s_add_i32 s17, s18, s17
	v_mov_b32_e32 v0, s17
	v_add_co_u32_e32 v12, vcc, s16, v24
	v_addc_co_u32_e32 v13, vcc, v25, v0, vcc
	global_store_dwordx2 v[12:13], v[16:17], off
	buffer_wbl2
	s_waitcnt vmcnt(0)
	global_atomic_cmpswap_x2 v[2:3], v33, v[14:17], s[10:11] offset:32 glc
	s_waitcnt vmcnt(0)
	v_cmp_ne_u64_e32 vcc, v[2:3], v[16:17]
	s_and_saveexec_b64 s[16:17], vcc
	s_cbranch_execz .LBB1_98
; %bb.96:                               ;   in Loop: Header=BB1_30 Depth=1
	s_mov_b64 s[18:19], 0
.LBB1_97:                               ;   Parent Loop BB1_30 Depth=1
                                        ; =>  This Inner Loop Header: Depth=2
	s_sleep 1
	global_store_dwordx2 v[12:13], v[2:3], off
	v_mov_b32_e32 v0, s14
	v_mov_b32_e32 v1, s15
	buffer_wbl2
	s_waitcnt vmcnt(0)
	global_atomic_cmpswap_x2 v[0:1], v33, v[0:3], s[10:11] offset:32 glc
	s_waitcnt vmcnt(0)
	v_cmp_eq_u64_e32 vcc, v[0:1], v[2:3]
	s_or_b64 s[18:19], vcc, s[18:19]
	v_pk_mov_b32 v[2:3], v[0:1], v[0:1] op_sel:[0,1]
	s_andn2_b64 exec, exec, s[18:19]
	s_cbranch_execnz .LBB1_97
.LBB1_98:                               ;   in Loop: Header=BB1_30 Depth=1
	s_or_b64 exec, exec, s[16:17]
	global_load_dwordx2 v[0:1], v33, s[10:11] offset:16
	s_mov_b64 s[18:19], exec
	v_mbcnt_lo_u32_b32 v2, s18, 0
	v_mbcnt_hi_u32_b32 v2, s19, v2
	v_cmp_eq_u32_e32 vcc, 0, v2
	s_and_saveexec_b64 s[16:17], vcc
	s_cbranch_execz .LBB1_100
; %bb.99:                               ;   in Loop: Header=BB1_30 Depth=1
	s_bcnt1_i32_b64 s18, s[18:19]
	v_mov_b32_e32 v32, s18
	buffer_wbl2
	s_waitcnt vmcnt(0)
	global_atomic_add_x2 v[0:1], v[32:33], off offset:8
.LBB1_100:                              ;   in Loop: Header=BB1_30 Depth=1
	s_or_b64 exec, exec, s[16:17]
	s_waitcnt vmcnt(0)
	global_load_dwordx2 v[2:3], v[0:1], off offset:16
	s_waitcnt vmcnt(0)
	v_cmp_eq_u64_e32 vcc, 0, v[2:3]
	s_cbranch_vccnz .LBB1_102
; %bb.101:                              ;   in Loop: Header=BB1_30 Depth=1
	global_load_dword v32, v[0:1], off offset:24
	s_waitcnt vmcnt(0)
	v_and_b32_e32 v0, 0xffffff, v32
	v_readfirstlane_b32 m0, v0
	buffer_wbl2
	global_store_dwordx2 v[2:3], v[32:33], off
	s_sendmsg sendmsg(MSG_INTERRUPT)
.LBB1_102:                              ;   in Loop: Header=BB1_30 Depth=1
	s_or_b64 exec, exec, s[6:7]
	v_add_co_u32_e32 v0, vcc, v8, v36
	v_addc_co_u32_e32 v1, vcc, 0, v9, vcc
	s_branch .LBB1_106
.LBB1_103:                              ;   in Loop: Header=BB1_106 Depth=2
	s_or_b64 exec, exec, s[6:7]
	v_readfirstlane_b32 s6, v2
	s_cmp_eq_u32 s6, 0
	s_cbranch_scc1 .LBB1_105
; %bb.104:                              ;   in Loop: Header=BB1_106 Depth=2
	s_sleep 1
	s_cbranch_execnz .LBB1_106
	s_branch .LBB1_108
.LBB1_105:                              ;   in Loop: Header=BB1_30 Depth=1
	s_branch .LBB1_108
.LBB1_106:                              ;   Parent Loop BB1_30 Depth=1
                                        ; =>  This Inner Loop Header: Depth=2
	v_mov_b32_e32 v2, 1
	s_and_saveexec_b64 s[6:7], s[4:5]
	s_cbranch_execz .LBB1_103
; %bb.107:                              ;   in Loop: Header=BB1_106 Depth=2
	global_load_dword v2, v[34:35], off offset:20 glc
	s_waitcnt vmcnt(0)
	buffer_invl2
	buffer_wbinvl1_vol
	v_and_b32_e32 v2, 1, v2
	s_branch .LBB1_103
.LBB1_108:                              ;   in Loop: Header=BB1_30 Depth=1
	global_load_dwordx4 v[0:3], v[0:1], off
	s_and_saveexec_b64 s[6:7], s[4:5]
	s_cbranch_execz .LBB1_29
; %bb.109:                              ;   in Loop: Header=BB1_30 Depth=1
	global_load_dwordx2 v[2:3], v33, s[10:11] offset:40
	global_load_dwordx2 v[8:9], v33, s[10:11] offset:24 glc
	global_load_dwordx2 v[16:17], v33, s[10:11]
	v_mov_b32_e32 v13, s15
	s_waitcnt vmcnt(2)
	v_add_co_u32_e32 v15, vcc, 1, v2
	v_addc_co_u32_e32 v18, vcc, 0, v3, vcc
	v_add_co_u32_e32 v12, vcc, s14, v15
	v_addc_co_u32_e32 v13, vcc, v18, v13, vcc
	v_cmp_eq_u64_e32 vcc, 0, v[12:13]
	v_cndmask_b32_e32 v13, v13, v18, vcc
	v_cndmask_b32_e32 v12, v12, v15, vcc
	v_and_b32_e32 v3, v13, v3
	v_and_b32_e32 v2, v12, v2
	v_mul_lo_u32 v3, v3, 24
	v_mul_hi_u32 v15, v2, 24
	v_mul_lo_u32 v2, v2, 24
	v_add_u32_e32 v3, v15, v3
	s_waitcnt vmcnt(0)
	v_add_co_u32_e32 v2, vcc, v16, v2
	v_addc_co_u32_e32 v3, vcc, v17, v3, vcc
	v_mov_b32_e32 v14, v8
	global_store_dwordx2 v[2:3], v[8:9], off
	v_mov_b32_e32 v15, v9
	buffer_wbl2
	s_waitcnt vmcnt(0)
	global_atomic_cmpswap_x2 v[14:15], v33, v[12:15], s[10:11] offset:24 glc
	s_waitcnt vmcnt(0)
	v_cmp_ne_u64_e32 vcc, v[14:15], v[8:9]
	s_and_b64 exec, exec, vcc
	s_cbranch_execz .LBB1_29
; %bb.110:                              ;   in Loop: Header=BB1_30 Depth=1
	s_mov_b64 s[4:5], 0
.LBB1_111:                              ;   Parent Loop BB1_30 Depth=1
                                        ; =>  This Inner Loop Header: Depth=2
	s_sleep 1
	global_store_dwordx2 v[2:3], v[14:15], off
	buffer_wbl2
	s_waitcnt vmcnt(0)
	global_atomic_cmpswap_x2 v[8:9], v33, v[12:15], s[10:11] offset:24 glc
	s_waitcnt vmcnt(0)
	v_cmp_eq_u64_e32 vcc, v[8:9], v[14:15]
	s_or_b64 s[4:5], vcc, s[4:5]
	v_pk_mov_b32 v[14:15], v[8:9], v[8:9] op_sel:[0,1]
	s_andn2_b64 exec, exec, s[4:5]
	s_cbranch_execnz .LBB1_111
	s_branch .LBB1_29
.LBB1_112:
                                        ; implicit-def: $vgpr0_vgpr1
	s_cbranch_execnz .LBB1_114
	s_branch .LBB1_140
.LBB1_113:
	s_or_b64 exec, exec, s[12:13]
	s_branch .LBB1_140
.LBB1_114:
	v_readfirstlane_b32 s4, v37
	v_cmp_eq_u32_e64 s[4:5], s4, v37
	v_pk_mov_b32 v[10:11], 0, 0
	s_and_saveexec_b64 s[6:7], s[4:5]
	s_cbranch_execz .LBB1_120
; %bb.115:
	s_waitcnt vmcnt(0)
	v_mov_b32_e32 v0, 0
	global_load_dwordx2 v[12:13], v0, s[10:11] offset:24 glc
	s_waitcnt vmcnt(0)
	buffer_invl2
	buffer_wbinvl1_vol
	global_load_dwordx2 v[2:3], v0, s[10:11] offset:40
	global_load_dwordx2 v[8:9], v0, s[10:11]
	s_waitcnt vmcnt(1)
	v_and_b32_e32 v1, v2, v12
	v_and_b32_e32 v2, v3, v13
	v_mul_lo_u32 v2, v2, 24
	v_mul_hi_u32 v3, v1, 24
	v_mul_lo_u32 v1, v1, 24
	v_add_u32_e32 v3, v3, v2
	s_waitcnt vmcnt(0)
	v_add_co_u32_e32 v2, vcc, v8, v1
	v_addc_co_u32_e32 v3, vcc, v9, v3, vcc
	global_load_dwordx2 v[10:11], v[2:3], off glc
	s_waitcnt vmcnt(0)
	global_atomic_cmpswap_x2 v[10:11], v0, v[10:13], s[10:11] offset:24 glc
	s_waitcnt vmcnt(0)
	buffer_invl2
	buffer_wbinvl1_vol
	v_cmp_ne_u64_e32 vcc, v[10:11], v[12:13]
	s_and_saveexec_b64 s[12:13], vcc
	s_cbranch_execz .LBB1_119
; %bb.116:
	s_mov_b64 s[14:15], 0
.LBB1_117:                              ; =>This Inner Loop Header: Depth=1
	s_sleep 1
	global_load_dwordx2 v[2:3], v0, s[10:11] offset:40
	global_load_dwordx2 v[8:9], v0, s[10:11]
	v_pk_mov_b32 v[12:13], v[10:11], v[10:11] op_sel:[0,1]
	s_waitcnt vmcnt(1)
	v_and_b32_e32 v2, v2, v12
	v_and_b32_e32 v1, v3, v13
	s_waitcnt vmcnt(0)
	v_mad_u64_u32 v[2:3], s[16:17], v2, 24, v[8:9]
	v_mov_b32_e32 v8, v3
	v_mad_u64_u32 v[8:9], s[16:17], v1, 24, v[8:9]
	v_mov_b32_e32 v3, v8
	global_load_dwordx2 v[10:11], v[2:3], off glc
	s_waitcnt vmcnt(0)
	global_atomic_cmpswap_x2 v[10:11], v0, v[10:13], s[10:11] offset:24 glc
	s_waitcnt vmcnt(0)
	buffer_invl2
	buffer_wbinvl1_vol
	v_cmp_eq_u64_e32 vcc, v[10:11], v[12:13]
	s_or_b64 s[14:15], vcc, s[14:15]
	s_andn2_b64 exec, exec, s[14:15]
	s_cbranch_execnz .LBB1_117
; %bb.118:
	s_or_b64 exec, exec, s[14:15]
.LBB1_119:
	s_or_b64 exec, exec, s[12:13]
.LBB1_120:
	s_or_b64 exec, exec, s[6:7]
	v_mov_b32_e32 v8, 0
	global_load_dwordx2 v[12:13], v8, s[10:11] offset:40
	global_load_dwordx4 v[0:3], v8, s[10:11]
	v_readfirstlane_b32 s6, v10
	v_readfirstlane_b32 s7, v11
	s_mov_b64 s[12:13], exec
	s_waitcnt vmcnt(1)
	v_readfirstlane_b32 s14, v12
	v_readfirstlane_b32 s15, v13
	s_and_b64 s[14:15], s[6:7], s[14:15]
	s_mul_i32 s16, s15, 24
	s_mul_hi_u32 s17, s14, 24
	s_mul_i32 s18, s14, 24
	s_add_i32 s16, s17, s16
	v_mov_b32_e32 v9, s16
	s_waitcnt vmcnt(0)
	v_add_co_u32_e32 v10, vcc, s18, v0
	v_addc_co_u32_e32 v11, vcc, v1, v9, vcc
	s_and_saveexec_b64 s[16:17], s[4:5]
	s_cbranch_execz .LBB1_122
; %bb.121:
	v_pk_mov_b32 v[12:13], s[12:13], s[12:13] op_sel:[0,1]
	v_mov_b32_e32 v14, 2
	v_mov_b32_e32 v15, 1
	global_store_dwordx4 v[10:11], v[12:15], off offset:8
.LBB1_122:
	s_or_b64 exec, exec, s[16:17]
	s_lshl_b64 s[12:13], s[14:15], 12
	v_mov_b32_e32 v9, s13
	v_add_co_u32_e32 v2, vcc, s12, v2
	s_movk_i32 s12, 0xff1f
	v_addc_co_u32_e32 v3, vcc, v3, v9, vcc
	v_and_or_b32 v6, v6, s12, 32
	s_mov_b32 s12, 0
	v_mov_b32_e32 v9, v8
	v_readfirstlane_b32 s16, v2
	v_readfirstlane_b32 s17, v3
	s_mov_b32 s13, s12
	v_add_co_u32_e32 v12, vcc, v2, v36
	s_mov_b32 s14, s12
	s_mov_b32 s15, s12
	s_nop 0
	global_store_dwordx4 v36, v[6:9], s[16:17]
	v_addc_co_u32_e32 v13, vcc, 0, v3, vcc
	v_pk_mov_b32 v[6:7], s[12:13], s[12:13] op_sel:[0,1]
	v_pk_mov_b32 v[8:9], s[14:15], s[14:15] op_sel:[0,1]
	global_store_dwordx4 v36, v[6:9], s[16:17] offset:16
	global_store_dwordx4 v36, v[6:9], s[16:17] offset:32
	;; [unrolled: 1-line block ×3, first 2 shown]
	s_and_saveexec_b64 s[12:13], s[4:5]
	s_cbranch_execz .LBB1_130
; %bb.123:
	v_mov_b32_e32 v8, 0
	global_load_dwordx2 v[16:17], v8, s[10:11] offset:32 glc
	global_load_dwordx2 v[2:3], v8, s[10:11] offset:40
	v_mov_b32_e32 v14, s6
	v_mov_b32_e32 v15, s7
	s_waitcnt vmcnt(0)
	v_readfirstlane_b32 s14, v2
	v_readfirstlane_b32 s15, v3
	s_and_b64 s[14:15], s[14:15], s[6:7]
	s_mul_i32 s15, s15, 24
	s_mul_hi_u32 s16, s14, 24
	s_mul_i32 s14, s14, 24
	s_add_i32 s15, s16, s15
	v_mov_b32_e32 v2, s15
	v_add_co_u32_e32 v6, vcc, s14, v0
	v_addc_co_u32_e32 v7, vcc, v1, v2, vcc
	global_store_dwordx2 v[6:7], v[16:17], off
	buffer_wbl2
	s_waitcnt vmcnt(0)
	global_atomic_cmpswap_x2 v[2:3], v8, v[14:17], s[10:11] offset:32 glc
	s_waitcnt vmcnt(0)
	v_cmp_ne_u64_e32 vcc, v[2:3], v[16:17]
	s_and_saveexec_b64 s[14:15], vcc
	s_cbranch_execz .LBB1_126
; %bb.124:
	s_mov_b64 s[16:17], 0
.LBB1_125:                              ; =>This Inner Loop Header: Depth=1
	s_sleep 1
	global_store_dwordx2 v[6:7], v[2:3], off
	v_mov_b32_e32 v0, s6
	v_mov_b32_e32 v1, s7
	buffer_wbl2
	s_waitcnt vmcnt(0)
	global_atomic_cmpswap_x2 v[0:1], v8, v[0:3], s[10:11] offset:32 glc
	s_waitcnt vmcnt(0)
	v_cmp_eq_u64_e32 vcc, v[0:1], v[2:3]
	s_or_b64 s[16:17], vcc, s[16:17]
	v_pk_mov_b32 v[2:3], v[0:1], v[0:1] op_sel:[0,1]
	s_andn2_b64 exec, exec, s[16:17]
	s_cbranch_execnz .LBB1_125
.LBB1_126:
	s_or_b64 exec, exec, s[14:15]
	v_mov_b32_e32 v3, 0
	global_load_dwordx2 v[0:1], v3, s[10:11] offset:16
	s_mov_b64 s[14:15], exec
	v_mbcnt_lo_u32_b32 v2, s14, 0
	v_mbcnt_hi_u32_b32 v2, s15, v2
	v_cmp_eq_u32_e32 vcc, 0, v2
	s_and_saveexec_b64 s[16:17], vcc
	s_cbranch_execz .LBB1_128
; %bb.127:
	s_bcnt1_i32_b64 s14, s[14:15]
	v_mov_b32_e32 v2, s14
	buffer_wbl2
	s_waitcnt vmcnt(0)
	global_atomic_add_x2 v[0:1], v[2:3], off offset:8
.LBB1_128:
	s_or_b64 exec, exec, s[16:17]
	s_waitcnt vmcnt(0)
	global_load_dwordx2 v[2:3], v[0:1], off offset:16
	s_waitcnt vmcnt(0)
	v_cmp_eq_u64_e32 vcc, 0, v[2:3]
	s_cbranch_vccnz .LBB1_130
; %bb.129:
	global_load_dword v0, v[0:1], off offset:24
	v_mov_b32_e32 v1, 0
	buffer_wbl2
	s_waitcnt vmcnt(0)
	global_store_dwordx2 v[2:3], v[0:1], off
	v_and_b32_e32 v0, 0xffffff, v0
	v_readfirstlane_b32 m0, v0
	s_sendmsg sendmsg(MSG_INTERRUPT)
.LBB1_130:
	s_or_b64 exec, exec, s[12:13]
	s_branch .LBB1_134
.LBB1_131:                              ;   in Loop: Header=BB1_134 Depth=1
	s_or_b64 exec, exec, s[12:13]
	v_readfirstlane_b32 s12, v0
	s_cmp_eq_u32 s12, 0
	s_cbranch_scc1 .LBB1_133
; %bb.132:                              ;   in Loop: Header=BB1_134 Depth=1
	s_sleep 1
	s_cbranch_execnz .LBB1_134
	s_branch .LBB1_136
.LBB1_133:
	s_branch .LBB1_136
.LBB1_134:                              ; =>This Inner Loop Header: Depth=1
	v_mov_b32_e32 v0, 1
	s_and_saveexec_b64 s[12:13], s[4:5]
	s_cbranch_execz .LBB1_131
; %bb.135:                              ;   in Loop: Header=BB1_134 Depth=1
	global_load_dword v0, v[10:11], off offset:20 glc
	s_waitcnt vmcnt(0)
	buffer_invl2
	buffer_wbinvl1_vol
	v_and_b32_e32 v0, 1, v0
	s_branch .LBB1_131
.LBB1_136:
	global_load_dwordx2 v[0:1], v[12:13], off
	s_and_saveexec_b64 s[12:13], s[4:5]
	s_cbranch_execz .LBB1_139
; %bb.137:
	v_mov_b32_e32 v10, 0
	global_load_dwordx2 v[2:3], v10, s[10:11] offset:40
	global_load_dwordx2 v[12:13], v10, s[10:11] offset:24 glc
	global_load_dwordx2 v[14:15], v10, s[10:11]
	v_mov_b32_e32 v7, s7
	s_mov_b64 s[4:5], 0
	s_waitcnt vmcnt(2)
	v_add_co_u32_e32 v9, vcc, 1, v2
	v_addc_co_u32_e32 v11, vcc, 0, v3, vcc
	v_add_co_u32_e32 v6, vcc, s6, v9
	v_addc_co_u32_e32 v7, vcc, v11, v7, vcc
	v_cmp_eq_u64_e32 vcc, 0, v[6:7]
	v_cndmask_b32_e32 v7, v7, v11, vcc
	v_cndmask_b32_e32 v6, v6, v9, vcc
	v_and_b32_e32 v3, v7, v3
	v_and_b32_e32 v2, v6, v2
	v_mul_lo_u32 v3, v3, 24
	v_mul_hi_u32 v9, v2, 24
	v_mul_lo_u32 v2, v2, 24
	v_add_u32_e32 v3, v9, v3
	s_waitcnt vmcnt(0)
	v_add_co_u32_e32 v2, vcc, v14, v2
	v_addc_co_u32_e32 v3, vcc, v15, v3, vcc
	v_mov_b32_e32 v8, v12
	global_store_dwordx2 v[2:3], v[12:13], off
	v_mov_b32_e32 v9, v13
	buffer_wbl2
	s_waitcnt vmcnt(0)
	global_atomic_cmpswap_x2 v[8:9], v10, v[6:9], s[10:11] offset:24 glc
	s_waitcnt vmcnt(0)
	v_cmp_ne_u64_e32 vcc, v[8:9], v[12:13]
	s_and_b64 exec, exec, vcc
	s_cbranch_execz .LBB1_139
.LBB1_138:                              ; =>This Inner Loop Header: Depth=1
	s_sleep 1
	global_store_dwordx2 v[2:3], v[8:9], off
	buffer_wbl2
	s_waitcnt vmcnt(0)
	global_atomic_cmpswap_x2 v[12:13], v10, v[6:9], s[10:11] offset:24 glc
	s_waitcnt vmcnt(0)
	v_cmp_eq_u64_e32 vcc, v[12:13], v[8:9]
	s_or_b64 s[4:5], vcc, s[4:5]
	v_pk_mov_b32 v[8:9], v[12:13], v[12:13] op_sel:[0,1]
	s_andn2_b64 exec, exec, s[4:5]
	s_cbranch_execnz .LBB1_138
.LBB1_139:
	s_or_b64 exec, exec, s[12:13]
.LBB1_140:
	s_getpc_b64 s[6:7]
	s_add_u32 s6, s6, .str.2@rel32@lo+4
	s_addc_u32 s7, s7, .str.2@rel32@hi+12
	s_cmp_lg_u64 s[6:7], 0
	s_cbranch_scc0 .LBB1_224
; %bb.141:
	s_getpc_b64 s[4:5]
	s_add_u32 s4, s4, .str.2@rel32@lo+80
	s_addc_u32 s5, s5, .str.2@rel32@hi+88
	s_sub_i32 s12, s4, s6
	s_ashr_i32 s13, s12, 31
	s_waitcnt vmcnt(0)
	v_and_b32_e32 v2, 2, v0
	v_mov_b32_e32 v33, 0
	v_and_b32_e32 v6, -3, v0
	v_mov_b32_e32 v7, v1
	v_mov_b32_e32 v10, 2
	;; [unrolled: 1-line block ×3, first 2 shown]
	s_branch .LBB1_143
.LBB1_142:                              ;   in Loop: Header=BB1_143 Depth=1
	s_or_b64 exec, exec, s[18:19]
	s_sub_u32 s12, s12, s14
	s_subb_u32 s13, s13, s15
	s_add_u32 s6, s6, s14
	s_addc_u32 s7, s7, s15
	s_cmp_lg_u64 s[12:13], 0
	s_cbranch_scc0 .LBB1_225
.LBB1_143:                              ; =>This Loop Header: Depth=1
                                        ;     Child Loop BB1_146 Depth 2
                                        ;     Child Loop BB1_153 Depth 2
	;; [unrolled: 1-line block ×11, first 2 shown]
	v_cmp_lt_u64_e64 s[4:5], s[12:13], 56
	s_and_b64 s[4:5], s[4:5], exec
	v_cmp_gt_u64_e64 s[4:5], s[12:13], 7
	s_cselect_b32 s15, s13, 0
	s_cselect_b32 s14, s12, 56
	s_and_b64 vcc, exec, s[4:5]
	s_cbranch_vccnz .LBB1_148
; %bb.144:                              ;   in Loop: Header=BB1_143 Depth=1
	s_mov_b64 s[4:5], 0
	s_cmp_eq_u64 s[12:13], 0
	v_pk_mov_b32 v[14:15], 0, 0
	s_cbranch_scc1 .LBB1_147
; %bb.145:                              ;   in Loop: Header=BB1_143 Depth=1
	s_lshl_b64 s[16:17], s[14:15], 3
	s_mov_b64 s[18:19], 0
	v_pk_mov_b32 v[14:15], 0, 0
	s_mov_b64 s[20:21], s[6:7]
.LBB1_146:                              ;   Parent Loop BB1_143 Depth=1
                                        ; =>  This Inner Loop Header: Depth=2
	global_load_ubyte v3, v33, s[20:21]
	s_waitcnt vmcnt(0)
	v_and_b32_e32 v32, 0xffff, v3
	v_lshlrev_b64 v[8:9], s18, v[32:33]
	s_add_u32 s18, s18, 8
	s_addc_u32 s19, s19, 0
	s_add_u32 s20, s20, 1
	s_addc_u32 s21, s21, 0
	v_or_b32_e32 v14, v8, v14
	s_cmp_lg_u32 s16, s18
	v_or_b32_e32 v15, v9, v15
	s_cbranch_scc1 .LBB1_146
.LBB1_147:                              ;   in Loop: Header=BB1_143 Depth=1
	s_mov_b32 s20, 0
	s_andn2_b64 vcc, exec, s[4:5]
	s_mov_b64 s[4:5], s[6:7]
	s_cbranch_vccz .LBB1_149
	s_branch .LBB1_150
.LBB1_148:                              ;   in Loop: Header=BB1_143 Depth=1
                                        ; implicit-def: $vgpr14_vgpr15
                                        ; implicit-def: $sgpr20
	s_mov_b64 s[4:5], s[6:7]
.LBB1_149:                              ;   in Loop: Header=BB1_143 Depth=1
	global_load_dwordx2 v[14:15], v33, s[6:7]
	s_add_i32 s20, s14, -8
	s_add_u32 s4, s6, 8
	s_addc_u32 s5, s7, 0
.LBB1_150:                              ;   in Loop: Header=BB1_143 Depth=1
	s_cmp_gt_u32 s20, 7
	s_cbranch_scc1 .LBB1_154
; %bb.151:                              ;   in Loop: Header=BB1_143 Depth=1
	s_cmp_eq_u32 s20, 0
	s_cbranch_scc1 .LBB1_155
; %bb.152:                              ;   in Loop: Header=BB1_143 Depth=1
	s_mov_b64 s[16:17], 0
	v_pk_mov_b32 v[16:17], 0, 0
	s_mov_b64 s[18:19], 0
.LBB1_153:                              ;   Parent Loop BB1_143 Depth=1
                                        ; =>  This Inner Loop Header: Depth=2
	s_add_u32 s22, s4, s18
	s_addc_u32 s23, s5, s19
	global_load_ubyte v3, v33, s[22:23]
	s_add_u32 s18, s18, 1
	s_addc_u32 s19, s19, 0
	s_waitcnt vmcnt(0)
	v_and_b32_e32 v32, 0xffff, v3
	v_lshlrev_b64 v[8:9], s16, v[32:33]
	s_add_u32 s16, s16, 8
	s_addc_u32 s17, s17, 0
	v_or_b32_e32 v16, v8, v16
	s_cmp_lg_u32 s20, s18
	v_or_b32_e32 v17, v9, v17
	s_cbranch_scc1 .LBB1_153
	s_branch .LBB1_156
.LBB1_154:                              ;   in Loop: Header=BB1_143 Depth=1
                                        ; implicit-def: $vgpr16_vgpr17
                                        ; implicit-def: $sgpr21
	s_branch .LBB1_157
.LBB1_155:                              ;   in Loop: Header=BB1_143 Depth=1
	v_pk_mov_b32 v[16:17], 0, 0
.LBB1_156:                              ;   in Loop: Header=BB1_143 Depth=1
	s_mov_b32 s21, 0
	s_cbranch_execnz .LBB1_158
.LBB1_157:                              ;   in Loop: Header=BB1_143 Depth=1
	global_load_dwordx2 v[16:17], v33, s[4:5]
	s_add_i32 s21, s20, -8
	s_add_u32 s4, s4, 8
	s_addc_u32 s5, s5, 0
.LBB1_158:                              ;   in Loop: Header=BB1_143 Depth=1
	s_cmp_gt_u32 s21, 7
	s_cbranch_scc1 .LBB1_162
; %bb.159:                              ;   in Loop: Header=BB1_143 Depth=1
	s_cmp_eq_u32 s21, 0
	s_cbranch_scc1 .LBB1_163
; %bb.160:                              ;   in Loop: Header=BB1_143 Depth=1
	s_mov_b64 s[16:17], 0
	v_pk_mov_b32 v[18:19], 0, 0
	s_mov_b64 s[18:19], 0
.LBB1_161:                              ;   Parent Loop BB1_143 Depth=1
                                        ; =>  This Inner Loop Header: Depth=2
	s_add_u32 s22, s4, s18
	s_addc_u32 s23, s5, s19
	global_load_ubyte v3, v33, s[22:23]
	s_add_u32 s18, s18, 1
	s_addc_u32 s19, s19, 0
	s_waitcnt vmcnt(0)
	v_and_b32_e32 v32, 0xffff, v3
	v_lshlrev_b64 v[8:9], s16, v[32:33]
	s_add_u32 s16, s16, 8
	s_addc_u32 s17, s17, 0
	v_or_b32_e32 v18, v8, v18
	s_cmp_lg_u32 s21, s18
	v_or_b32_e32 v19, v9, v19
	s_cbranch_scc1 .LBB1_161
	s_branch .LBB1_164
.LBB1_162:                              ;   in Loop: Header=BB1_143 Depth=1
                                        ; implicit-def: $sgpr20
	s_branch .LBB1_165
.LBB1_163:                              ;   in Loop: Header=BB1_143 Depth=1
	v_pk_mov_b32 v[18:19], 0, 0
.LBB1_164:                              ;   in Loop: Header=BB1_143 Depth=1
	s_mov_b32 s20, 0
	s_cbranch_execnz .LBB1_166
.LBB1_165:                              ;   in Loop: Header=BB1_143 Depth=1
	global_load_dwordx2 v[18:19], v33, s[4:5]
	s_add_i32 s20, s21, -8
	s_add_u32 s4, s4, 8
	s_addc_u32 s5, s5, 0
.LBB1_166:                              ;   in Loop: Header=BB1_143 Depth=1
	s_cmp_gt_u32 s20, 7
	s_cbranch_scc1 .LBB1_170
; %bb.167:                              ;   in Loop: Header=BB1_143 Depth=1
	s_cmp_eq_u32 s20, 0
	s_cbranch_scc1 .LBB1_171
; %bb.168:                              ;   in Loop: Header=BB1_143 Depth=1
	s_mov_b64 s[16:17], 0
	v_pk_mov_b32 v[20:21], 0, 0
	s_mov_b64 s[18:19], 0
.LBB1_169:                              ;   Parent Loop BB1_143 Depth=1
                                        ; =>  This Inner Loop Header: Depth=2
	s_add_u32 s22, s4, s18
	s_addc_u32 s23, s5, s19
	global_load_ubyte v3, v33, s[22:23]
	s_add_u32 s18, s18, 1
	s_addc_u32 s19, s19, 0
	s_waitcnt vmcnt(0)
	v_and_b32_e32 v32, 0xffff, v3
	v_lshlrev_b64 v[8:9], s16, v[32:33]
	s_add_u32 s16, s16, 8
	s_addc_u32 s17, s17, 0
	v_or_b32_e32 v20, v8, v20
	s_cmp_lg_u32 s20, s18
	v_or_b32_e32 v21, v9, v21
	s_cbranch_scc1 .LBB1_169
	s_branch .LBB1_172
.LBB1_170:                              ;   in Loop: Header=BB1_143 Depth=1
                                        ; implicit-def: $vgpr20_vgpr21
                                        ; implicit-def: $sgpr21
	s_branch .LBB1_173
.LBB1_171:                              ;   in Loop: Header=BB1_143 Depth=1
	v_pk_mov_b32 v[20:21], 0, 0
.LBB1_172:                              ;   in Loop: Header=BB1_143 Depth=1
	s_mov_b32 s21, 0
	s_cbranch_execnz .LBB1_174
.LBB1_173:                              ;   in Loop: Header=BB1_143 Depth=1
	global_load_dwordx2 v[20:21], v33, s[4:5]
	s_add_i32 s21, s20, -8
	s_add_u32 s4, s4, 8
	s_addc_u32 s5, s5, 0
.LBB1_174:                              ;   in Loop: Header=BB1_143 Depth=1
	s_cmp_gt_u32 s21, 7
	s_cbranch_scc1 .LBB1_178
; %bb.175:                              ;   in Loop: Header=BB1_143 Depth=1
	s_cmp_eq_u32 s21, 0
	s_cbranch_scc1 .LBB1_179
; %bb.176:                              ;   in Loop: Header=BB1_143 Depth=1
	s_mov_b64 s[16:17], 0
	v_pk_mov_b32 v[22:23], 0, 0
	s_mov_b64 s[18:19], 0
.LBB1_177:                              ;   Parent Loop BB1_143 Depth=1
                                        ; =>  This Inner Loop Header: Depth=2
	s_add_u32 s22, s4, s18
	s_addc_u32 s23, s5, s19
	global_load_ubyte v3, v33, s[22:23]
	s_add_u32 s18, s18, 1
	s_addc_u32 s19, s19, 0
	s_waitcnt vmcnt(0)
	v_and_b32_e32 v32, 0xffff, v3
	v_lshlrev_b64 v[8:9], s16, v[32:33]
	s_add_u32 s16, s16, 8
	s_addc_u32 s17, s17, 0
	v_or_b32_e32 v22, v8, v22
	s_cmp_lg_u32 s21, s18
	v_or_b32_e32 v23, v9, v23
	s_cbranch_scc1 .LBB1_177
	s_branch .LBB1_180
.LBB1_178:                              ;   in Loop: Header=BB1_143 Depth=1
                                        ; implicit-def: $sgpr20
	s_branch .LBB1_181
.LBB1_179:                              ;   in Loop: Header=BB1_143 Depth=1
	v_pk_mov_b32 v[22:23], 0, 0
.LBB1_180:                              ;   in Loop: Header=BB1_143 Depth=1
	s_mov_b32 s20, 0
	s_cbranch_execnz .LBB1_182
.LBB1_181:                              ;   in Loop: Header=BB1_143 Depth=1
	global_load_dwordx2 v[22:23], v33, s[4:5]
	s_add_i32 s20, s21, -8
	s_add_u32 s4, s4, 8
	s_addc_u32 s5, s5, 0
.LBB1_182:                              ;   in Loop: Header=BB1_143 Depth=1
	s_cmp_gt_u32 s20, 7
	s_cbranch_scc1 .LBB1_186
; %bb.183:                              ;   in Loop: Header=BB1_143 Depth=1
	s_cmp_eq_u32 s20, 0
	s_cbranch_scc1 .LBB1_187
; %bb.184:                              ;   in Loop: Header=BB1_143 Depth=1
	s_mov_b64 s[16:17], 0
	v_pk_mov_b32 v[24:25], 0, 0
	s_mov_b64 s[18:19], 0
.LBB1_185:                              ;   Parent Loop BB1_143 Depth=1
                                        ; =>  This Inner Loop Header: Depth=2
	s_add_u32 s22, s4, s18
	s_addc_u32 s23, s5, s19
	global_load_ubyte v3, v33, s[22:23]
	s_add_u32 s18, s18, 1
	s_addc_u32 s19, s19, 0
	s_waitcnt vmcnt(0)
	v_and_b32_e32 v32, 0xffff, v3
	v_lshlrev_b64 v[8:9], s16, v[32:33]
	s_add_u32 s16, s16, 8
	s_addc_u32 s17, s17, 0
	v_or_b32_e32 v24, v8, v24
	s_cmp_lg_u32 s20, s18
	v_or_b32_e32 v25, v9, v25
	s_cbranch_scc1 .LBB1_185
	s_branch .LBB1_188
.LBB1_186:                              ;   in Loop: Header=BB1_143 Depth=1
                                        ; implicit-def: $vgpr24_vgpr25
                                        ; implicit-def: $sgpr21
	s_branch .LBB1_189
.LBB1_187:                              ;   in Loop: Header=BB1_143 Depth=1
	v_pk_mov_b32 v[24:25], 0, 0
.LBB1_188:                              ;   in Loop: Header=BB1_143 Depth=1
	s_mov_b32 s21, 0
	s_cbranch_execnz .LBB1_190
.LBB1_189:                              ;   in Loop: Header=BB1_143 Depth=1
	global_load_dwordx2 v[24:25], v33, s[4:5]
	s_add_i32 s21, s20, -8
	s_add_u32 s4, s4, 8
	s_addc_u32 s5, s5, 0
.LBB1_190:                              ;   in Loop: Header=BB1_143 Depth=1
	s_cmp_gt_u32 s21, 7
	s_cbranch_scc1 .LBB1_194
; %bb.191:                              ;   in Loop: Header=BB1_143 Depth=1
	s_cmp_eq_u32 s21, 0
	s_cbranch_scc1 .LBB1_195
; %bb.192:                              ;   in Loop: Header=BB1_143 Depth=1
	s_mov_b64 s[16:17], 0
	v_pk_mov_b32 v[26:27], 0, 0
	s_mov_b64 s[18:19], s[4:5]
.LBB1_193:                              ;   Parent Loop BB1_143 Depth=1
                                        ; =>  This Inner Loop Header: Depth=2
	global_load_ubyte v3, v33, s[18:19]
	s_add_i32 s21, s21, -1
	s_waitcnt vmcnt(0)
	v_and_b32_e32 v32, 0xffff, v3
	v_lshlrev_b64 v[8:9], s16, v[32:33]
	s_add_u32 s16, s16, 8
	s_addc_u32 s17, s17, 0
	s_add_u32 s18, s18, 1
	s_addc_u32 s19, s19, 0
	v_or_b32_e32 v26, v8, v26
	s_cmp_lg_u32 s21, 0
	v_or_b32_e32 v27, v9, v27
	s_cbranch_scc1 .LBB1_193
	s_branch .LBB1_196
.LBB1_194:                              ;   in Loop: Header=BB1_143 Depth=1
	s_branch .LBB1_197
.LBB1_195:                              ;   in Loop: Header=BB1_143 Depth=1
	v_pk_mov_b32 v[26:27], 0, 0
.LBB1_196:                              ;   in Loop: Header=BB1_143 Depth=1
	s_cbranch_execnz .LBB1_198
.LBB1_197:                              ;   in Loop: Header=BB1_143 Depth=1
	global_load_dwordx2 v[26:27], v33, s[4:5]
.LBB1_198:                              ;   in Loop: Header=BB1_143 Depth=1
	v_readfirstlane_b32 s4, v37
	v_cmp_eq_u32_e64 s[4:5], s4, v37
	s_waitcnt vmcnt(0)
	v_pk_mov_b32 v[8:9], 0, 0
	s_and_saveexec_b64 s[16:17], s[4:5]
	s_cbranch_execz .LBB1_204
; %bb.199:                              ;   in Loop: Header=BB1_143 Depth=1
	global_load_dwordx2 v[30:31], v33, s[10:11] offset:24 glc
	s_waitcnt vmcnt(0)
	buffer_invl2
	buffer_wbinvl1_vol
	global_load_dwordx2 v[8:9], v33, s[10:11] offset:40
	global_load_dwordx2 v[12:13], v33, s[10:11]
	s_waitcnt vmcnt(1)
	v_and_b32_e32 v3, v8, v30
	v_and_b32_e32 v8, v9, v31
	v_mul_lo_u32 v8, v8, 24
	v_mul_hi_u32 v9, v3, 24
	v_mul_lo_u32 v3, v3, 24
	v_add_u32_e32 v9, v9, v8
	s_waitcnt vmcnt(0)
	v_add_co_u32_e32 v8, vcc, v12, v3
	v_addc_co_u32_e32 v9, vcc, v13, v9, vcc
	global_load_dwordx2 v[28:29], v[8:9], off glc
	s_waitcnt vmcnt(0)
	global_atomic_cmpswap_x2 v[8:9], v33, v[28:31], s[10:11] offset:24 glc
	s_waitcnt vmcnt(0)
	buffer_invl2
	buffer_wbinvl1_vol
	v_cmp_ne_u64_e32 vcc, v[8:9], v[30:31]
	s_and_saveexec_b64 s[18:19], vcc
	s_cbranch_execz .LBB1_203
; %bb.200:                              ;   in Loop: Header=BB1_143 Depth=1
	s_mov_b64 s[20:21], 0
.LBB1_201:                              ;   Parent Loop BB1_143 Depth=1
                                        ; =>  This Inner Loop Header: Depth=2
	s_sleep 1
	global_load_dwordx2 v[12:13], v33, s[10:11] offset:40
	global_load_dwordx2 v[28:29], v33, s[10:11]
	v_pk_mov_b32 v[30:31], v[8:9], v[8:9] op_sel:[0,1]
	s_waitcnt vmcnt(1)
	v_and_b32_e32 v8, v12, v30
	s_waitcnt vmcnt(0)
	v_mad_u64_u32 v[8:9], s[22:23], v8, 24, v[28:29]
	v_and_b32_e32 v3, v13, v31
	v_mov_b32_e32 v12, v9
	v_mad_u64_u32 v[12:13], s[22:23], v3, 24, v[12:13]
	v_mov_b32_e32 v9, v12
	global_load_dwordx2 v[28:29], v[8:9], off glc
	s_waitcnt vmcnt(0)
	global_atomic_cmpswap_x2 v[8:9], v33, v[28:31], s[10:11] offset:24 glc
	s_waitcnt vmcnt(0)
	buffer_invl2
	buffer_wbinvl1_vol
	v_cmp_eq_u64_e32 vcc, v[8:9], v[30:31]
	s_or_b64 s[20:21], vcc, s[20:21]
	s_andn2_b64 exec, exec, s[20:21]
	s_cbranch_execnz .LBB1_201
; %bb.202:                              ;   in Loop: Header=BB1_143 Depth=1
	s_or_b64 exec, exec, s[20:21]
.LBB1_203:                              ;   in Loop: Header=BB1_143 Depth=1
	s_or_b64 exec, exec, s[18:19]
.LBB1_204:                              ;   in Loop: Header=BB1_143 Depth=1
	s_or_b64 exec, exec, s[16:17]
	global_load_dwordx2 v[12:13], v33, s[10:11] offset:40
	global_load_dwordx4 v[28:31], v33, s[10:11]
	v_readfirstlane_b32 s16, v8
	v_readfirstlane_b32 s17, v9
	s_mov_b64 s[18:19], exec
	s_waitcnt vmcnt(1)
	v_readfirstlane_b32 s20, v12
	v_readfirstlane_b32 s21, v13
	s_and_b64 s[20:21], s[16:17], s[20:21]
	s_mul_i32 s22, s21, 24
	s_mul_hi_u32 s23, s20, 24
	s_mul_i32 s24, s20, 24
	s_add_i32 s22, s23, s22
	v_mov_b32_e32 v3, s22
	s_waitcnt vmcnt(0)
	v_add_co_u32_e32 v34, vcc, s24, v28
	v_addc_co_u32_e32 v35, vcc, v29, v3, vcc
	s_and_saveexec_b64 s[22:23], s[4:5]
	s_cbranch_execz .LBB1_206
; %bb.205:                              ;   in Loop: Header=BB1_143 Depth=1
	v_pk_mov_b32 v[8:9], s[18:19], s[18:19] op_sel:[0,1]
	global_store_dwordx4 v[34:35], v[8:11], off offset:8
.LBB1_206:                              ;   in Loop: Header=BB1_143 Depth=1
	s_or_b64 exec, exec, s[22:23]
	s_lshl_b64 s[18:19], s[20:21], 12
	v_mov_b32_e32 v3, s19
	v_add_co_u32_e32 v30, vcc, s18, v30
	v_addc_co_u32_e32 v3, vcc, v31, v3, vcc
	v_or_b32_e32 v9, v6, v2
	v_cmp_gt_u64_e64 vcc, s[12:13], 56
	s_lshl_b32 s18, s14, 2
	v_cndmask_b32_e32 v6, v9, v6, vcc
	s_add_i32 s18, s18, 28
	v_or_b32_e32 v8, 0, v7
	s_and_b32 s18, s18, 0x1e0
	v_and_b32_e32 v6, 0xffffff1f, v6
	v_cndmask_b32_e32 v13, v8, v7, vcc
	v_or_b32_e32 v12, s18, v6
	v_readfirstlane_b32 s18, v30
	v_readfirstlane_b32 s19, v3
	s_nop 4
	global_store_dwordx4 v36, v[12:15], s[18:19]
	global_store_dwordx4 v36, v[16:19], s[18:19] offset:16
	global_store_dwordx4 v36, v[20:23], s[18:19] offset:32
	global_store_dwordx4 v36, v[24:27], s[18:19] offset:48
	s_and_saveexec_b64 s[18:19], s[4:5]
	s_cbranch_execz .LBB1_214
; %bb.207:                              ;   in Loop: Header=BB1_143 Depth=1
	global_load_dwordx2 v[16:17], v33, s[10:11] offset:32 glc
	global_load_dwordx2 v[6:7], v33, s[10:11] offset:40
	v_mov_b32_e32 v14, s16
	v_mov_b32_e32 v15, s17
	s_waitcnt vmcnt(0)
	v_readfirstlane_b32 s20, v6
	v_readfirstlane_b32 s21, v7
	s_and_b64 s[20:21], s[20:21], s[16:17]
	s_mul_i32 s21, s21, 24
	s_mul_hi_u32 s22, s20, 24
	s_mul_i32 s20, s20, 24
	s_add_i32 s21, s22, s21
	v_mov_b32_e32 v6, s21
	v_add_co_u32_e32 v12, vcc, s20, v28
	v_addc_co_u32_e32 v13, vcc, v29, v6, vcc
	global_store_dwordx2 v[12:13], v[16:17], off
	buffer_wbl2
	s_waitcnt vmcnt(0)
	global_atomic_cmpswap_x2 v[8:9], v33, v[14:17], s[10:11] offset:32 glc
	s_waitcnt vmcnt(0)
	v_cmp_ne_u64_e32 vcc, v[8:9], v[16:17]
	s_and_saveexec_b64 s[20:21], vcc
	s_cbranch_execz .LBB1_210
; %bb.208:                              ;   in Loop: Header=BB1_143 Depth=1
	s_mov_b64 s[22:23], 0
.LBB1_209:                              ;   Parent Loop BB1_143 Depth=1
                                        ; =>  This Inner Loop Header: Depth=2
	s_sleep 1
	global_store_dwordx2 v[12:13], v[8:9], off
	v_mov_b32_e32 v6, s16
	v_mov_b32_e32 v7, s17
	buffer_wbl2
	s_waitcnt vmcnt(0)
	global_atomic_cmpswap_x2 v[6:7], v33, v[6:9], s[10:11] offset:32 glc
	s_waitcnt vmcnt(0)
	v_cmp_eq_u64_e32 vcc, v[6:7], v[8:9]
	s_or_b64 s[22:23], vcc, s[22:23]
	v_pk_mov_b32 v[8:9], v[6:7], v[6:7] op_sel:[0,1]
	s_andn2_b64 exec, exec, s[22:23]
	s_cbranch_execnz .LBB1_209
.LBB1_210:                              ;   in Loop: Header=BB1_143 Depth=1
	s_or_b64 exec, exec, s[20:21]
	global_load_dwordx2 v[6:7], v33, s[10:11] offset:16
	s_mov_b64 s[22:23], exec
	v_mbcnt_lo_u32_b32 v8, s22, 0
	v_mbcnt_hi_u32_b32 v8, s23, v8
	v_cmp_eq_u32_e32 vcc, 0, v8
	s_and_saveexec_b64 s[20:21], vcc
	s_cbranch_execz .LBB1_212
; %bb.211:                              ;   in Loop: Header=BB1_143 Depth=1
	s_bcnt1_i32_b64 s22, s[22:23]
	v_mov_b32_e32 v32, s22
	buffer_wbl2
	s_waitcnt vmcnt(0)
	global_atomic_add_x2 v[6:7], v[32:33], off offset:8
.LBB1_212:                              ;   in Loop: Header=BB1_143 Depth=1
	s_or_b64 exec, exec, s[20:21]
	s_waitcnt vmcnt(0)
	global_load_dwordx2 v[8:9], v[6:7], off offset:16
	s_waitcnt vmcnt(0)
	v_cmp_eq_u64_e32 vcc, 0, v[8:9]
	s_cbranch_vccnz .LBB1_214
; %bb.213:                              ;   in Loop: Header=BB1_143 Depth=1
	global_load_dword v32, v[6:7], off offset:24
	s_waitcnt vmcnt(0)
	v_and_b32_e32 v6, 0xffffff, v32
	v_readfirstlane_b32 m0, v6
	buffer_wbl2
	global_store_dwordx2 v[8:9], v[32:33], off
	s_sendmsg sendmsg(MSG_INTERRUPT)
.LBB1_214:                              ;   in Loop: Header=BB1_143 Depth=1
	s_or_b64 exec, exec, s[18:19]
	v_add_co_u32_e32 v6, vcc, v30, v36
	v_addc_co_u32_e32 v7, vcc, 0, v3, vcc
	s_branch .LBB1_218
.LBB1_215:                              ;   in Loop: Header=BB1_218 Depth=2
	s_or_b64 exec, exec, s[18:19]
	v_readfirstlane_b32 s18, v3
	s_cmp_eq_u32 s18, 0
	s_cbranch_scc1 .LBB1_217
; %bb.216:                              ;   in Loop: Header=BB1_218 Depth=2
	s_sleep 1
	s_cbranch_execnz .LBB1_218
	s_branch .LBB1_220
.LBB1_217:                              ;   in Loop: Header=BB1_143 Depth=1
	s_branch .LBB1_220
.LBB1_218:                              ;   Parent Loop BB1_143 Depth=1
                                        ; =>  This Inner Loop Header: Depth=2
	v_mov_b32_e32 v3, 1
	s_and_saveexec_b64 s[18:19], s[4:5]
	s_cbranch_execz .LBB1_215
; %bb.219:                              ;   in Loop: Header=BB1_218 Depth=2
	global_load_dword v3, v[34:35], off offset:20 glc
	s_waitcnt vmcnt(0)
	buffer_invl2
	buffer_wbinvl1_vol
	v_and_b32_e32 v3, 1, v3
	s_branch .LBB1_215
.LBB1_220:                              ;   in Loop: Header=BB1_143 Depth=1
	global_load_dwordx4 v[6:9], v[6:7], off
	s_and_saveexec_b64 s[18:19], s[4:5]
	s_cbranch_execz .LBB1_142
; %bb.221:                              ;   in Loop: Header=BB1_143 Depth=1
	global_load_dwordx2 v[8:9], v33, s[10:11] offset:40
	global_load_dwordx2 v[16:17], v33, s[10:11] offset:24 glc
	global_load_dwordx2 v[18:19], v33, s[10:11]
	v_mov_b32_e32 v3, s17
	s_waitcnt vmcnt(2)
	v_add_co_u32_e32 v15, vcc, 1, v8
	v_addc_co_u32_e32 v20, vcc, 0, v9, vcc
	v_add_co_u32_e32 v12, vcc, s16, v15
	v_addc_co_u32_e32 v13, vcc, v20, v3, vcc
	v_cmp_eq_u64_e32 vcc, 0, v[12:13]
	v_cndmask_b32_e32 v13, v13, v20, vcc
	v_cndmask_b32_e32 v12, v12, v15, vcc
	v_and_b32_e32 v3, v13, v9
	v_and_b32_e32 v8, v12, v8
	v_mul_lo_u32 v3, v3, 24
	v_mul_hi_u32 v9, v8, 24
	v_mul_lo_u32 v8, v8, 24
	v_add_u32_e32 v3, v9, v3
	s_waitcnt vmcnt(0)
	v_add_co_u32_e32 v8, vcc, v18, v8
	v_addc_co_u32_e32 v9, vcc, v19, v3, vcc
	v_mov_b32_e32 v14, v16
	global_store_dwordx2 v[8:9], v[16:17], off
	v_mov_b32_e32 v15, v17
	buffer_wbl2
	s_waitcnt vmcnt(0)
	global_atomic_cmpswap_x2 v[14:15], v33, v[12:15], s[10:11] offset:24 glc
	s_waitcnt vmcnt(0)
	v_cmp_ne_u64_e32 vcc, v[14:15], v[16:17]
	s_and_b64 exec, exec, vcc
	s_cbranch_execz .LBB1_142
; %bb.222:                              ;   in Loop: Header=BB1_143 Depth=1
	s_mov_b64 s[4:5], 0
.LBB1_223:                              ;   Parent Loop BB1_143 Depth=1
                                        ; =>  This Inner Loop Header: Depth=2
	s_sleep 1
	global_store_dwordx2 v[8:9], v[14:15], off
	buffer_wbl2
	s_waitcnt vmcnt(0)
	global_atomic_cmpswap_x2 v[16:17], v33, v[12:15], s[10:11] offset:24 glc
	s_waitcnt vmcnt(0)
	v_cmp_eq_u64_e32 vcc, v[16:17], v[14:15]
	s_or_b64 s[4:5], vcc, s[4:5]
	v_pk_mov_b32 v[14:15], v[16:17], v[16:17] op_sel:[0,1]
	s_andn2_b64 exec, exec, s[4:5]
	s_cbranch_execnz .LBB1_223
	s_branch .LBB1_142
.LBB1_224:
                                        ; implicit-def: $vgpr6_vgpr7
	s_cbranch_execnz .LBB1_226
	s_branch .LBB1_252
.LBB1_225:
	s_branch .LBB1_252
.LBB1_226:
	v_readfirstlane_b32 s4, v37
	v_cmp_eq_u32_e64 s[4:5], s4, v37
	v_pk_mov_b32 v[10:11], 0, 0
	s_and_saveexec_b64 s[6:7], s[4:5]
	s_cbranch_execz .LBB1_232
; %bb.227:
	s_waitcnt vmcnt(0)
	v_mov_b32_e32 v2, 0
	global_load_dwordx2 v[8:9], v2, s[10:11] offset:24 glc
	s_waitcnt vmcnt(0)
	buffer_invl2
	buffer_wbinvl1_vol
	global_load_dwordx2 v[6:7], v2, s[10:11] offset:40
	global_load_dwordx2 v[10:11], v2, s[10:11]
	s_waitcnt vmcnt(1)
	v_and_b32_e32 v3, v6, v8
	v_and_b32_e32 v6, v7, v9
	v_mul_lo_u32 v6, v6, 24
	v_mul_hi_u32 v7, v3, 24
	v_mul_lo_u32 v3, v3, 24
	v_add_u32_e32 v7, v7, v6
	s_waitcnt vmcnt(0)
	v_add_co_u32_e32 v6, vcc, v10, v3
	v_addc_co_u32_e32 v7, vcc, v11, v7, vcc
	global_load_dwordx2 v[6:7], v[6:7], off glc
	s_waitcnt vmcnt(0)
	global_atomic_cmpswap_x2 v[10:11], v2, v[6:9], s[10:11] offset:24 glc
	s_waitcnt vmcnt(0)
	buffer_invl2
	buffer_wbinvl1_vol
	v_cmp_ne_u64_e32 vcc, v[10:11], v[8:9]
	s_and_saveexec_b64 s[12:13], vcc
	s_cbranch_execz .LBB1_231
; %bb.228:
	s_mov_b64 s[14:15], 0
.LBB1_229:                              ; =>This Inner Loop Header: Depth=1
	s_sleep 1
	global_load_dwordx2 v[6:7], v2, s[10:11] offset:40
	global_load_dwordx2 v[12:13], v2, s[10:11]
	v_pk_mov_b32 v[8:9], v[10:11], v[10:11] op_sel:[0,1]
	s_waitcnt vmcnt(1)
	v_and_b32_e32 v6, v6, v8
	v_and_b32_e32 v3, v7, v9
	s_waitcnt vmcnt(0)
	v_mad_u64_u32 v[6:7], s[16:17], v6, 24, v[12:13]
	v_mov_b32_e32 v10, v7
	v_mad_u64_u32 v[10:11], s[16:17], v3, 24, v[10:11]
	v_mov_b32_e32 v7, v10
	global_load_dwordx2 v[6:7], v[6:7], off glc
	s_waitcnt vmcnt(0)
	global_atomic_cmpswap_x2 v[10:11], v2, v[6:9], s[10:11] offset:24 glc
	s_waitcnt vmcnt(0)
	buffer_invl2
	buffer_wbinvl1_vol
	v_cmp_eq_u64_e32 vcc, v[10:11], v[8:9]
	s_or_b64 s[14:15], vcc, s[14:15]
	s_andn2_b64 exec, exec, s[14:15]
	s_cbranch_execnz .LBB1_229
; %bb.230:
	s_or_b64 exec, exec, s[14:15]
.LBB1_231:
	s_or_b64 exec, exec, s[12:13]
.LBB1_232:
	s_or_b64 exec, exec, s[6:7]
	s_waitcnt vmcnt(0)
	v_mov_b32_e32 v2, 0
	global_load_dwordx2 v[12:13], v2, s[10:11] offset:40
	global_load_dwordx4 v[6:9], v2, s[10:11]
	v_readfirstlane_b32 s6, v10
	v_readfirstlane_b32 s7, v11
	s_mov_b64 s[12:13], exec
	s_waitcnt vmcnt(1)
	v_readfirstlane_b32 s14, v12
	v_readfirstlane_b32 s15, v13
	s_and_b64 s[14:15], s[6:7], s[14:15]
	s_mul_i32 s16, s15, 24
	s_mul_hi_u32 s17, s14, 24
	s_mul_i32 s18, s14, 24
	s_add_i32 s16, s17, s16
	v_mov_b32_e32 v3, s16
	s_waitcnt vmcnt(0)
	v_add_co_u32_e32 v10, vcc, s18, v6
	v_addc_co_u32_e32 v11, vcc, v7, v3, vcc
	s_and_saveexec_b64 s[16:17], s[4:5]
	s_cbranch_execz .LBB1_234
; %bb.233:
	v_pk_mov_b32 v[12:13], s[12:13], s[12:13] op_sel:[0,1]
	v_mov_b32_e32 v14, 2
	v_mov_b32_e32 v15, 1
	global_store_dwordx4 v[10:11], v[12:15], off offset:8
.LBB1_234:
	s_or_b64 exec, exec, s[16:17]
	s_lshl_b64 s[12:13], s[14:15], 12
	v_mov_b32_e32 v3, s13
	v_add_co_u32_e32 v12, vcc, s12, v8
	s_movk_i32 s12, 0xff1f
	v_addc_co_u32_e32 v13, vcc, v9, v3, vcc
	v_and_or_b32 v0, v0, s12, 32
	s_mov_b32 s12, 0
	v_mov_b32_e32 v3, v2
	v_readfirstlane_b32 s16, v12
	v_readfirstlane_b32 s17, v13
	s_mov_b32 s13, s12
	v_add_co_u32_e32 v8, vcc, v12, v36
	s_mov_b32 s14, s12
	s_mov_b32 s15, s12
	s_nop 0
	global_store_dwordx4 v36, v[0:3], s[16:17]
	v_addc_co_u32_e32 v9, vcc, 0, v13, vcc
	v_pk_mov_b32 v[0:1], s[12:13], s[12:13] op_sel:[0,1]
	v_pk_mov_b32 v[2:3], s[14:15], s[14:15] op_sel:[0,1]
	global_store_dwordx4 v36, v[0:3], s[16:17] offset:16
	global_store_dwordx4 v36, v[0:3], s[16:17] offset:32
	;; [unrolled: 1-line block ×3, first 2 shown]
	s_and_saveexec_b64 s[12:13], s[4:5]
	s_cbranch_execz .LBB1_242
; %bb.235:
	v_mov_b32_e32 v12, 0
	global_load_dwordx2 v[16:17], v12, s[10:11] offset:32 glc
	global_load_dwordx2 v[0:1], v12, s[10:11] offset:40
	v_mov_b32_e32 v14, s6
	v_mov_b32_e32 v15, s7
	s_waitcnt vmcnt(0)
	v_readfirstlane_b32 s14, v0
	v_readfirstlane_b32 s15, v1
	s_and_b64 s[14:15], s[14:15], s[6:7]
	s_mul_i32 s15, s15, 24
	s_mul_hi_u32 s16, s14, 24
	s_mul_i32 s14, s14, 24
	s_add_i32 s15, s16, s15
	v_mov_b32_e32 v0, s15
	v_add_co_u32_e32 v6, vcc, s14, v6
	v_addc_co_u32_e32 v7, vcc, v7, v0, vcc
	global_store_dwordx2 v[6:7], v[16:17], off
	buffer_wbl2
	s_waitcnt vmcnt(0)
	global_atomic_cmpswap_x2 v[2:3], v12, v[14:17], s[10:11] offset:32 glc
	s_waitcnt vmcnt(0)
	v_cmp_ne_u64_e32 vcc, v[2:3], v[16:17]
	s_and_saveexec_b64 s[14:15], vcc
	s_cbranch_execz .LBB1_238
; %bb.236:
	s_mov_b64 s[16:17], 0
.LBB1_237:                              ; =>This Inner Loop Header: Depth=1
	s_sleep 1
	global_store_dwordx2 v[6:7], v[2:3], off
	v_mov_b32_e32 v0, s6
	v_mov_b32_e32 v1, s7
	buffer_wbl2
	s_waitcnt vmcnt(0)
	global_atomic_cmpswap_x2 v[0:1], v12, v[0:3], s[10:11] offset:32 glc
	s_waitcnt vmcnt(0)
	v_cmp_eq_u64_e32 vcc, v[0:1], v[2:3]
	s_or_b64 s[16:17], vcc, s[16:17]
	v_pk_mov_b32 v[2:3], v[0:1], v[0:1] op_sel:[0,1]
	s_andn2_b64 exec, exec, s[16:17]
	s_cbranch_execnz .LBB1_237
.LBB1_238:
	s_or_b64 exec, exec, s[14:15]
	v_mov_b32_e32 v3, 0
	global_load_dwordx2 v[0:1], v3, s[10:11] offset:16
	s_mov_b64 s[14:15], exec
	v_mbcnt_lo_u32_b32 v2, s14, 0
	v_mbcnt_hi_u32_b32 v2, s15, v2
	v_cmp_eq_u32_e32 vcc, 0, v2
	s_and_saveexec_b64 s[16:17], vcc
	s_cbranch_execz .LBB1_240
; %bb.239:
	s_bcnt1_i32_b64 s14, s[14:15]
	v_mov_b32_e32 v2, s14
	buffer_wbl2
	s_waitcnt vmcnt(0)
	global_atomic_add_x2 v[0:1], v[2:3], off offset:8
.LBB1_240:
	s_or_b64 exec, exec, s[16:17]
	s_waitcnt vmcnt(0)
	global_load_dwordx2 v[2:3], v[0:1], off offset:16
	s_waitcnt vmcnt(0)
	v_cmp_eq_u64_e32 vcc, 0, v[2:3]
	s_cbranch_vccnz .LBB1_242
; %bb.241:
	global_load_dword v0, v[0:1], off offset:24
	v_mov_b32_e32 v1, 0
	buffer_wbl2
	s_waitcnt vmcnt(0)
	global_store_dwordx2 v[2:3], v[0:1], off
	v_and_b32_e32 v0, 0xffffff, v0
	v_readfirstlane_b32 m0, v0
	s_sendmsg sendmsg(MSG_INTERRUPT)
.LBB1_242:
	s_or_b64 exec, exec, s[12:13]
	s_branch .LBB1_246
.LBB1_243:                              ;   in Loop: Header=BB1_246 Depth=1
	s_or_b64 exec, exec, s[12:13]
	v_readfirstlane_b32 s12, v0
	s_cmp_eq_u32 s12, 0
	s_cbranch_scc1 .LBB1_245
; %bb.244:                              ;   in Loop: Header=BB1_246 Depth=1
	s_sleep 1
	s_cbranch_execnz .LBB1_246
	s_branch .LBB1_248
.LBB1_245:
	s_branch .LBB1_248
.LBB1_246:                              ; =>This Inner Loop Header: Depth=1
	v_mov_b32_e32 v0, 1
	s_and_saveexec_b64 s[12:13], s[4:5]
	s_cbranch_execz .LBB1_243
; %bb.247:                              ;   in Loop: Header=BB1_246 Depth=1
	global_load_dword v0, v[10:11], off offset:20 glc
	s_waitcnt vmcnt(0)
	buffer_invl2
	buffer_wbinvl1_vol
	v_and_b32_e32 v0, 1, v0
	s_branch .LBB1_243
.LBB1_248:
	global_load_dwordx2 v[6:7], v[8:9], off
	s_and_saveexec_b64 s[12:13], s[4:5]
	s_cbranch_execz .LBB1_251
; %bb.249:
	v_mov_b32_e32 v10, 0
	global_load_dwordx2 v[8:9], v10, s[10:11] offset:40
	global_load_dwordx2 v[12:13], v10, s[10:11] offset:24 glc
	global_load_dwordx2 v[14:15], v10, s[10:11]
	v_mov_b32_e32 v1, s7
	s_mov_b64 s[4:5], 0
	s_waitcnt vmcnt(2)
	v_add_co_u32_e32 v3, vcc, 1, v8
	v_addc_co_u32_e32 v11, vcc, 0, v9, vcc
	v_add_co_u32_e32 v0, vcc, s6, v3
	v_addc_co_u32_e32 v1, vcc, v11, v1, vcc
	v_cmp_eq_u64_e32 vcc, 0, v[0:1]
	v_cndmask_b32_e32 v1, v1, v11, vcc
	v_cndmask_b32_e32 v0, v0, v3, vcc
	v_and_b32_e32 v3, v1, v9
	v_and_b32_e32 v8, v0, v8
	v_mul_lo_u32 v3, v3, 24
	v_mul_hi_u32 v9, v8, 24
	v_mul_lo_u32 v8, v8, 24
	v_add_u32_e32 v3, v9, v3
	s_waitcnt vmcnt(0)
	v_add_co_u32_e32 v8, vcc, v14, v8
	v_addc_co_u32_e32 v9, vcc, v15, v3, vcc
	v_mov_b32_e32 v2, v12
	global_store_dwordx2 v[8:9], v[12:13], off
	v_mov_b32_e32 v3, v13
	buffer_wbl2
	s_waitcnt vmcnt(0)
	global_atomic_cmpswap_x2 v[2:3], v10, v[0:3], s[10:11] offset:24 glc
	s_waitcnt vmcnt(0)
	v_cmp_ne_u64_e32 vcc, v[2:3], v[12:13]
	s_and_b64 exec, exec, vcc
	s_cbranch_execz .LBB1_251
.LBB1_250:                              ; =>This Inner Loop Header: Depth=1
	s_sleep 1
	global_store_dwordx2 v[8:9], v[2:3], off
	buffer_wbl2
	s_waitcnt vmcnt(0)
	global_atomic_cmpswap_x2 v[12:13], v10, v[0:3], s[10:11] offset:24 glc
	s_waitcnt vmcnt(0)
	v_cmp_eq_u64_e32 vcc, v[12:13], v[2:3]
	s_or_b64 s[4:5], vcc, s[4:5]
	v_pk_mov_b32 v[2:3], v[12:13], v[12:13] op_sel:[0,1]
	s_andn2_b64 exec, exec, s[4:5]
	s_cbranch_execnz .LBB1_250
.LBB1_251:
	s_or_b64 exec, exec, s[12:13]
.LBB1_252:
	v_readfirstlane_b32 s4, v37
	v_cmp_eq_u32_e64 s[4:5], s4, v37
	v_pk_mov_b32 v[10:11], 0, 0
	s_and_saveexec_b64 s[6:7], s[4:5]
	s_cbranch_execz .LBB1_258
; %bb.253:
	s_waitcnt vmcnt(0)
	v_mov_b32_e32 v0, 0
	global_load_dwordx2 v[12:13], v0, s[10:11] offset:24 glc
	s_waitcnt vmcnt(0)
	buffer_invl2
	buffer_wbinvl1_vol
	global_load_dwordx2 v[2:3], v0, s[10:11] offset:40
	global_load_dwordx2 v[8:9], v0, s[10:11]
	s_waitcnt vmcnt(1)
	v_and_b32_e32 v1, v2, v12
	v_and_b32_e32 v2, v3, v13
	v_mul_lo_u32 v2, v2, 24
	v_mul_hi_u32 v3, v1, 24
	v_mul_lo_u32 v1, v1, 24
	v_add_u32_e32 v3, v3, v2
	s_waitcnt vmcnt(0)
	v_add_co_u32_e32 v2, vcc, v8, v1
	v_addc_co_u32_e32 v3, vcc, v9, v3, vcc
	global_load_dwordx2 v[10:11], v[2:3], off glc
	s_waitcnt vmcnt(0)
	global_atomic_cmpswap_x2 v[10:11], v0, v[10:13], s[10:11] offset:24 glc
	s_waitcnt vmcnt(0)
	buffer_invl2
	buffer_wbinvl1_vol
	v_cmp_ne_u64_e32 vcc, v[10:11], v[12:13]
	s_and_saveexec_b64 s[12:13], vcc
	s_cbranch_execz .LBB1_257
; %bb.254:
	s_mov_b64 s[14:15], 0
.LBB1_255:                              ; =>This Inner Loop Header: Depth=1
	s_sleep 1
	global_load_dwordx2 v[2:3], v0, s[10:11] offset:40
	global_load_dwordx2 v[8:9], v0, s[10:11]
	v_pk_mov_b32 v[12:13], v[10:11], v[10:11] op_sel:[0,1]
	s_waitcnt vmcnt(1)
	v_and_b32_e32 v2, v2, v12
	v_and_b32_e32 v1, v3, v13
	s_waitcnt vmcnt(0)
	v_mad_u64_u32 v[2:3], s[16:17], v2, 24, v[8:9]
	v_mov_b32_e32 v8, v3
	v_mad_u64_u32 v[8:9], s[16:17], v1, 24, v[8:9]
	v_mov_b32_e32 v3, v8
	global_load_dwordx2 v[10:11], v[2:3], off glc
	s_waitcnt vmcnt(0)
	global_atomic_cmpswap_x2 v[10:11], v0, v[10:13], s[10:11] offset:24 glc
	s_waitcnt vmcnt(0)
	buffer_invl2
	buffer_wbinvl1_vol
	v_cmp_eq_u64_e32 vcc, v[10:11], v[12:13]
	s_or_b64 s[14:15], vcc, s[14:15]
	s_andn2_b64 exec, exec, s[14:15]
	s_cbranch_execnz .LBB1_255
; %bb.256:
	s_or_b64 exec, exec, s[14:15]
.LBB1_257:
	s_or_b64 exec, exec, s[12:13]
.LBB1_258:
	s_or_b64 exec, exec, s[6:7]
	s_waitcnt vmcnt(0)
	v_mov_b32_e32 v9, 0
	global_load_dwordx2 v[12:13], v9, s[10:11] offset:40
	global_load_dwordx4 v[0:3], v9, s[10:11]
	v_readfirstlane_b32 s6, v10
	v_readfirstlane_b32 s7, v11
	s_mov_b64 s[12:13], exec
	s_waitcnt vmcnt(1)
	v_readfirstlane_b32 s14, v12
	v_readfirstlane_b32 s15, v13
	s_and_b64 s[14:15], s[6:7], s[14:15]
	s_mul_i32 s16, s15, 24
	s_mul_hi_u32 s17, s14, 24
	s_mul_i32 s18, s14, 24
	s_add_i32 s16, s17, s16
	v_mov_b32_e32 v8, s16
	s_waitcnt vmcnt(0)
	v_add_co_u32_e32 v10, vcc, s18, v0
	v_addc_co_u32_e32 v11, vcc, v1, v8, vcc
	s_and_saveexec_b64 s[16:17], s[4:5]
	s_cbranch_execz .LBB1_260
; %bb.259:
	v_pk_mov_b32 v[12:13], s[12:13], s[12:13] op_sel:[0,1]
	v_mov_b32_e32 v14, 2
	v_mov_b32_e32 v15, 1
	global_store_dwordx4 v[10:11], v[12:15], off offset:8
.LBB1_260:
	s_or_b64 exec, exec, s[16:17]
	s_lshl_b64 s[12:13], s[14:15], 12
	v_mov_b32_e32 v8, s13
	v_add_co_u32_e32 v2, vcc, s12, v2
	s_movk_i32 s12, 0xff1f
	v_addc_co_u32_e32 v3, vcc, v3, v8, vcc
	v_and_or_b32 v6, v6, s12, 32
	s_mov_b32 s12, 0
	v_mov_b32_e32 v8, 0x331
	v_readfirstlane_b32 s16, v2
	v_readfirstlane_b32 s17, v3
	s_mov_b32 s13, s12
	v_add_co_u32_e32 v12, vcc, v2, v36
	s_mov_b32 s14, s12
	s_mov_b32 s15, s12
	s_nop 0
	global_store_dwordx4 v36, v[6:9], s[16:17]
	v_addc_co_u32_e32 v13, vcc, 0, v3, vcc
	v_pk_mov_b32 v[6:7], s[12:13], s[12:13] op_sel:[0,1]
	v_pk_mov_b32 v[8:9], s[14:15], s[14:15] op_sel:[0,1]
	global_store_dwordx4 v36, v[6:9], s[16:17] offset:16
	global_store_dwordx4 v36, v[6:9], s[16:17] offset:32
	;; [unrolled: 1-line block ×3, first 2 shown]
	s_and_saveexec_b64 s[12:13], s[4:5]
	s_cbranch_execz .LBB1_268
; %bb.261:
	v_mov_b32_e32 v8, 0
	global_load_dwordx2 v[16:17], v8, s[10:11] offset:32 glc
	global_load_dwordx2 v[2:3], v8, s[10:11] offset:40
	v_mov_b32_e32 v14, s6
	v_mov_b32_e32 v15, s7
	s_waitcnt vmcnt(0)
	v_readfirstlane_b32 s14, v2
	v_readfirstlane_b32 s15, v3
	s_and_b64 s[14:15], s[14:15], s[6:7]
	s_mul_i32 s15, s15, 24
	s_mul_hi_u32 s16, s14, 24
	s_mul_i32 s14, s14, 24
	s_add_i32 s15, s16, s15
	v_mov_b32_e32 v2, s15
	v_add_co_u32_e32 v6, vcc, s14, v0
	v_addc_co_u32_e32 v7, vcc, v1, v2, vcc
	global_store_dwordx2 v[6:7], v[16:17], off
	buffer_wbl2
	s_waitcnt vmcnt(0)
	global_atomic_cmpswap_x2 v[2:3], v8, v[14:17], s[10:11] offset:32 glc
	s_waitcnt vmcnt(0)
	v_cmp_ne_u64_e32 vcc, v[2:3], v[16:17]
	s_and_saveexec_b64 s[14:15], vcc
	s_cbranch_execz .LBB1_264
; %bb.262:
	s_mov_b64 s[16:17], 0
.LBB1_263:                              ; =>This Inner Loop Header: Depth=1
	s_sleep 1
	global_store_dwordx2 v[6:7], v[2:3], off
	v_mov_b32_e32 v0, s6
	v_mov_b32_e32 v1, s7
	buffer_wbl2
	s_waitcnt vmcnt(0)
	global_atomic_cmpswap_x2 v[0:1], v8, v[0:3], s[10:11] offset:32 glc
	s_waitcnt vmcnt(0)
	v_cmp_eq_u64_e32 vcc, v[0:1], v[2:3]
	s_or_b64 s[16:17], vcc, s[16:17]
	v_pk_mov_b32 v[2:3], v[0:1], v[0:1] op_sel:[0,1]
	s_andn2_b64 exec, exec, s[16:17]
	s_cbranch_execnz .LBB1_263
.LBB1_264:
	s_or_b64 exec, exec, s[14:15]
	v_mov_b32_e32 v3, 0
	global_load_dwordx2 v[0:1], v3, s[10:11] offset:16
	s_mov_b64 s[14:15], exec
	v_mbcnt_lo_u32_b32 v2, s14, 0
	v_mbcnt_hi_u32_b32 v2, s15, v2
	v_cmp_eq_u32_e32 vcc, 0, v2
	s_and_saveexec_b64 s[16:17], vcc
	s_cbranch_execz .LBB1_266
; %bb.265:
	s_bcnt1_i32_b64 s14, s[14:15]
	v_mov_b32_e32 v2, s14
	buffer_wbl2
	s_waitcnt vmcnt(0)
	global_atomic_add_x2 v[0:1], v[2:3], off offset:8
.LBB1_266:
	s_or_b64 exec, exec, s[16:17]
	s_waitcnt vmcnt(0)
	global_load_dwordx2 v[2:3], v[0:1], off offset:16
	s_waitcnt vmcnt(0)
	v_cmp_eq_u64_e32 vcc, 0, v[2:3]
	s_cbranch_vccnz .LBB1_268
; %bb.267:
	global_load_dword v0, v[0:1], off offset:24
	v_mov_b32_e32 v1, 0
	buffer_wbl2
	s_waitcnt vmcnt(0)
	global_store_dwordx2 v[2:3], v[0:1], off
	v_and_b32_e32 v0, 0xffffff, v0
	v_readfirstlane_b32 m0, v0
	s_sendmsg sendmsg(MSG_INTERRUPT)
.LBB1_268:
	s_or_b64 exec, exec, s[12:13]
	s_branch .LBB1_272
.LBB1_269:                              ;   in Loop: Header=BB1_272 Depth=1
	s_or_b64 exec, exec, s[12:13]
	v_readfirstlane_b32 s12, v0
	s_cmp_eq_u32 s12, 0
	s_cbranch_scc1 .LBB1_271
; %bb.270:                              ;   in Loop: Header=BB1_272 Depth=1
	s_sleep 1
	s_cbranch_execnz .LBB1_272
	s_branch .LBB1_274
.LBB1_271:
	s_branch .LBB1_274
.LBB1_272:                              ; =>This Inner Loop Header: Depth=1
	v_mov_b32_e32 v0, 1
	s_and_saveexec_b64 s[12:13], s[4:5]
	s_cbranch_execz .LBB1_269
; %bb.273:                              ;   in Loop: Header=BB1_272 Depth=1
	global_load_dword v0, v[10:11], off offset:20 glc
	s_waitcnt vmcnt(0)
	buffer_invl2
	buffer_wbinvl1_vol
	v_and_b32_e32 v0, 1, v0
	s_branch .LBB1_269
.LBB1_274:
	global_load_dwordx2 v[0:1], v[12:13], off
	s_and_saveexec_b64 s[12:13], s[4:5]
	s_cbranch_execz .LBB1_277
; %bb.275:
	v_mov_b32_e32 v10, 0
	global_load_dwordx2 v[2:3], v10, s[10:11] offset:40
	global_load_dwordx2 v[12:13], v10, s[10:11] offset:24 glc
	global_load_dwordx2 v[14:15], v10, s[10:11]
	v_mov_b32_e32 v7, s7
	s_mov_b64 s[4:5], 0
	s_waitcnt vmcnt(2)
	v_add_co_u32_e32 v9, vcc, 1, v2
	v_addc_co_u32_e32 v11, vcc, 0, v3, vcc
	v_add_co_u32_e32 v6, vcc, s6, v9
	v_addc_co_u32_e32 v7, vcc, v11, v7, vcc
	v_cmp_eq_u64_e32 vcc, 0, v[6:7]
	v_cndmask_b32_e32 v7, v7, v11, vcc
	v_cndmask_b32_e32 v6, v6, v9, vcc
	v_and_b32_e32 v3, v7, v3
	v_and_b32_e32 v2, v6, v2
	v_mul_lo_u32 v3, v3, 24
	v_mul_hi_u32 v9, v2, 24
	v_mul_lo_u32 v2, v2, 24
	v_add_u32_e32 v3, v9, v3
	s_waitcnt vmcnt(0)
	v_add_co_u32_e32 v2, vcc, v14, v2
	v_addc_co_u32_e32 v3, vcc, v15, v3, vcc
	v_mov_b32_e32 v8, v12
	global_store_dwordx2 v[2:3], v[12:13], off
	v_mov_b32_e32 v9, v13
	buffer_wbl2
	s_waitcnt vmcnt(0)
	global_atomic_cmpswap_x2 v[8:9], v10, v[6:9], s[10:11] offset:24 glc
	s_waitcnt vmcnt(0)
	v_cmp_ne_u64_e32 vcc, v[8:9], v[12:13]
	s_and_b64 exec, exec, vcc
	s_cbranch_execz .LBB1_277
.LBB1_276:                              ; =>This Inner Loop Header: Depth=1
	s_sleep 1
	global_store_dwordx2 v[2:3], v[8:9], off
	buffer_wbl2
	s_waitcnt vmcnt(0)
	global_atomic_cmpswap_x2 v[12:13], v10, v[6:9], s[10:11] offset:24 glc
	s_waitcnt vmcnt(0)
	v_cmp_eq_u64_e32 vcc, v[12:13], v[8:9]
	s_or_b64 s[4:5], vcc, s[4:5]
	v_pk_mov_b32 v[8:9], v[12:13], v[12:13] op_sel:[0,1]
	s_andn2_b64 exec, exec, s[4:5]
	s_cbranch_execnz .LBB1_276
.LBB1_277:
	s_or_b64 exec, exec, s[12:13]
	s_mov_b64 s[4:5], 0
	v_pk_mov_b32 v[6:7], v[4:5], v[4:5] op_sel:[0,1]
.LBB1_278:                              ; =>This Inner Loop Header: Depth=1
	flat_load_ubyte v8, v[6:7]
	v_add_co_u32_e32 v2, vcc, 1, v6
	v_addc_co_u32_e32 v3, vcc, 0, v7, vcc
	v_pk_mov_b32 v[6:7], v[2:3], v[2:3] op_sel:[0,1]
	s_waitcnt vmcnt(0) lgkmcnt(0)
	v_cmp_eq_u16_e32 vcc, 0, v8
	s_or_b64 s[4:5], vcc, s[4:5]
	s_andn2_b64 exec, exec, s[4:5]
	s_cbranch_execnz .LBB1_278
; %bb.279:
	s_or_b64 exec, exec, s[4:5]
	s_mov_b64 s[6:7], 0
	v_cmp_ne_u64_e32 vcc, 0, v[4:5]
	s_and_saveexec_b64 s[4:5], vcc
	s_xor_b64 s[12:13], exec, s[4:5]
	s_cbranch_execz .LBB1_365
; %bb.280:
	v_sub_u32_e32 v26, v2, v4
	v_ashrrev_i32_e32 v27, 31, v26
	v_and_b32_e32 v28, 2, v0
	v_mov_b32_e32 v31, 0
	v_and_b32_e32 v0, -3, v0
	s_mov_b32 s22, 0
	s_movk_i32 s23, 0xff1f
	v_mov_b32_e32 v8, 2
	v_mov_b32_e32 v9, 1
	s_branch .LBB1_282
.LBB1_281:                              ;   in Loop: Header=BB1_282 Depth=1
	s_or_b64 exec, exec, s[16:17]
	v_sub_co_u32_e32 v26, vcc, v26, v32
	v_subb_co_u32_e32 v27, vcc, v27, v33, vcc
	v_cmp_eq_u64_e32 vcc, 0, v[26:27]
	s_or_b64 s[6:7], vcc, s[6:7]
	v_add_co_u32_e32 v4, vcc, v4, v32
	v_addc_co_u32_e32 v5, vcc, v5, v33, vcc
	s_andn2_b64 exec, exec, s[6:7]
	s_cbranch_execz .LBB1_364
.LBB1_282:                              ; =>This Loop Header: Depth=1
                                        ;     Child Loop BB1_285 Depth 2
                                        ;     Child Loop BB1_293 Depth 2
                                        ;     Child Loop BB1_301 Depth 2
                                        ;     Child Loop BB1_309 Depth 2
                                        ;     Child Loop BB1_317 Depth 2
                                        ;     Child Loop BB1_325 Depth 2
                                        ;     Child Loop BB1_333 Depth 2
                                        ;     Child Loop BB1_341 Depth 2
                                        ;     Child Loop BB1_349 Depth 2
                                        ;     Child Loop BB1_358 Depth 2
                                        ;     Child Loop BB1_363 Depth 2
	v_cmp_gt_u64_e32 vcc, 56, v[26:27]
	v_cndmask_b32_e32 v33, 0, v27, vcc
	v_cndmask_b32_e32 v32, 56, v26, vcc
	v_cmp_gt_u64_e32 vcc, 8, v[26:27]
                                        ; implicit-def: $vgpr2_vgpr3
                                        ; implicit-def: $sgpr14
	s_and_saveexec_b64 s[4:5], vcc
	s_xor_b64 s[4:5], exec, s[4:5]
	s_cbranch_execz .LBB1_288
; %bb.283:                              ;   in Loop: Header=BB1_282 Depth=1
	s_mov_b64 s[16:17], 0
	v_cmp_ne_u64_e32 vcc, 0, v[26:27]
	s_waitcnt vmcnt(0)
	v_pk_mov_b32 v[2:3], 0, 0
	s_and_saveexec_b64 s[14:15], vcc
	s_cbranch_execz .LBB1_287
; %bb.284:                              ;   in Loop: Header=BB1_282 Depth=1
	v_lshlrev_b64 v[6:7], 3, v[32:33]
	v_pk_mov_b32 v[2:3], 0, 0
	v_pk_mov_b32 v[10:11], v[4:5], v[4:5] op_sel:[0,1]
	s_mov_b64 s[18:19], 0
.LBB1_285:                              ;   Parent Loop BB1_282 Depth=1
                                        ; =>  This Inner Loop Header: Depth=2
	flat_load_ubyte v7, v[10:11]
	v_mov_b32_e32 v13, s22
	v_add_co_u32_e32 v10, vcc, 1, v10
	v_addc_co_u32_e32 v11, vcc, 0, v11, vcc
	s_waitcnt vmcnt(0) lgkmcnt(0)
	v_and_b32_e32 v12, 0xffff, v7
	v_lshlrev_b64 v[12:13], s18, v[12:13]
	s_add_u32 s18, s18, 8
	s_addc_u32 s19, s19, 0
	v_cmp_eq_u32_e32 vcc, s18, v6
	v_or_b32_e32 v3, v13, v3
	s_or_b64 s[16:17], vcc, s[16:17]
	v_or_b32_e32 v2, v12, v2
	s_andn2_b64 exec, exec, s[16:17]
	s_cbranch_execnz .LBB1_285
; %bb.286:                              ;   in Loop: Header=BB1_282 Depth=1
	s_or_b64 exec, exec, s[16:17]
.LBB1_287:                              ;   in Loop: Header=BB1_282 Depth=1
	s_or_b64 exec, exec, s[14:15]
	s_mov_b32 s14, 0
.LBB1_288:                              ;   in Loop: Header=BB1_282 Depth=1
	s_or_saveexec_b64 s[4:5], s[4:5]
	v_mov_b32_e32 v12, s14
	v_pk_mov_b32 v[6:7], v[4:5], v[4:5] op_sel:[0,1]
	s_xor_b64 exec, exec, s[4:5]
	s_cbranch_execz .LBB1_290
; %bb.289:                              ;   in Loop: Header=BB1_282 Depth=1
	s_waitcnt vmcnt(0)
	flat_load_dwordx2 v[2:3], v[4:5]
	v_add_u32_e32 v12, -8, v32
	s_waitcnt vmcnt(0) lgkmcnt(0)
	v_and_b32_e32 v6, 0xff, v3
	v_and_b32_e32 v7, 0xff00, v3
	;; [unrolled: 1-line block ×4, first 2 shown]
	v_or_b32_e32 v6, v6, v7
	v_or3_b32 v3, v6, v10, v3
	v_add_co_u32_e32 v6, vcc, 8, v4
	v_or3_b32 v2, v2, 0, 0
	v_addc_co_u32_e32 v7, vcc, 0, v5, vcc
.LBB1_290:                              ;   in Loop: Header=BB1_282 Depth=1
	s_or_b64 exec, exec, s[4:5]
	v_cmp_gt_u32_e32 vcc, 8, v12
                                        ; implicit-def: $vgpr10_vgpr11
                                        ; implicit-def: $sgpr14
	s_and_saveexec_b64 s[4:5], vcc
	s_xor_b64 s[4:5], exec, s[4:5]
	s_cbranch_execz .LBB1_296
; %bb.291:                              ;   in Loop: Header=BB1_282 Depth=1
	v_cmp_ne_u32_e32 vcc, 0, v12
	v_pk_mov_b32 v[10:11], 0, 0
	s_and_saveexec_b64 s[14:15], vcc
	s_cbranch_execz .LBB1_295
; %bb.292:                              ;   in Loop: Header=BB1_282 Depth=1
	s_mov_b64 s[16:17], 0
	v_pk_mov_b32 v[10:11], 0, 0
	s_mov_b64 s[18:19], 0
	s_mov_b64 s[20:21], 0
.LBB1_293:                              ;   Parent Loop BB1_282 Depth=1
                                        ; =>  This Inner Loop Header: Depth=2
	v_mov_b32_e32 v13, s21
	v_add_co_u32_e32 v14, vcc, s20, v6
	v_addc_co_u32_e32 v15, vcc, v7, v13, vcc
	flat_load_ubyte v13, v[14:15]
	s_add_u32 s20, s20, 1
	v_mov_b32_e32 v15, s22
	s_addc_u32 s21, s21, 0
	v_cmp_eq_u32_e32 vcc, s20, v12
	s_waitcnt vmcnt(0) lgkmcnt(0)
	v_and_b32_e32 v14, 0xffff, v13
	v_lshlrev_b64 v[14:15], s18, v[14:15]
	s_add_u32 s18, s18, 8
	s_addc_u32 s19, s19, 0
	v_or_b32_e32 v11, v15, v11
	s_or_b64 s[16:17], vcc, s[16:17]
	v_or_b32_e32 v10, v14, v10
	s_andn2_b64 exec, exec, s[16:17]
	s_cbranch_execnz .LBB1_293
; %bb.294:                              ;   in Loop: Header=BB1_282 Depth=1
	s_or_b64 exec, exec, s[16:17]
.LBB1_295:                              ;   in Loop: Header=BB1_282 Depth=1
	s_or_b64 exec, exec, s[14:15]
	s_mov_b32 s14, 0
                                        ; implicit-def: $vgpr12
.LBB1_296:                              ;   in Loop: Header=BB1_282 Depth=1
	s_or_saveexec_b64 s[4:5], s[4:5]
	v_mov_b32_e32 v14, s14
	s_xor_b64 exec, exec, s[4:5]
	s_cbranch_execz .LBB1_298
; %bb.297:                              ;   in Loop: Header=BB1_282 Depth=1
	flat_load_dwordx2 v[10:11], v[6:7]
	v_add_u32_e32 v14, -8, v12
	v_add_co_u32_e32 v6, vcc, 8, v6
	v_addc_co_u32_e32 v7, vcc, 0, v7, vcc
	s_waitcnt vmcnt(0) lgkmcnt(0)
	v_and_b32_e32 v12, 0xff, v11
	v_and_b32_e32 v13, 0xff00, v11
	;; [unrolled: 1-line block ×4, first 2 shown]
	v_or_b32_e32 v12, v12, v13
	v_or3_b32 v10, v10, 0, 0
	v_or3_b32 v11, v12, v15, v11
.LBB1_298:                              ;   in Loop: Header=BB1_282 Depth=1
	s_or_b64 exec, exec, s[4:5]
	v_cmp_gt_u32_e32 vcc, 8, v14
                                        ; implicit-def: $sgpr14
	s_and_saveexec_b64 s[4:5], vcc
	s_xor_b64 s[4:5], exec, s[4:5]
	s_cbranch_execz .LBB1_304
; %bb.299:                              ;   in Loop: Header=BB1_282 Depth=1
	v_cmp_ne_u32_e32 vcc, 0, v14
	v_pk_mov_b32 v[12:13], 0, 0
	s_and_saveexec_b64 s[14:15], vcc
	s_cbranch_execz .LBB1_303
; %bb.300:                              ;   in Loop: Header=BB1_282 Depth=1
	s_mov_b64 s[16:17], 0
	v_pk_mov_b32 v[12:13], 0, 0
	s_mov_b64 s[18:19], 0
	s_mov_b64 s[20:21], 0
.LBB1_301:                              ;   Parent Loop BB1_282 Depth=1
                                        ; =>  This Inner Loop Header: Depth=2
	v_mov_b32_e32 v15, s21
	v_add_co_u32_e32 v16, vcc, s20, v6
	v_addc_co_u32_e32 v17, vcc, v7, v15, vcc
	flat_load_ubyte v15, v[16:17]
	s_add_u32 s20, s20, 1
	v_mov_b32_e32 v17, s22
	s_addc_u32 s21, s21, 0
	v_cmp_eq_u32_e32 vcc, s20, v14
	s_waitcnt vmcnt(0) lgkmcnt(0)
	v_and_b32_e32 v16, 0xffff, v15
	v_lshlrev_b64 v[16:17], s18, v[16:17]
	s_add_u32 s18, s18, 8
	s_addc_u32 s19, s19, 0
	v_or_b32_e32 v13, v17, v13
	s_or_b64 s[16:17], vcc, s[16:17]
	v_or_b32_e32 v12, v16, v12
	s_andn2_b64 exec, exec, s[16:17]
	s_cbranch_execnz .LBB1_301
; %bb.302:                              ;   in Loop: Header=BB1_282 Depth=1
	s_or_b64 exec, exec, s[16:17]
.LBB1_303:                              ;   in Loop: Header=BB1_282 Depth=1
	s_or_b64 exec, exec, s[14:15]
	s_mov_b32 s14, 0
                                        ; implicit-def: $vgpr14
.LBB1_304:                              ;   in Loop: Header=BB1_282 Depth=1
	s_or_saveexec_b64 s[4:5], s[4:5]
	v_mov_b32_e32 v16, s14
	s_xor_b64 exec, exec, s[4:5]
	s_cbranch_execz .LBB1_306
; %bb.305:                              ;   in Loop: Header=BB1_282 Depth=1
	flat_load_dwordx2 v[12:13], v[6:7]
	v_add_u32_e32 v16, -8, v14
	v_add_co_u32_e32 v6, vcc, 8, v6
	v_addc_co_u32_e32 v7, vcc, 0, v7, vcc
	s_waitcnt vmcnt(0) lgkmcnt(0)
	v_and_b32_e32 v14, 0xff, v13
	v_and_b32_e32 v15, 0xff00, v13
	;; [unrolled: 1-line block ×4, first 2 shown]
	v_or_b32_e32 v14, v14, v15
	v_or3_b32 v12, v12, 0, 0
	v_or3_b32 v13, v14, v17, v13
.LBB1_306:                              ;   in Loop: Header=BB1_282 Depth=1
	s_or_b64 exec, exec, s[4:5]
	v_cmp_gt_u32_e32 vcc, 8, v16
                                        ; implicit-def: $vgpr14_vgpr15
                                        ; implicit-def: $sgpr14
	s_and_saveexec_b64 s[4:5], vcc
	s_xor_b64 s[4:5], exec, s[4:5]
	s_cbranch_execz .LBB1_312
; %bb.307:                              ;   in Loop: Header=BB1_282 Depth=1
	v_cmp_ne_u32_e32 vcc, 0, v16
	v_pk_mov_b32 v[14:15], 0, 0
	s_and_saveexec_b64 s[14:15], vcc
	s_cbranch_execz .LBB1_311
; %bb.308:                              ;   in Loop: Header=BB1_282 Depth=1
	s_mov_b64 s[16:17], 0
	v_pk_mov_b32 v[14:15], 0, 0
	s_mov_b64 s[18:19], 0
	s_mov_b64 s[20:21], 0
.LBB1_309:                              ;   Parent Loop BB1_282 Depth=1
                                        ; =>  This Inner Loop Header: Depth=2
	v_mov_b32_e32 v17, s21
	v_add_co_u32_e32 v18, vcc, s20, v6
	v_addc_co_u32_e32 v19, vcc, v7, v17, vcc
	flat_load_ubyte v17, v[18:19]
	s_add_u32 s20, s20, 1
	v_mov_b32_e32 v19, s22
	s_addc_u32 s21, s21, 0
	v_cmp_eq_u32_e32 vcc, s20, v16
	s_waitcnt vmcnt(0) lgkmcnt(0)
	v_and_b32_e32 v18, 0xffff, v17
	v_lshlrev_b64 v[18:19], s18, v[18:19]
	s_add_u32 s18, s18, 8
	s_addc_u32 s19, s19, 0
	v_or_b32_e32 v15, v19, v15
	s_or_b64 s[16:17], vcc, s[16:17]
	v_or_b32_e32 v14, v18, v14
	s_andn2_b64 exec, exec, s[16:17]
	s_cbranch_execnz .LBB1_309
; %bb.310:                              ;   in Loop: Header=BB1_282 Depth=1
	s_or_b64 exec, exec, s[16:17]
.LBB1_311:                              ;   in Loop: Header=BB1_282 Depth=1
	s_or_b64 exec, exec, s[14:15]
	s_mov_b32 s14, 0
                                        ; implicit-def: $vgpr16
.LBB1_312:                              ;   in Loop: Header=BB1_282 Depth=1
	s_or_saveexec_b64 s[4:5], s[4:5]
	v_mov_b32_e32 v18, s14
	s_xor_b64 exec, exec, s[4:5]
	s_cbranch_execz .LBB1_314
; %bb.313:                              ;   in Loop: Header=BB1_282 Depth=1
	flat_load_dwordx2 v[14:15], v[6:7]
	v_add_u32_e32 v18, -8, v16
	v_add_co_u32_e32 v6, vcc, 8, v6
	v_addc_co_u32_e32 v7, vcc, 0, v7, vcc
	s_waitcnt vmcnt(0) lgkmcnt(0)
	v_and_b32_e32 v16, 0xff, v15
	v_and_b32_e32 v17, 0xff00, v15
	;; [unrolled: 1-line block ×4, first 2 shown]
	v_or_b32_e32 v16, v16, v17
	v_or3_b32 v14, v14, 0, 0
	v_or3_b32 v15, v16, v19, v15
.LBB1_314:                              ;   in Loop: Header=BB1_282 Depth=1
	s_or_b64 exec, exec, s[4:5]
	v_cmp_gt_u32_e32 vcc, 8, v18
                                        ; implicit-def: $sgpr14
	s_and_saveexec_b64 s[4:5], vcc
	s_xor_b64 s[4:5], exec, s[4:5]
	s_cbranch_execz .LBB1_320
; %bb.315:                              ;   in Loop: Header=BB1_282 Depth=1
	v_cmp_ne_u32_e32 vcc, 0, v18
	v_pk_mov_b32 v[16:17], 0, 0
	s_and_saveexec_b64 s[14:15], vcc
	s_cbranch_execz .LBB1_319
; %bb.316:                              ;   in Loop: Header=BB1_282 Depth=1
	s_mov_b64 s[16:17], 0
	v_pk_mov_b32 v[16:17], 0, 0
	s_mov_b64 s[18:19], 0
	s_mov_b64 s[20:21], 0
.LBB1_317:                              ;   Parent Loop BB1_282 Depth=1
                                        ; =>  This Inner Loop Header: Depth=2
	v_mov_b32_e32 v19, s21
	v_add_co_u32_e32 v20, vcc, s20, v6
	v_addc_co_u32_e32 v21, vcc, v7, v19, vcc
	flat_load_ubyte v19, v[20:21]
	s_add_u32 s20, s20, 1
	v_mov_b32_e32 v21, s22
	s_addc_u32 s21, s21, 0
	v_cmp_eq_u32_e32 vcc, s20, v18
	s_waitcnt vmcnt(0) lgkmcnt(0)
	v_and_b32_e32 v20, 0xffff, v19
	v_lshlrev_b64 v[20:21], s18, v[20:21]
	s_add_u32 s18, s18, 8
	s_addc_u32 s19, s19, 0
	v_or_b32_e32 v17, v21, v17
	s_or_b64 s[16:17], vcc, s[16:17]
	v_or_b32_e32 v16, v20, v16
	s_andn2_b64 exec, exec, s[16:17]
	s_cbranch_execnz .LBB1_317
; %bb.318:                              ;   in Loop: Header=BB1_282 Depth=1
	s_or_b64 exec, exec, s[16:17]
.LBB1_319:                              ;   in Loop: Header=BB1_282 Depth=1
	s_or_b64 exec, exec, s[14:15]
	s_mov_b32 s14, 0
                                        ; implicit-def: $vgpr18
.LBB1_320:                              ;   in Loop: Header=BB1_282 Depth=1
	s_or_saveexec_b64 s[4:5], s[4:5]
	v_mov_b32_e32 v20, s14
	s_xor_b64 exec, exec, s[4:5]
	s_cbranch_execz .LBB1_322
; %bb.321:                              ;   in Loop: Header=BB1_282 Depth=1
	flat_load_dwordx2 v[16:17], v[6:7]
	v_add_u32_e32 v20, -8, v18
	v_add_co_u32_e32 v6, vcc, 8, v6
	v_addc_co_u32_e32 v7, vcc, 0, v7, vcc
	s_waitcnt vmcnt(0) lgkmcnt(0)
	v_and_b32_e32 v18, 0xff, v17
	v_and_b32_e32 v19, 0xff00, v17
	;; [unrolled: 1-line block ×4, first 2 shown]
	v_or_b32_e32 v18, v18, v19
	v_or3_b32 v16, v16, 0, 0
	v_or3_b32 v17, v18, v21, v17
.LBB1_322:                              ;   in Loop: Header=BB1_282 Depth=1
	s_or_b64 exec, exec, s[4:5]
	v_cmp_gt_u32_e32 vcc, 8, v20
                                        ; implicit-def: $vgpr18_vgpr19
                                        ; implicit-def: $sgpr14
	s_and_saveexec_b64 s[4:5], vcc
	s_xor_b64 s[4:5], exec, s[4:5]
	s_cbranch_execz .LBB1_328
; %bb.323:                              ;   in Loop: Header=BB1_282 Depth=1
	v_cmp_ne_u32_e32 vcc, 0, v20
	v_pk_mov_b32 v[18:19], 0, 0
	s_and_saveexec_b64 s[14:15], vcc
	s_cbranch_execz .LBB1_327
; %bb.324:                              ;   in Loop: Header=BB1_282 Depth=1
	s_mov_b64 s[16:17], 0
	v_pk_mov_b32 v[18:19], 0, 0
	s_mov_b64 s[18:19], 0
	s_mov_b64 s[20:21], 0
.LBB1_325:                              ;   Parent Loop BB1_282 Depth=1
                                        ; =>  This Inner Loop Header: Depth=2
	v_mov_b32_e32 v21, s21
	v_add_co_u32_e32 v22, vcc, s20, v6
	v_addc_co_u32_e32 v23, vcc, v7, v21, vcc
	flat_load_ubyte v21, v[22:23]
	s_add_u32 s20, s20, 1
	v_mov_b32_e32 v23, s22
	s_addc_u32 s21, s21, 0
	v_cmp_eq_u32_e32 vcc, s20, v20
	s_waitcnt vmcnt(0) lgkmcnt(0)
	v_and_b32_e32 v22, 0xffff, v21
	v_lshlrev_b64 v[22:23], s18, v[22:23]
	s_add_u32 s18, s18, 8
	s_addc_u32 s19, s19, 0
	v_or_b32_e32 v19, v23, v19
	s_or_b64 s[16:17], vcc, s[16:17]
	v_or_b32_e32 v18, v22, v18
	s_andn2_b64 exec, exec, s[16:17]
	s_cbranch_execnz .LBB1_325
; %bb.326:                              ;   in Loop: Header=BB1_282 Depth=1
	s_or_b64 exec, exec, s[16:17]
.LBB1_327:                              ;   in Loop: Header=BB1_282 Depth=1
	s_or_b64 exec, exec, s[14:15]
	s_mov_b32 s14, 0
                                        ; implicit-def: $vgpr20
.LBB1_328:                              ;   in Loop: Header=BB1_282 Depth=1
	s_or_saveexec_b64 s[4:5], s[4:5]
	v_mov_b32_e32 v22, s14
	s_xor_b64 exec, exec, s[4:5]
	s_cbranch_execz .LBB1_330
; %bb.329:                              ;   in Loop: Header=BB1_282 Depth=1
	flat_load_dwordx2 v[18:19], v[6:7]
	v_add_u32_e32 v22, -8, v20
	v_add_co_u32_e32 v6, vcc, 8, v6
	v_addc_co_u32_e32 v7, vcc, 0, v7, vcc
	s_waitcnt vmcnt(0) lgkmcnt(0)
	v_and_b32_e32 v20, 0xff, v19
	v_and_b32_e32 v21, 0xff00, v19
	;; [unrolled: 1-line block ×4, first 2 shown]
	v_or_b32_e32 v20, v20, v21
	v_or3_b32 v18, v18, 0, 0
	v_or3_b32 v19, v20, v23, v19
.LBB1_330:                              ;   in Loop: Header=BB1_282 Depth=1
	s_or_b64 exec, exec, s[4:5]
	v_cmp_gt_u32_e32 vcc, 8, v22
	s_and_saveexec_b64 s[4:5], vcc
	s_xor_b64 s[4:5], exec, s[4:5]
	s_cbranch_execz .LBB1_336
; %bb.331:                              ;   in Loop: Header=BB1_282 Depth=1
	v_cmp_ne_u32_e32 vcc, 0, v22
	v_pk_mov_b32 v[20:21], 0, 0
	s_and_saveexec_b64 s[14:15], vcc
	s_cbranch_execz .LBB1_335
; %bb.332:                              ;   in Loop: Header=BB1_282 Depth=1
	s_mov_b64 s[16:17], 0
	v_pk_mov_b32 v[20:21], 0, 0
	s_mov_b64 s[18:19], 0
.LBB1_333:                              ;   Parent Loop BB1_282 Depth=1
                                        ; =>  This Inner Loop Header: Depth=2
	flat_load_ubyte v23, v[6:7]
	v_mov_b32_e32 v25, s22
	v_add_co_u32_e32 v6, vcc, 1, v6
	v_add_u32_e32 v22, -1, v22
	v_addc_co_u32_e32 v7, vcc, 0, v7, vcc
	v_cmp_eq_u32_e32 vcc, 0, v22
	s_waitcnt vmcnt(0) lgkmcnt(0)
	v_and_b32_e32 v24, 0xffff, v23
	v_lshlrev_b64 v[24:25], s18, v[24:25]
	s_add_u32 s18, s18, 8
	s_addc_u32 s19, s19, 0
	v_or_b32_e32 v21, v25, v21
	s_or_b64 s[16:17], vcc, s[16:17]
	v_or_b32_e32 v20, v24, v20
	s_andn2_b64 exec, exec, s[16:17]
	s_cbranch_execnz .LBB1_333
; %bb.334:                              ;   in Loop: Header=BB1_282 Depth=1
	s_or_b64 exec, exec, s[16:17]
.LBB1_335:                              ;   in Loop: Header=BB1_282 Depth=1
	s_or_b64 exec, exec, s[14:15]
                                        ; implicit-def: $vgpr6_vgpr7
.LBB1_336:                              ;   in Loop: Header=BB1_282 Depth=1
	s_andn2_saveexec_b64 s[4:5], s[4:5]
	s_cbranch_execz .LBB1_338
; %bb.337:                              ;   in Loop: Header=BB1_282 Depth=1
	flat_load_dwordx2 v[6:7], v[6:7]
	s_waitcnt vmcnt(0) lgkmcnt(0)
	v_and_b32_e32 v20, 0xff, v7
	v_and_b32_e32 v21, 0xff00, v7
	;; [unrolled: 1-line block ×4, first 2 shown]
	v_or_b32_e32 v20, v20, v21
	v_or3_b32 v21, v20, v22, v7
	v_or3_b32 v20, v6, 0, 0
.LBB1_338:                              ;   in Loop: Header=BB1_282 Depth=1
	s_or_b64 exec, exec, s[4:5]
	v_readfirstlane_b32 s4, v37
	v_cmp_eq_u32_e64 s[4:5], s4, v37
	v_pk_mov_b32 v[6:7], 0, 0
	s_and_saveexec_b64 s[14:15], s[4:5]
	s_cbranch_execz .LBB1_344
; %bb.339:                              ;   in Loop: Header=BB1_282 Depth=1
	global_load_dwordx2 v[24:25], v31, s[10:11] offset:24 glc
	s_waitcnt vmcnt(0)
	buffer_invl2
	buffer_wbinvl1_vol
	global_load_dwordx2 v[6:7], v31, s[10:11] offset:40
	global_load_dwordx2 v[22:23], v31, s[10:11]
	s_waitcnt vmcnt(1)
	v_and_b32_e32 v6, v6, v24
	v_and_b32_e32 v7, v7, v25
	v_mul_lo_u32 v7, v7, 24
	v_mul_hi_u32 v29, v6, 24
	v_mul_lo_u32 v6, v6, 24
	v_add_u32_e32 v7, v29, v7
	s_waitcnt vmcnt(0)
	v_add_co_u32_e32 v6, vcc, v22, v6
	v_addc_co_u32_e32 v7, vcc, v23, v7, vcc
	global_load_dwordx2 v[22:23], v[6:7], off glc
	s_waitcnt vmcnt(0)
	global_atomic_cmpswap_x2 v[6:7], v31, v[22:25], s[10:11] offset:24 glc
	s_waitcnt vmcnt(0)
	buffer_invl2
	buffer_wbinvl1_vol
	v_cmp_ne_u64_e32 vcc, v[6:7], v[24:25]
	s_and_saveexec_b64 s[16:17], vcc
	s_cbranch_execz .LBB1_343
; %bb.340:                              ;   in Loop: Header=BB1_282 Depth=1
	s_mov_b64 s[18:19], 0
.LBB1_341:                              ;   Parent Loop BB1_282 Depth=1
                                        ; =>  This Inner Loop Header: Depth=2
	s_sleep 1
	global_load_dwordx2 v[22:23], v31, s[10:11] offset:40
	global_load_dwordx2 v[34:35], v31, s[10:11]
	v_pk_mov_b32 v[24:25], v[6:7], v[6:7] op_sel:[0,1]
	s_waitcnt vmcnt(1)
	v_and_b32_e32 v6, v22, v24
	s_waitcnt vmcnt(0)
	v_mad_u64_u32 v[6:7], s[20:21], v6, 24, v[34:35]
	v_and_b32_e32 v23, v23, v25
	v_mov_b32_e32 v22, v7
	v_mad_u64_u32 v[22:23], s[20:21], v23, 24, v[22:23]
	v_mov_b32_e32 v7, v22
	global_load_dwordx2 v[22:23], v[6:7], off glc
	s_waitcnt vmcnt(0)
	global_atomic_cmpswap_x2 v[6:7], v31, v[22:25], s[10:11] offset:24 glc
	s_waitcnt vmcnt(0)
	buffer_invl2
	buffer_wbinvl1_vol
	v_cmp_eq_u64_e32 vcc, v[6:7], v[24:25]
	s_or_b64 s[18:19], vcc, s[18:19]
	s_andn2_b64 exec, exec, s[18:19]
	s_cbranch_execnz .LBB1_341
; %bb.342:                              ;   in Loop: Header=BB1_282 Depth=1
	s_or_b64 exec, exec, s[18:19]
.LBB1_343:                              ;   in Loop: Header=BB1_282 Depth=1
	s_or_b64 exec, exec, s[16:17]
.LBB1_344:                              ;   in Loop: Header=BB1_282 Depth=1
	s_or_b64 exec, exec, s[14:15]
	global_load_dwordx2 v[34:35], v31, s[10:11] offset:40
	global_load_dwordx4 v[22:25], v31, s[10:11]
	v_readfirstlane_b32 s14, v6
	v_readfirstlane_b32 s15, v7
	s_mov_b64 s[16:17], exec
	s_waitcnt vmcnt(1)
	v_readfirstlane_b32 s18, v34
	v_readfirstlane_b32 s19, v35
	s_and_b64 s[18:19], s[14:15], s[18:19]
	s_mul_i32 s20, s19, 24
	s_mul_hi_u32 s21, s18, 24
	s_mul_i32 s24, s18, 24
	s_add_i32 s20, s21, s20
	v_mov_b32_e32 v6, s20
	s_waitcnt vmcnt(0)
	v_add_co_u32_e32 v34, vcc, s24, v22
	v_addc_co_u32_e32 v35, vcc, v23, v6, vcc
	s_and_saveexec_b64 s[20:21], s[4:5]
	s_cbranch_execz .LBB1_346
; %bb.345:                              ;   in Loop: Header=BB1_282 Depth=1
	v_pk_mov_b32 v[6:7], s[16:17], s[16:17] op_sel:[0,1]
	global_store_dwordx4 v[34:35], v[6:9], off offset:8
.LBB1_346:                              ;   in Loop: Header=BB1_282 Depth=1
	s_or_b64 exec, exec, s[20:21]
	s_lshl_b64 s[16:17], s[18:19], 12
	v_mov_b32_e32 v7, s17
	v_add_co_u32_e32 v6, vcc, s16, v24
	v_addc_co_u32_e32 v7, vcc, v25, v7, vcc
	v_or_b32_e32 v24, 0, v1
	v_cmp_lt_u64_e32 vcc, 56, v[26:27]
	v_or_b32_e32 v25, v0, v28
	v_cndmask_b32_e32 v1, v24, v1, vcc
	v_lshl_add_u32 v24, v32, 2, 28
	v_cndmask_b32_e32 v0, v25, v0, vcc
	v_and_b32_e32 v24, 0x1e0, v24
	v_and_or_b32 v0, v0, s23, v24
	v_readfirstlane_b32 s16, v6
	v_readfirstlane_b32 s17, v7
	s_nop 4
	global_store_dwordx4 v36, v[0:3], s[16:17]
	global_store_dwordx4 v36, v[10:13], s[16:17] offset:16
	global_store_dwordx4 v36, v[14:17], s[16:17] offset:32
	;; [unrolled: 1-line block ×3, first 2 shown]
	s_and_saveexec_b64 s[16:17], s[4:5]
	s_cbranch_execz .LBB1_354
; %bb.347:                              ;   in Loop: Header=BB1_282 Depth=1
	global_load_dwordx2 v[14:15], v31, s[10:11] offset:32 glc
	global_load_dwordx2 v[0:1], v31, s[10:11] offset:40
	v_mov_b32_e32 v12, s14
	v_mov_b32_e32 v13, s15
	s_waitcnt vmcnt(0)
	v_readfirstlane_b32 s18, v0
	v_readfirstlane_b32 s19, v1
	s_and_b64 s[18:19], s[18:19], s[14:15]
	s_mul_i32 s19, s19, 24
	s_mul_hi_u32 s20, s18, 24
	s_mul_i32 s18, s18, 24
	s_add_i32 s19, s20, s19
	v_mov_b32_e32 v0, s19
	v_add_co_u32_e32 v10, vcc, s18, v22
	v_addc_co_u32_e32 v11, vcc, v23, v0, vcc
	global_store_dwordx2 v[10:11], v[14:15], off
	buffer_wbl2
	s_waitcnt vmcnt(0)
	global_atomic_cmpswap_x2 v[2:3], v31, v[12:15], s[10:11] offset:32 glc
	s_waitcnt vmcnt(0)
	v_cmp_ne_u64_e32 vcc, v[2:3], v[14:15]
	s_and_saveexec_b64 s[18:19], vcc
	s_cbranch_execz .LBB1_350
; %bb.348:                              ;   in Loop: Header=BB1_282 Depth=1
	s_mov_b64 s[20:21], 0
.LBB1_349:                              ;   Parent Loop BB1_282 Depth=1
                                        ; =>  This Inner Loop Header: Depth=2
	s_sleep 1
	global_store_dwordx2 v[10:11], v[2:3], off
	v_mov_b32_e32 v0, s14
	v_mov_b32_e32 v1, s15
	buffer_wbl2
	s_waitcnt vmcnt(0)
	global_atomic_cmpswap_x2 v[0:1], v31, v[0:3], s[10:11] offset:32 glc
	s_waitcnt vmcnt(0)
	v_cmp_eq_u64_e32 vcc, v[0:1], v[2:3]
	s_or_b64 s[20:21], vcc, s[20:21]
	v_pk_mov_b32 v[2:3], v[0:1], v[0:1] op_sel:[0,1]
	s_andn2_b64 exec, exec, s[20:21]
	s_cbranch_execnz .LBB1_349
.LBB1_350:                              ;   in Loop: Header=BB1_282 Depth=1
	s_or_b64 exec, exec, s[18:19]
	global_load_dwordx2 v[0:1], v31, s[10:11] offset:16
	s_mov_b64 s[20:21], exec
	v_mbcnt_lo_u32_b32 v2, s20, 0
	v_mbcnt_hi_u32_b32 v2, s21, v2
	v_cmp_eq_u32_e32 vcc, 0, v2
	s_and_saveexec_b64 s[18:19], vcc
	s_cbranch_execz .LBB1_352
; %bb.351:                              ;   in Loop: Header=BB1_282 Depth=1
	s_bcnt1_i32_b64 s20, s[20:21]
	v_mov_b32_e32 v30, s20
	buffer_wbl2
	s_waitcnt vmcnt(0)
	global_atomic_add_x2 v[0:1], v[30:31], off offset:8
.LBB1_352:                              ;   in Loop: Header=BB1_282 Depth=1
	s_or_b64 exec, exec, s[18:19]
	s_waitcnt vmcnt(0)
	global_load_dwordx2 v[2:3], v[0:1], off offset:16
	s_waitcnt vmcnt(0)
	v_cmp_eq_u64_e32 vcc, 0, v[2:3]
	s_cbranch_vccnz .LBB1_354
; %bb.353:                              ;   in Loop: Header=BB1_282 Depth=1
	global_load_dword v30, v[0:1], off offset:24
	s_waitcnt vmcnt(0)
	v_and_b32_e32 v0, 0xffffff, v30
	v_readfirstlane_b32 m0, v0
	buffer_wbl2
	global_store_dwordx2 v[2:3], v[30:31], off
	s_sendmsg sendmsg(MSG_INTERRUPT)
.LBB1_354:                              ;   in Loop: Header=BB1_282 Depth=1
	s_or_b64 exec, exec, s[16:17]
	v_add_co_u32_e32 v0, vcc, v6, v36
	v_addc_co_u32_e32 v1, vcc, 0, v7, vcc
	s_branch .LBB1_358
.LBB1_355:                              ;   in Loop: Header=BB1_358 Depth=2
	s_or_b64 exec, exec, s[16:17]
	v_readfirstlane_b32 s16, v2
	s_cmp_eq_u32 s16, 0
	s_cbranch_scc1 .LBB1_357
; %bb.356:                              ;   in Loop: Header=BB1_358 Depth=2
	s_sleep 1
	s_cbranch_execnz .LBB1_358
	s_branch .LBB1_360
.LBB1_357:                              ;   in Loop: Header=BB1_282 Depth=1
	s_branch .LBB1_360
.LBB1_358:                              ;   Parent Loop BB1_282 Depth=1
                                        ; =>  This Inner Loop Header: Depth=2
	v_mov_b32_e32 v2, 1
	s_and_saveexec_b64 s[16:17], s[4:5]
	s_cbranch_execz .LBB1_355
; %bb.359:                              ;   in Loop: Header=BB1_358 Depth=2
	global_load_dword v2, v[34:35], off offset:20 glc
	s_waitcnt vmcnt(0)
	buffer_invl2
	buffer_wbinvl1_vol
	v_and_b32_e32 v2, 1, v2
	s_branch .LBB1_355
.LBB1_360:                              ;   in Loop: Header=BB1_282 Depth=1
	global_load_dwordx4 v[0:3], v[0:1], off
	s_and_saveexec_b64 s[16:17], s[4:5]
	s_cbranch_execz .LBB1_281
; %bb.361:                              ;   in Loop: Header=BB1_282 Depth=1
	global_load_dwordx2 v[2:3], v31, s[10:11] offset:40
	global_load_dwordx2 v[6:7], v31, s[10:11] offset:24 glc
	global_load_dwordx2 v[14:15], v31, s[10:11]
	v_mov_b32_e32 v11, s15
	s_waitcnt vmcnt(2)
	v_add_co_u32_e32 v13, vcc, 1, v2
	v_addc_co_u32_e32 v16, vcc, 0, v3, vcc
	v_add_co_u32_e32 v10, vcc, s14, v13
	v_addc_co_u32_e32 v11, vcc, v16, v11, vcc
	v_cmp_eq_u64_e32 vcc, 0, v[10:11]
	v_cndmask_b32_e32 v11, v11, v16, vcc
	v_cndmask_b32_e32 v10, v10, v13, vcc
	v_and_b32_e32 v3, v11, v3
	v_and_b32_e32 v2, v10, v2
	v_mul_lo_u32 v3, v3, 24
	v_mul_hi_u32 v13, v2, 24
	v_mul_lo_u32 v2, v2, 24
	v_add_u32_e32 v3, v13, v3
	s_waitcnt vmcnt(0)
	v_add_co_u32_e32 v2, vcc, v14, v2
	v_addc_co_u32_e32 v3, vcc, v15, v3, vcc
	v_mov_b32_e32 v12, v6
	global_store_dwordx2 v[2:3], v[6:7], off
	v_mov_b32_e32 v13, v7
	buffer_wbl2
	s_waitcnt vmcnt(0)
	global_atomic_cmpswap_x2 v[12:13], v31, v[10:13], s[10:11] offset:24 glc
	s_waitcnt vmcnt(0)
	v_cmp_ne_u64_e32 vcc, v[12:13], v[6:7]
	s_and_b64 exec, exec, vcc
	s_cbranch_execz .LBB1_281
; %bb.362:                              ;   in Loop: Header=BB1_282 Depth=1
	s_mov_b64 s[4:5], 0
.LBB1_363:                              ;   Parent Loop BB1_282 Depth=1
                                        ; =>  This Inner Loop Header: Depth=2
	s_sleep 1
	global_store_dwordx2 v[2:3], v[12:13], off
	buffer_wbl2
	s_waitcnt vmcnt(0)
	global_atomic_cmpswap_x2 v[6:7], v31, v[10:13], s[10:11] offset:24 glc
	s_waitcnt vmcnt(0)
	v_cmp_eq_u64_e32 vcc, v[6:7], v[12:13]
	s_or_b64 s[4:5], vcc, s[4:5]
	v_pk_mov_b32 v[12:13], v[6:7], v[6:7] op_sel:[0,1]
	s_andn2_b64 exec, exec, s[4:5]
	s_cbranch_execnz .LBB1_363
	s_branch .LBB1_281
.LBB1_364:
	s_or_b64 exec, exec, s[6:7]
                                        ; implicit-def: $vgpr36
                                        ; implicit-def: $vgpr37
.LBB1_365:
	s_andn2_saveexec_b64 s[6:7], s[12:13]
	s_cbranch_execz .LBB1_392
; %bb.366:
	v_readfirstlane_b32 s4, v37
	v_cmp_eq_u32_e64 s[4:5], s4, v37
	v_pk_mov_b32 v[8:9], 0, 0
	s_and_saveexec_b64 s[12:13], s[4:5]
	s_cbranch_execz .LBB1_372
; %bb.367:
	s_waitcnt vmcnt(0)
	v_mov_b32_e32 v2, 0
	global_load_dwordx2 v[6:7], v2, s[10:11] offset:24 glc
	s_waitcnt vmcnt(0)
	buffer_invl2
	buffer_wbinvl1_vol
	global_load_dwordx2 v[4:5], v2, s[10:11] offset:40
	global_load_dwordx2 v[8:9], v2, s[10:11]
	s_waitcnt vmcnt(1)
	v_and_b32_e32 v3, v4, v6
	v_and_b32_e32 v4, v5, v7
	v_mul_lo_u32 v4, v4, 24
	v_mul_hi_u32 v5, v3, 24
	v_mul_lo_u32 v3, v3, 24
	v_add_u32_e32 v5, v5, v4
	s_waitcnt vmcnt(0)
	v_add_co_u32_e32 v4, vcc, v8, v3
	v_addc_co_u32_e32 v5, vcc, v9, v5, vcc
	global_load_dwordx2 v[4:5], v[4:5], off glc
	s_waitcnt vmcnt(0)
	global_atomic_cmpswap_x2 v[8:9], v2, v[4:7], s[10:11] offset:24 glc
	s_waitcnt vmcnt(0)
	buffer_invl2
	buffer_wbinvl1_vol
	v_cmp_ne_u64_e32 vcc, v[8:9], v[6:7]
	s_and_saveexec_b64 s[14:15], vcc
	s_cbranch_execz .LBB1_371
; %bb.368:
	s_mov_b64 s[16:17], 0
.LBB1_369:                              ; =>This Inner Loop Header: Depth=1
	s_sleep 1
	global_load_dwordx2 v[4:5], v2, s[10:11] offset:40
	global_load_dwordx2 v[10:11], v2, s[10:11]
	v_pk_mov_b32 v[6:7], v[8:9], v[8:9] op_sel:[0,1]
	s_waitcnt vmcnt(1)
	v_and_b32_e32 v4, v4, v6
	v_and_b32_e32 v3, v5, v7
	s_waitcnt vmcnt(0)
	v_mad_u64_u32 v[4:5], s[18:19], v4, 24, v[10:11]
	v_mov_b32_e32 v8, v5
	v_mad_u64_u32 v[8:9], s[18:19], v3, 24, v[8:9]
	v_mov_b32_e32 v5, v8
	global_load_dwordx2 v[4:5], v[4:5], off glc
	s_waitcnt vmcnt(0)
	global_atomic_cmpswap_x2 v[8:9], v2, v[4:7], s[10:11] offset:24 glc
	s_waitcnt vmcnt(0)
	buffer_invl2
	buffer_wbinvl1_vol
	v_cmp_eq_u64_e32 vcc, v[8:9], v[6:7]
	s_or_b64 s[16:17], vcc, s[16:17]
	s_andn2_b64 exec, exec, s[16:17]
	s_cbranch_execnz .LBB1_369
; %bb.370:
	s_or_b64 exec, exec, s[16:17]
.LBB1_371:
	s_or_b64 exec, exec, s[14:15]
.LBB1_372:
	s_or_b64 exec, exec, s[12:13]
	s_waitcnt vmcnt(0)
	v_mov_b32_e32 v2, 0
	global_load_dwordx2 v[10:11], v2, s[10:11] offset:40
	global_load_dwordx4 v[4:7], v2, s[10:11]
	v_readfirstlane_b32 s12, v8
	v_readfirstlane_b32 s13, v9
	s_mov_b64 s[14:15], exec
	s_waitcnt vmcnt(1)
	v_readfirstlane_b32 s16, v10
	v_readfirstlane_b32 s17, v11
	s_and_b64 s[16:17], s[12:13], s[16:17]
	s_mul_i32 s18, s17, 24
	s_mul_hi_u32 s19, s16, 24
	s_mul_i32 s20, s16, 24
	s_add_i32 s18, s19, s18
	v_mov_b32_e32 v3, s18
	s_waitcnt vmcnt(0)
	v_add_co_u32_e32 v8, vcc, s20, v4
	v_addc_co_u32_e32 v9, vcc, v5, v3, vcc
	s_and_saveexec_b64 s[18:19], s[4:5]
	s_cbranch_execz .LBB1_374
; %bb.373:
	v_pk_mov_b32 v[10:11], s[14:15], s[14:15] op_sel:[0,1]
	v_mov_b32_e32 v12, 2
	v_mov_b32_e32 v13, 1
	global_store_dwordx4 v[8:9], v[10:13], off offset:8
.LBB1_374:
	s_or_b64 exec, exec, s[18:19]
	s_lshl_b64 s[14:15], s[16:17], 12
	v_mov_b32_e32 v3, s15
	v_add_co_u32_e32 v10, vcc, s14, v6
	v_addc_co_u32_e32 v11, vcc, v7, v3, vcc
	s_movk_i32 s14, 0xff1f
	s_mov_b32 s16, 0
	v_and_or_b32 v0, v0, s14, 32
	v_mov_b32_e32 v3, v2
	v_readfirstlane_b32 s14, v10
	v_readfirstlane_b32 s15, v11
	s_mov_b32 s17, s16
	v_add_co_u32_e32 v6, vcc, v10, v36
	s_mov_b32 s18, s16
	s_mov_b32 s19, s16
	s_nop 0
	global_store_dwordx4 v36, v[0:3], s[14:15]
	v_addc_co_u32_e32 v7, vcc, 0, v11, vcc
	v_pk_mov_b32 v[0:1], s[16:17], s[16:17] op_sel:[0,1]
	v_pk_mov_b32 v[2:3], s[18:19], s[18:19] op_sel:[0,1]
	global_store_dwordx4 v36, v[0:3], s[14:15] offset:16
	global_store_dwordx4 v36, v[0:3], s[14:15] offset:32
	;; [unrolled: 1-line block ×3, first 2 shown]
	s_and_saveexec_b64 s[14:15], s[4:5]
	s_cbranch_execz .LBB1_382
; %bb.375:
	v_mov_b32_e32 v10, 0
	global_load_dwordx2 v[14:15], v10, s[10:11] offset:32 glc
	global_load_dwordx2 v[0:1], v10, s[10:11] offset:40
	v_mov_b32_e32 v12, s12
	v_mov_b32_e32 v13, s13
	s_waitcnt vmcnt(0)
	v_readfirstlane_b32 s16, v0
	v_readfirstlane_b32 s17, v1
	s_and_b64 s[16:17], s[16:17], s[12:13]
	s_mul_i32 s17, s17, 24
	s_mul_hi_u32 s18, s16, 24
	s_mul_i32 s16, s16, 24
	s_add_i32 s17, s18, s17
	v_mov_b32_e32 v0, s17
	v_add_co_u32_e32 v4, vcc, s16, v4
	v_addc_co_u32_e32 v5, vcc, v5, v0, vcc
	global_store_dwordx2 v[4:5], v[14:15], off
	buffer_wbl2
	s_waitcnt vmcnt(0)
	global_atomic_cmpswap_x2 v[2:3], v10, v[12:15], s[10:11] offset:32 glc
	s_waitcnt vmcnt(0)
	v_cmp_ne_u64_e32 vcc, v[2:3], v[14:15]
	s_and_saveexec_b64 s[16:17], vcc
	s_cbranch_execz .LBB1_378
; %bb.376:
	s_mov_b64 s[18:19], 0
.LBB1_377:                              ; =>This Inner Loop Header: Depth=1
	s_sleep 1
	global_store_dwordx2 v[4:5], v[2:3], off
	v_mov_b32_e32 v0, s12
	v_mov_b32_e32 v1, s13
	buffer_wbl2
	s_waitcnt vmcnt(0)
	global_atomic_cmpswap_x2 v[0:1], v10, v[0:3], s[10:11] offset:32 glc
	s_waitcnt vmcnt(0)
	v_cmp_eq_u64_e32 vcc, v[0:1], v[2:3]
	s_or_b64 s[18:19], vcc, s[18:19]
	v_pk_mov_b32 v[2:3], v[0:1], v[0:1] op_sel:[0,1]
	s_andn2_b64 exec, exec, s[18:19]
	s_cbranch_execnz .LBB1_377
.LBB1_378:
	s_or_b64 exec, exec, s[16:17]
	v_mov_b32_e32 v3, 0
	global_load_dwordx2 v[0:1], v3, s[10:11] offset:16
	s_mov_b64 s[16:17], exec
	v_mbcnt_lo_u32_b32 v2, s16, 0
	v_mbcnt_hi_u32_b32 v2, s17, v2
	v_cmp_eq_u32_e32 vcc, 0, v2
	s_and_saveexec_b64 s[18:19], vcc
	s_cbranch_execz .LBB1_380
; %bb.379:
	s_bcnt1_i32_b64 s16, s[16:17]
	v_mov_b32_e32 v2, s16
	buffer_wbl2
	s_waitcnt vmcnt(0)
	global_atomic_add_x2 v[0:1], v[2:3], off offset:8
.LBB1_380:
	s_or_b64 exec, exec, s[18:19]
	s_waitcnt vmcnt(0)
	global_load_dwordx2 v[2:3], v[0:1], off offset:16
	s_waitcnt vmcnt(0)
	v_cmp_eq_u64_e32 vcc, 0, v[2:3]
	s_cbranch_vccnz .LBB1_382
; %bb.381:
	global_load_dword v0, v[0:1], off offset:24
	v_mov_b32_e32 v1, 0
	buffer_wbl2
	s_waitcnt vmcnt(0)
	global_store_dwordx2 v[2:3], v[0:1], off
	v_and_b32_e32 v0, 0xffffff, v0
	v_readfirstlane_b32 m0, v0
	s_sendmsg sendmsg(MSG_INTERRUPT)
.LBB1_382:
	s_or_b64 exec, exec, s[14:15]
	s_branch .LBB1_386
.LBB1_383:                              ;   in Loop: Header=BB1_386 Depth=1
	s_or_b64 exec, exec, s[14:15]
	v_readfirstlane_b32 s14, v0
	s_cmp_eq_u32 s14, 0
	s_cbranch_scc1 .LBB1_385
; %bb.384:                              ;   in Loop: Header=BB1_386 Depth=1
	s_sleep 1
	s_cbranch_execnz .LBB1_386
	s_branch .LBB1_388
.LBB1_385:
	s_branch .LBB1_388
.LBB1_386:                              ; =>This Inner Loop Header: Depth=1
	v_mov_b32_e32 v0, 1
	s_and_saveexec_b64 s[14:15], s[4:5]
	s_cbranch_execz .LBB1_383
; %bb.387:                              ;   in Loop: Header=BB1_386 Depth=1
	global_load_dword v0, v[8:9], off offset:20 glc
	s_waitcnt vmcnt(0)
	buffer_invl2
	buffer_wbinvl1_vol
	v_and_b32_e32 v0, 1, v0
	s_branch .LBB1_383
.LBB1_388:
	global_load_dwordx2 v[0:1], v[6:7], off
	s_and_saveexec_b64 s[14:15], s[4:5]
	s_cbranch_execz .LBB1_391
; %bb.389:
	v_mov_b32_e32 v8, 0
	global_load_dwordx2 v[6:7], v8, s[10:11] offset:40
	global_load_dwordx2 v[10:11], v8, s[10:11] offset:24 glc
	global_load_dwordx2 v[12:13], v8, s[10:11]
	v_mov_b32_e32 v3, s13
	s_mov_b64 s[4:5], 0
	s_waitcnt vmcnt(2)
	v_add_co_u32_e32 v5, vcc, 1, v6
	v_addc_co_u32_e32 v9, vcc, 0, v7, vcc
	v_add_co_u32_e32 v2, vcc, s12, v5
	v_addc_co_u32_e32 v3, vcc, v9, v3, vcc
	v_cmp_eq_u64_e32 vcc, 0, v[2:3]
	v_cndmask_b32_e32 v3, v3, v9, vcc
	v_cndmask_b32_e32 v2, v2, v5, vcc
	v_and_b32_e32 v5, v3, v7
	v_and_b32_e32 v6, v2, v6
	v_mul_lo_u32 v5, v5, 24
	v_mul_hi_u32 v7, v6, 24
	v_mul_lo_u32 v6, v6, 24
	v_add_u32_e32 v5, v7, v5
	s_waitcnt vmcnt(0)
	v_add_co_u32_e32 v6, vcc, v12, v6
	v_addc_co_u32_e32 v7, vcc, v13, v5, vcc
	v_mov_b32_e32 v4, v10
	global_store_dwordx2 v[6:7], v[10:11], off
	v_mov_b32_e32 v5, v11
	buffer_wbl2
	s_waitcnt vmcnt(0)
	global_atomic_cmpswap_x2 v[4:5], v8, v[2:5], s[10:11] offset:24 glc
	s_waitcnt vmcnt(0)
	v_cmp_ne_u64_e32 vcc, v[4:5], v[10:11]
	s_and_b64 exec, exec, vcc
	s_cbranch_execz .LBB1_391
.LBB1_390:                              ; =>This Inner Loop Header: Depth=1
	s_sleep 1
	global_store_dwordx2 v[6:7], v[4:5], off
	buffer_wbl2
	s_waitcnt vmcnt(0)
	global_atomic_cmpswap_x2 v[10:11], v8, v[2:5], s[10:11] offset:24 glc
	s_waitcnt vmcnt(0)
	v_cmp_eq_u64_e32 vcc, v[10:11], v[4:5]
	s_or_b64 s[4:5], vcc, s[4:5]
	v_pk_mov_b32 v[4:5], v[10:11], v[10:11] op_sel:[0,1]
	s_andn2_b64 exec, exec, s[4:5]
	s_cbranch_execnz .LBB1_390
.LBB1_391:
	s_or_b64 exec, exec, s[14:15]
.LBB1_392:
	s_or_b64 exec, exec, s[6:7]
	s_getpc_b64 s[4:5]
	s_add_u32 s4, s4, .str.1@rel32@lo+4
	s_addc_u32 s5, s5, .str.1@rel32@hi+12
	s_getpc_b64 s[6:7]
	s_add_u32 s6, s6, .str.1@rel32@lo+32
	s_addc_u32 s7, s7, .str.1@rel32@hi+40
	s_sub_i32 s10, s6, s4
	s_ashr_i32 s11, s10, 31
	s_waitcnt vmcnt(0)
	v_mov_b32_e32 v2, s4
	v_mov_b32_e32 v3, s5
	;; [unrolled: 1-line block ×5, first 2 shown]
	s_getpc_b64 s[6:7]
	s_add_u32 s6, s6, __ockl_fprintf_append_string_n@rel32@lo+4
	s_addc_u32 s7, s7, __ockl_fprintf_append_string_n@rel32@hi+12
	s_swappc_b64 s[30:31], s[6:7]
	s_trap 2
.Lfunc_end1:
	.size	__assert_fail, .Lfunc_end1-__assert_fail
                                        ; -- End function
	.section	.AMDGPU.csdata,"",@progbits
; Function info:
; codeLenInByte = 15360
; NumSgprs: 38
; NumVgprs: 41
; NumAgprs: 0
; TotalNumVgprs: 41
; ScratchSize: 64
; MemoryBound: 0
	.text
	.p2align	2                               ; -- Begin function _ZN12_GLOBAL__N_17runRingI14__hip_fp8_e5m210FuncMinMaxIS1_E11ProtoSimpleILi2ELi2ELi0ELi1ELi0ELi0EELi0ELi0ELi1ELi0EEEviiP15ncclDevWorkColl
	.type	_ZN12_GLOBAL__N_17runRingI14__hip_fp8_e5m210FuncMinMaxIS1_E11ProtoSimpleILi2ELi2ELi0ELi1ELi0ELi0EELi0ELi0ELi1ELi0EEEviiP15ncclDevWorkColl,@function
_ZN12_GLOBAL__N_17runRingI14__hip_fp8_e5m210FuncMinMaxIS1_E11ProtoSimpleILi2ELi2ELi0ELi1ELi0ELi0EELi0ELi0ELi1ELi0EEEviiP15ncclDevWorkColl: ; @_ZN12_GLOBAL__N_17runRingI14__hip_fp8_e5m210FuncMinMaxIS1_E11ProtoSimpleILi2ELi2ELi0ELi1ELi0ELi0EELi0ELi0ELi1ELi0EEEviiP15ncclDevWorkColl
; %bb.0:
	s_waitcnt vmcnt(0) expcnt(0) lgkmcnt(0)
	s_mov_b32 s4, s33
	s_mov_b32 s33, s32
	s_or_saveexec_b64 s[6:7], -1
	buffer_store_dword v63, off, s[0:3], s33 offset:176 ; 4-byte Folded Spill
	buffer_store_dword v62, off, s[0:3], s33 offset:180 ; 4-byte Folded Spill
	buffer_store_dword v61, off, s[0:3], s33 offset:184 ; 4-byte Folded Spill
	s_mov_b64 exec, s[6:7]
	v_writelane_b32 v62, s4, 2
	s_addk_i32 s32, 0x3000
	buffer_store_dword v40, off, s[0:3], s33 offset:168 ; 4-byte Folded Spill
	buffer_store_dword v41, off, s[0:3], s33 offset:164 ; 4-byte Folded Spill
	;; [unrolled: 1-line block ×42, first 2 shown]
	buffer_store_dword a61, off, s[0:3], s33 ; 4-byte Folded Spill
	v_writelane_b32 v63, s34, 0
	v_writelane_b32 v63, s35, 1
	;; [unrolled: 1-line block ×66, first 2 shown]
	v_mov_b32_e32 v18, v1
	s_trap 2
	flat_load_dword v1, v[2:3]
	ds_read_b32 v6, v0
	v_mov_b32_e32 v40, v0
	s_mov_b64 s[28:29], s[8:9]
                                        ; implicit-def: $vgpr4_vgpr5
                                        ; implicit-def: $agpr4_agpr5
                                        ; implicit-def: $vgpr42_vgpr43
	s_waitcnt lgkmcnt(0)
	v_readfirstlane_b32 s78, v6
	s_waitcnt vmcnt(0)
	v_cmp_ne_u32_sdwa s[4:5], v1, v6 src0_sel:BYTE_0 src1_sel:DWORD
	s_and_saveexec_b64 s[6:7], s[4:5]
	s_xor_b64 s[4:5], exec, s[6:7]
	s_cbranch_execz .LBB2_6
; %bb.1:
	v_not_b32_sdwa v0, v1 dst_sel:DWORD dst_unused:UNUSED_PAD src0_sel:BYTE_0
	v_cmp_ne_u32_sdwa s[6:7], v1, v6 src0_sel:BYTE_1 src1_sel:DWORD
                                        ; implicit-def: $vgpr4_vgpr5
                                        ; implicit-def: $agpr4_agpr5
                                        ; implicit-def: $vgpr42_vgpr43
	s_and_saveexec_b64 s[8:9], s[6:7]
	s_xor_b64 s[6:7], exec, s[8:9]
	s_cbranch_execz .LBB2_3
; %bb.2:
	flat_load_dwordx4 v[8:11], v[2:3] offset:72
	flat_load_dwordx2 v[4:5], v[2:3] offset:96
	v_add_u32_e32 v0, v6, v0
	v_ashrrev_i32_e32 v1, 31, v0
	s_waitcnt vmcnt(0) lgkmcnt(0)
	v_mul_lo_u32 v1, v10, v1
	v_mad_u64_u32 v[6:7], s[8:9], v10, v0, v[8:9]
	v_mul_lo_u32 v0, v11, v0
	v_add3_u32 v7, v0, v7, v1
	v_accvgpr_write_b32 a4, v6
	v_lshrrev_b64 v[4:5], 12, v[4:5]
	v_accvgpr_write_b32 a5, v7
	v_pk_mov_b32 v[42:43], v[10:11], v[10:11] op_sel:[0,1]
                                        ; implicit-def: $vgpr1
                                        ; implicit-def: $vgpr0
.LBB2_3:
	s_andn2_saveexec_b64 s[6:7], s[6:7]
	s_cbranch_execz .LBB2_5
; %bb.4:
	flat_load_dwordx4 v[4:7], v[2:3] offset:72
	flat_load_dwordx4 v[42:45], v[2:3] offset:88
	v_add_u32_sdwa v0, v1, v0 dst_sel:DWORD dst_unused:UNUSED_PAD src0_sel:BYTE_1 src1_sel:DWORD
	v_ashrrev_i32_e32 v1, 31, v0
	s_waitcnt vmcnt(0) lgkmcnt(0)
	v_mul_lo_u32 v1, v6, v1
	v_mad_u64_u32 v[4:5], s[8:9], v6, v0, v[4:5]
	v_mul_lo_u32 v0, v7, v0
	v_add3_u32 v5, v0, v5, v1
	v_accvgpr_write_b32 a4, v4
	v_accvgpr_write_b32 a5, v5
	v_lshrrev_b32_e32 v4, 1, v45
.LBB2_5:
	s_or_b64 exec, exec, s[6:7]
.LBB2_6:
	s_andn2_saveexec_b64 s[4:5], s[4:5]
	s_cbranch_execz .LBB2_8
; %bb.7:
	flat_load_dwordx2 v[0:1], v[2:3] offset:96
	flat_load_dwordx2 v[42:43], v[2:3] offset:72
	s_waitcnt vmcnt(0) lgkmcnt(0)
	v_lshlrev_b64 v[4:5], 9, v[0:1]
	v_pk_mov_b32 v[0:1], 0, 0
	v_accvgpr_write_b32 a5, v1
	v_accvgpr_write_b32 a4, v0
.LBB2_8:
	s_or_b64 exec, exec, s[4:5]
	s_trap 2
	ds_read_b64 v[0:1], v0
	s_waitcnt lgkmcnt(0)
	v_cmp_ne_u32_e32 vcc, -1, v0
	v_cndmask_b32_e64 v0, 0, 1, vcc
	v_cmp_ne_u32_e32 vcc, -1, v1
	v_addc_co_u32_e64 v1, s[4:5], 0, v0, vcc
	v_lshlrev_b32_e32 v5, 1, v1
	v_cmp_le_i32_e64 s[4:5], v5, v18
	s_and_saveexec_b64 s[6:7], s[4:5]
	s_xor_b64 s[6:7], exec, s[6:7]
                                        ; implicit-def: $vgpr61 : SGPR spill to VGPR lane
	v_writelane_b32 v61, s6, 0
	v_writelane_b32 v61, s7, 1
	s_cbranch_execnz .LBB2_9
; %bb.8942:
	s_getpc_b64 s[98:99]
.Lpost_getpc0:
	s_add_u32 s98, s98, (.LBB2_8939-.Lpost_getpc0)&4294967295
	s_addc_u32 s99, s99, (.LBB2_8939-.Lpost_getpc0)>>32
	s_setpc_b64 s[98:99]
.LBB2_9:
	flat_load_dwordx2 v[14:15], v[2:3] offset:104
	flat_load_dwordx4 v[10:13], v[2:3] offset:16
	flat_load_ushort v7, v[2:3] offset:8
	flat_load_dword v6, v[2:3] offset:4
	s_trap 2
	s_load_dword s4, s[28:29], 0x0
	v_mov_b32_e32 v5, 0
	v_mov_b32_e32 v60, 4
	s_waitcnt lgkmcnt(0)
	s_cmp_lt_u32 s12, s4
	s_cselect_b32 s4, 12, 18
	s_add_u32 s4, s28, s4
	s_addc_u32 s5, s29, 0
	global_load_ushort a2, v5, s[4:5]
	ds_read_b32 v5, v0
	v_cmp_ge_i32_e64 s[4:5], v40, v0
	s_waitcnt lgkmcnt(0)
	v_readfirstlane_b32 s8, v5
	s_and_saveexec_b64 s[6:7], s[4:5]
	s_cbranch_execz .LBB2_19
; %bb.10:
	v_cmp_le_u32_e64 s[4:5], v1, v40
                                        ; implicit-def: $vgpr60
	s_and_saveexec_b64 s[10:11], s[4:5]
	s_xor_b64 s[4:5], exec, s[10:11]
	s_cbranch_execz .LBB2_16
; %bb.11:
	v_cndmask_b32_e64 v5, 0, 1, vcc
	v_sub_u32_e32 v5, v18, v5
	v_cmp_ge_u32_e32 vcc, v40, v5
                                        ; implicit-def: $sgpr9
	s_and_saveexec_b64 s[10:11], vcc
	s_xor_b64 s[10:11], exec, s[10:11]
; %bb.12:
	s_mov_b32 s9, 16
                                        ; implicit-def: $vgpr1
; %bb.13:
	s_or_saveexec_b64 s[10:11], s[10:11]
	v_mov_b32_e32 v60, s9
	s_xor_b64 exec, exec, s[10:11]
; %bb.14:
	v_sub_u32_e32 v1, v18, v1
	v_cmp_ge_i32_e32 vcc, v40, v1
	v_cndmask_b32_e64 v1, 0, 1, vcc
	v_lshlrev_b32_e32 v60, 5, v1
; %bb.15:
	s_or_b64 exec, exec, s[10:11]
.LBB2_16:
	s_andn2_saveexec_b64 s[4:5], s[4:5]
; %bb.17:
	v_mov_b32_e32 v60, 8
; %bb.18:
	s_or_b64 exec, exec, s[4:5]
.LBB2_19:
	s_or_b64 exec, exec, s[6:7]
	v_and_b32_e32 v1, 36, v60
	v_cmp_ne_u32_e32 vcc, 0, v1
	v_mov_b32_e32 v8, -1
	s_and_saveexec_b64 s[4:5], vcc
	s_cbranch_execz .LBB2_21
; %bb.20:
	s_trap 2
	ds_read_b32 v8, v0
.LBB2_21:
	s_or_b64 exec, exec, s[4:5]
	v_and_b32_e32 v1, 24, v60
	v_cmp_ne_u32_e64 s[4:5], 0, v1
	s_and_saveexec_b64 s[6:7], s[4:5]
	s_cbranch_execz .LBB2_23
; %bb.22:
	s_trap 2
	s_waitcnt lgkmcnt(0)
	ds_read_b32 v8, v0
.LBB2_23:
	s_or_b64 exec, exec, s[6:7]
	s_waitcnt vmcnt(0)
	v_lshrrev_b64 v[6:7], 31, v[6:7]
	v_and_b32_e32 v1, 3, v6
	v_pk_mov_b32 v[6:7], 0, 0
	v_accvgpr_write_b32 a11, v7
	v_accvgpr_write_b32 a13, v7
	;; [unrolled: 1-line block ×4, first 2 shown]
                                        ; implicit-def: $agpr8_agpr9
                                        ; implicit-def: $agpr16
                                        ; implicit-def: $vgpr32_vgpr33
                                        ; implicit-def: $agpr18_agpr19
                                        ; implicit-def: $vgpr48_vgpr49
                                        ; implicit-def: $vgpr34_vgpr35
	s_and_saveexec_b64 s[4:5], vcc
	s_cbranch_execz .LBB2_33
; %bb.24:
	s_trap 2
	ds_read_b64 v[6:7], v0
	s_waitcnt lgkmcnt(1)
	v_ashrrev_i32_e32 v9, 31, v8
	v_lshlrev_b64 v[16:17], 3, v[8:9]
	v_and_b32_e32 v5, 0xffff, v1
	s_movk_i32 s6, 0xa8
	s_waitcnt lgkmcnt(0)
	v_add_co_u32_e32 v6, vcc, v6, v16
	v_addc_co_u32_e32 v7, vcc, v7, v17, vcc
	flat_load_dwordx2 v[6:7], v[6:7]
                                        ; implicit-def: $agpr8_agpr9
	s_waitcnt vmcnt(0) lgkmcnt(0)
	v_mad_u64_u32 v[6:7], s[6:7], v5, s6, v[6:7]
	flat_load_dword v5, v[6:7] offset:640
	v_add_co_u32_e32 v20, vcc, 0x1f8, v6
	v_addc_co_u32_e32 v21, vcc, 0, v7, vcc
	s_waitcnt vmcnt(0) lgkmcnt(0)
	v_cmp_eq_u32_e32 vcc, 1, v5
	s_and_saveexec_b64 s[6:7], vcc
	s_cbranch_execz .LBB2_26
; %bb.25:
	flat_load_dwordx2 v[16:17], v[20:21] offset:144
	v_or_b32_e32 v60, 0x2000, v60
	s_waitcnt vmcnt(0) lgkmcnt(0)
	flat_load_dwordx2 v[6:7], v[16:17]
	s_trap 2
	v_accvgpr_write_b32 a8, v16
	v_accvgpr_write_b32 a9, v17
	s_waitcnt vmcnt(0) lgkmcnt(0)
	ds_write_b64 v0, v[6:7]
	flat_load_dwordx2 v[6:7], v[16:17] offset:8
	s_waitcnt vmcnt(0) lgkmcnt(0)
	ds_write_b64 v0, v[6:7]
	flat_load_dwordx2 v[6:7], v[16:17] offset:16
	s_waitcnt vmcnt(0) lgkmcnt(0)
	ds_write_b64 v0, v[6:7]
.LBB2_26:
	s_or_b64 exec, exec, s[6:7]
	flat_load_dwordx2 v[6:7], v[20:21] offset:104
	v_accvgpr_write_b32 a10, v20
	v_and_b32_e32 v5, 32, v60
	v_accvgpr_write_b32 a11, v21
                                        ; implicit-def: $vgpr34_vgpr35
	s_waitcnt vmcnt(0) lgkmcnt(0)
	v_add_co_u32_e32 v6, vcc, 3, v6
	v_addc_co_u32_e32 v33, vcc, 0, v7, vcc
	v_and_b32_e32 v32, -4, v6
	v_cmp_ne_u32_e32 vcc, 0, v5
	s_and_saveexec_b64 s[6:7], vcc
	s_cbranch_execz .LBB2_28
; %bb.27:
	v_accvgpr_read_b32 v6, a10
	v_accvgpr_read_b32 v7, a11
	flat_load_dwordx2 v[34:35], v[6:7] offset:56
	s_waitcnt vmcnt(0) lgkmcnt(0)
	flat_store_dwordx2 v[34:35], v[32:33]
.LBB2_28:
	s_or_b64 exec, exec, s[6:7]
	v_pk_mov_b32 v[6:7], 0, 0
	v_and_b32_e32 v5, 4, v60
	v_accvgpr_write_b32 a13, v7
	v_cmp_ne_u32_e32 vcc, 0, v5
	v_accvgpr_write_b32 a12, v6
                                        ; implicit-def: $agpr16
                                        ; implicit-def: $agpr18_agpr19
                                        ; implicit-def: $vgpr48_vgpr49
	s_and_saveexec_b64 s[6:7], vcc
	s_cbranch_execz .LBB2_32
; %bb.29:
	v_and_b32_e32 v5, 0x800, v60
	v_cmp_eq_u32_e32 vcc, 0, v5
	s_and_saveexec_b64 s[10:11], vcc
	s_cbranch_execz .LBB2_31
; %bb.30:
	s_trap 2
	ds_write_b64 v0, a[10:11]
.LBB2_31:
	s_or_b64 exec, exec, s[10:11]
	v_accvgpr_read_b32 v6, a10
	v_accvgpr_read_b32 v7, a11
	flat_load_dwordx2 v[34:35], v[6:7] offset:48
	v_or_b32_e32 v5, 0x100, v60
	s_waitcnt vmcnt(0) lgkmcnt(0)
	flat_load_dwordx2 v[48:49], v[34:35] glc
	flat_load_dwordx2 v[16:17], v[6:7] offset:96
	flat_load_dword a16, v[6:7] offset:72
	flat_load_dwordx2 a[18:19], v[6:7] offset:16
	s_waitcnt vmcnt(0) lgkmcnt(0)
	v_accvgpr_write_b32 a12, v16
	v_cmp_eq_u64_e32 vcc, 0, v[16:17]
	v_accvgpr_write_b32 a13, v17
	v_cndmask_b32_e32 v60, v5, v60, vcc
.LBB2_32:
	s_or_b64 exec, exec, s[6:7]
.LBB2_33:
	s_or_b64 exec, exec, s[4:5]
	v_and_b32_e32 v5, 24, v60
	v_cmp_ne_u32_e32 vcc, 0, v5
                                        ; implicit-def: $agpr20_agpr21
	s_and_saveexec_b64 s[4:5], vcc
	s_cbranch_execz .LBB2_41
; %bb.34:
	s_trap 2
	ds_read_b64 v[6:7], v0
	s_waitcnt lgkmcnt(0)
	v_ashrrev_i32_e32 v9, 31, v8
	v_lshlrev_b64 v[8:9], 3, v[8:9]
	v_and_b32_e32 v1, 0xffff, v1
	s_movk_i32 s6, 0xa8
	v_add_co_u32_e32 v6, vcc, v6, v8
	v_addc_co_u32_e32 v7, vcc, v7, v9, vcc
	flat_load_dwordx2 v[6:7], v[6:7]
                                        ; implicit-def: $agpr20_agpr21
	s_waitcnt vmcnt(0) lgkmcnt(0)
	v_mad_u64_u32 v[6:7], s[6:7], v1, s6, v[6:7]
	v_accvgpr_write_b32 a11, v7
	v_accvgpr_write_b32 a10, v6
	flat_load_dwordx4 v[6:9], v[6:7] offset:96
	v_or_b32_e32 v1, 0x100, v60
	s_waitcnt vmcnt(0) lgkmcnt(0)
	v_cmp_eq_u64_e32 vcc, 0, v[6:7]
	v_cndmask_b32_e32 v60, v1, v60, vcc
	v_accvgpr_write_b32 a15, v9
	v_and_b32_e32 v1, 16, v60
	v_accvgpr_write_b32 a14, v8
	v_accvgpr_write_b32 a13, v7
	;; [unrolled: 1-line block ×3, first 2 shown]
	v_cmp_ne_u32_e32 vcc, 0, v1
	s_and_saveexec_b64 s[6:7], vcc
	s_cbranch_execz .LBB2_36
; %bb.35:
	v_accvgpr_read_b32 v6, a10
	v_accvgpr_read_b32 v7, a11
	flat_load_dwordx2 a[20:21], v[6:7] offset:120
	flat_load_dwordx2 v[34:35], v[6:7] offset:48
	;; [unrolled: 1-line block ×3, first 2 shown]
.LBB2_36:
	s_or_b64 exec, exec, s[6:7]
	v_accvgpr_read_b32 v6, a12
	v_accvgpr_read_b32 v8, a14
	;; [unrolled: 1-line block ×3, first 2 shown]
	v_add_co_u32_e32 v1, vcc, 3, v8
	v_addc_co_u32_e32 v33, vcc, 0, v9, vcc
	v_and_b32_e32 v32, -4, v1
	v_and_b32_e32 v1, 8, v60
	v_cmp_ne_u32_e32 vcc, 0, v1
	v_accvgpr_read_b32 v7, a13
	s_and_saveexec_b64 s[6:7], vcc
	s_cbranch_execz .LBB2_40
; %bb.37:
	v_and_b32_e32 v1, 0x800, v60
	v_cmp_eq_u32_e32 vcc, 0, v1
	s_and_saveexec_b64 s[10:11], vcc
	s_cbranch_execz .LBB2_39
; %bb.38:
	s_trap 2
	ds_write_b64 v0, a[10:11]
.LBB2_39:
	s_or_b64 exec, exec, s[10:11]
	v_accvgpr_read_b32 v6, a10
	v_accvgpr_read_b32 v7, a11
	s_waitcnt vmcnt(0) lgkmcnt(0)
	flat_load_dwordx2 v[34:35], v[6:7] offset:56
	s_waitcnt vmcnt(0) lgkmcnt(0)
	flat_load_dwordx2 v[48:49], v[34:35] glc
	flat_load_dword a16, v[6:7] offset:72
	flat_load_dwordx2 a[18:19], v[6:7] offset:16
.LBB2_40:
	s_or_b64 exec, exec, s[6:7]
.LBB2_41:
	s_or_b64 exec, exec, s[4:5]
	v_cmp_eq_u32_e64 s[4:5], 0, v40
	s_and_saveexec_b64 s[6:7], s[4:5]
	s_cbranch_execz .LBB2_43
; %bb.42:
	flat_load_dwordx2 v[6:7], v[2:3] offset:32
	s_waitcnt lgkmcnt(0)
	v_mov_b32_e32 v8, v12
	v_mov_b32_e32 v9, v13
	ds_write2_b64 v0, v[8:9], v[10:11] offset1:1
	s_trap 2
	s_waitcnt vmcnt(0)
	ds_write_b64 v0, v[6:7]
	ds_write_b64 v0, v[14:15]
.LBB2_43:
	s_or_b64 exec, exec, s[6:7]
	v_pk_mov_b32 v[6:7], 0, 0
	v_accvgpr_write_b32 a15, v7
	s_mov_b64 s[40:41], 0
	v_accvgpr_write_b32 a14, v6
	v_cmp_lt_i64_e32 vcc, 0, v[42:43]
	s_mov_b64 s[6:7], exec
	v_writelane_b32 v61, s6, 2
	v_writelane_b32 v61, s7, 3
	s_and_b64 s[6:7], s[6:7], vcc
	s_mov_b64 exec, s[6:7]
	s_cbranch_execnz .LBB2_44
; %bb.8944:
	s_getpc_b64 s[98:99]
.Lpost_getpc1:
	s_add_u32 s98, s98, (.LBB2_8903-.Lpost_getpc1)&4294967295
	s_addc_u32 s99, s99, (.LBB2_8903-.Lpost_getpc1)>>32
	s_setpc_b64 s[98:99]
.LBB2_44:
	flat_load_dword v1, v[2:3] offset:4
	v_and_b32_e32 v50, 0x3ffffe00, v4
	s_waitcnt vmcnt(0) lgkmcnt(0)
	v_accvgpr_read_b32 v4, a16
	v_ashrrev_i32_e32 v3, 31, v4
	v_writelane_b32 v61, s28, 4
	s_ashr_i32 s79, s78, 31
	v_accvgpr_write_b32 a17, v3
	v_accvgpr_read_b32 v3, a2
	v_mad_i64_i32 v[10:11], s[16:17], v50, s78, 0
	v_writelane_b32 v61, s29, 5
	v_and_b32_e32 v2, 63, v31
	v_cmp_ne_u32_sdwa s[44:45], v3, v18 src0_sel:WORD_0 src1_sel:DWORD
	v_lshrrev_b32_e32 v44, 6, v18
	v_ashrrev_i32_e32 v3, 31, v40
	v_lshlrev_b32_e32 v8, 4, v40
	v_mov_b32_e32 v4, 0xfffffe00
	s_add_u32 s16, s78, -1
	s_movk_i32 s18, 0x200
	v_mov_b32_e32 v5, 0xfffff800
	v_writelane_b32 v61, s16, 6
	v_cmp_eq_u32_e64 s[16:17], 0, v2
	v_lshrrev_b32_e32 v2, 26, v3
	v_ashrrev_i32_e32 v9, 31, v8
	v_lshl_add_u32 v3, v44, 9, v4
	s_addc_u32 s19, s79, -1
	v_and_b32_e32 v41, 0xffffffc0, v18
	v_accvgpr_read_b32 v6, a20
	v_accvgpr_write_b32 a25, v9
	v_lshl_add_u32 v4, v44, 11, v5
	v_writelane_b32 v61, s19, 7
	v_ashrrev_i32_e32 v5, 31, v3
	v_add_co_u32_e64 v3, s[18:19], s18, v3
	v_accvgpr_read_b32 v7, a21
	v_accvgpr_write_b32 a24, v8
	v_subrev_u32_e32 v8, 64, v41
	v_accvgpr_write_b32 a34, v3
	v_addc_co_u32_e64 v3, s[18:19], 0, v5, s[18:19]
	v_cmp_eq_u64_e64 s[12:13], 0, v[6:7]
	v_cmp_ne_u64_e64 s[14:15], 0, v[6:7]
	v_ashrrev_i32_e32 v7, 31, v8
	v_accvgpr_write_b32 a35, v3
	v_add_co_u32_e64 v3, s[18:19], 64, v8
	s_movk_i32 s20, 0x800
	v_lshlrev_b32_e32 v6, 10, v44
	s_add_i32 s83, s78, s78
	s_not_b32 s21, s78
	v_accvgpr_write_b32 a36, v3
	v_addc_co_u32_e64 v3, s[18:19], 0, v7, s[18:19]
	v_add_u32_e32 v2, v40, v2
	v_accvgpr_write_b32 a28, v6
	v_add_u32_e32 v12, 0xfffffc00, v6
	v_ashrrev_i32_e32 v6, 31, v4
	s_cmp_gt_i32 s78, 0
	v_accvgpr_write_b32 a37, v3
	v_add_co_u32_e64 v3, s[18:19], s20, v4
	s_movk_i32 s9, 0x400
	v_ashrrev_i32_e32 v9, 6, v2
	v_and_b32_e32 v2, 0xffffffc0, v2
	v_accvgpr_write_b32 a38, v3
	v_addc_co_u32_e64 v3, s[18:19], 0, v6, s[18:19]
	s_cselect_b32 s20, s21, -1
	s_ashr_i32 s21, s8, 31
	v_ashrrev_i32_e32 v13, 31, v12
	v_accvgpr_write_b32 a39, v3
	v_sub_u32_e32 v3, v40, v2
	v_sub_u32_e32 v2, 0, v9
	v_add_co_u32_e64 v6, s[18:19], s9, v12
	s_lshr_b32 s9, s21, 25
	v_accvgpr_write_b32 a41, v2
	v_addc_co_u32_e64 v2, s[18:19], 0, v13, s[18:19]
	s_add_i32 s84, s20, s83
	s_add_i32 s8, s8, s9
	v_accvgpr_write_b32 a43, v2
	v_lshlrev_b32_e32 v2, 11, v9
	s_ashr_i32 s85, s84, 31
	s_ashr_i32 s86, s8, 7
	v_cmp_lt_i32_e64 s[20:21], v3, v0
	v_cmp_le_i32_e64 s[22:23], v3, v0
	v_lshl_add_u32 v0, v3, 4, v2
	s_cmp_gt_i32 s78, 2
	v_cmp_gt_i32_e64 s[18:19], 1, v3
	v_accvgpr_write_b32 a40, v3
	v_accvgpr_write_b32 a44, v0
	v_ashrrev_i32_e32 v3, 31, v0
	s_cselect_b64 s[8:9], -1, 0
	v_and_b32_e32 v0, 1, v1
	v_writelane_b32 v61, s8, 8
	v_cmp_eq_u32_e64 s[24:25], 1, v0
	v_mov_b32_e32 v0, 0xffffff00
	v_writelane_b32 v61, s9, 9
	v_lshl_add_u32 v0, v44, 8, v0
	s_movk_i32 s8, 0x100
	v_ashrrev_i32_e32 v1, 31, v0
	v_add_co_u32_e64 v0, s[26:27], s8, v0
	s_xor_b64 s[48:49], s[24:25], -1
	s_add_i32 s8, s78, 1
	v_accvgpr_write_b32 a46, v0
	v_addc_co_u32_e64 v0, s[26:27], 0, v1, s[26:27]
	s_cmp_le_i32 s78, s8
	v_accvgpr_write_b32 a47, v0
	s_cselect_b32 s9, s78, 0
	v_pk_mov_b32 v[0:1], 0, 0
	v_mov_b32_e32 v51, 0
	s_mov_b32 s42, -1
	v_cmp_ge_i32_e32 vcc, v40, v18
	s_sub_i32 s88, s8, s9
	v_accvgpr_write_b32 a50, v50
	v_accvgpr_write_b32 a15, v1
	v_accvgpr_write_b32 a6, v42
	v_accvgpr_write_b32 a27, v11
	s_mov_b32 s43, 0xffffff
	v_accvgpr_write_b32 a1, v31
	v_cmp_eq_u32_e64 s[6:7], 64, v18
	v_cmp_ne_u32_e64 s[10:11], 64, v18
	s_movk_i32 s80, 0xffc0
	v_accvgpr_write_b32 a0, v18
	v_accvgpr_write_b32 a30, v8
	;; [unrolled: 1-line block ×3, first 2 shown]
	v_pk_mov_b32 v[4:5], v[10:11], v[10:11] op_sel:[0,1]
	v_accvgpr_write_b32 a32, v12
	v_accvgpr_write_b32 a33, v13
	;; [unrolled: 1-line block ×4, first 2 shown]
	s_movk_i32 s87, 0xff00
	s_ashr_i32 s89, s88, 31
	s_add_i32 s90, s78, -2
	s_xor_b64 s[50:51], vcc, -1
	s_movk_i32 s91, 0x270e
	s_movk_i32 s92, 0x108
	;; [unrolled: 1-line block ×5, first 2 shown]
	s_brev_b32 s96, 1
	s_movk_i32 s97, 0x80
	s_mov_b64 s[52:53], 0x7f800000
	s_mov_b64 s[54:55], 0x47600001
	s_movk_i32 s38, 0x72
	s_mov_b64 s[56:57], 0xffffff
	s_movk_i32 s39, 0x7f
	s_mov_b32 s36, 0x7c0000
	s_brev_b32 s37, 62
	s_mov_b32 s81, 0x4020c0c
	s_mov_b32 s9, 0xc0c0500
	v_accvgpr_write_b32 a51, v51
	v_accvgpr_write_b32 a14, v0
	;; [unrolled: 1-line block ×8, first 2 shown]
	v_pk_mov_b32 v[6:7], v[0:1], v[0:1] op_sel:[0,1]
	s_trap 2
	s_branch .LBB2_47
.LBB2_45:                               ;   in Loop: Header=BB2_47 Depth=1
	s_or_b64 exec, exec, s[30:31]
.LBB2_46:                               ;   in Loop: Header=BB2_47 Depth=1
	s_or_b64 exec, exec, s[28:29]
	v_accvgpr_read_b32 v4, a26
	v_accvgpr_read_b32 v6, a48
	;; [unrolled: 1-line block ×4, first 2 shown]
	v_add_co_u32_e32 v6, vcc, v6, v4
	v_addc_co_u32_e32 v7, vcc, v7, v5, vcc
	v_cmp_ge_i64_e32 vcc, v[6:7], v[42:43]
	s_or_b64 s[40:41], vcc, s[40:41]
	s_andn2_b64 exec, exec, s[40:41]
	s_cbranch_execnz .LBB2_47
; %bb.8946:
	s_getpc_b64 s[98:99]
.Lpost_getpc2:
	s_add_u32 s98, s98, (.LBB2_8902-.Lpost_getpc2)&4294967295
	s_addc_u32 s99, s99, (.LBB2_8902-.Lpost_getpc2)>>32
	s_setpc_b64 s[98:99]
.LBB2_47:                               ; =>This Loop Header: Depth=1
                                        ;     Child Loop BB2_57 Depth 2
                                        ;       Child Loop BB2_65 Depth 3
                                        ;       Child Loop BB2_89 Depth 3
	;; [unrolled: 1-line block ×9, first 2 shown]
                                        ;     Child Loop BB2_199 Depth 2
                                        ;       Child Loop BB2_205 Depth 3
                                        ;       Child Loop BB2_234 Depth 3
	;; [unrolled: 1-line block ×3, first 2 shown]
                                        ;     Child Loop BB2_271 Depth 2
                                        ;       Child Loop BB2_274 Depth 3
                                        ;         Child Loop BB2_282 Depth 4
                                        ;         Child Loop BB2_308 Depth 4
	;; [unrolled: 1-line block ×9, first 2 shown]
                                        ;       Child Loop BB2_2982 Depth 3
                                        ;         Child Loop BB2_2988 Depth 4
                                        ;         Child Loop BB2_3026 Depth 4
	;; [unrolled: 1-line block ×3, first 2 shown]
                                        ;     Child Loop BB2_3056 Depth 2
                                        ;       Child Loop BB2_3064 Depth 3
                                        ;       Child Loop BB2_3090 Depth 3
	;; [unrolled: 1-line block ×9, first 2 shown]
                                        ;         Child Loop BB2_5488 Depth 4
                                        ;       Child Loop BB2_5498 Depth 3
                                        ;       Child Loop BB2_5710 Depth 3
                                        ;         Child Loop BB2_5763 Depth 4
                                        ;       Child Loop BB2_3137 Depth 3
                                        ;       Child Loop BB2_4700 Depth 3
                                        ;     Child Loop BB2_8362 Depth 2
                                        ;       Child Loop BB2_8368 Depth 3
                                        ;       Child Loop BB2_8398 Depth 3
	;; [unrolled: 1-line block ×3, first 2 shown]
                                        ;     Child Loop BB2_8436 Depth 2
                                        ;       Child Loop BB2_8439 Depth 3
                                        ;         Child Loop BB2_8447 Depth 4
                                        ;         Child Loop BB2_8473 Depth 4
	;; [unrolled: 1-line block ×4, first 2 shown]
                                        ;           Child Loop BB2_8514 Depth 5
                                        ;         Child Loop BB2_8520 Depth 4
                                        ;           Child Loop BB2_8521 Depth 5
                                        ;         Child Loop BB2_8530 Depth 4
                                        ;         Child Loop BB2_8535 Depth 4
                                        ;           Child Loop BB2_8536 Depth 5
                                        ;         Child Loop BB2_8549 Depth 4
                                        ;         Child Loop BB2_8554 Depth 4
	;; [unrolled: 1-line block ×6, first 2 shown]
                                        ;       Child Loop BB2_8619 Depth 3
                                        ;         Child Loop BB2_8625 Depth 4
                                        ;         Child Loop BB2_8655 Depth 4
	;; [unrolled: 1-line block ×3, first 2 shown]
                                        ;     Child Loop BB2_8696 Depth 2
                                        ;       Child Loop BB2_8704 Depth 3
                                        ;       Child Loop BB2_8728 Depth 3
	;; [unrolled: 1-line block ×9, first 2 shown]
                                        ;     Child Loop BB2_8836 Depth 2
                                        ;       Child Loop BB2_8842 Depth 3
                                        ;       Child Loop BB2_8866 Depth 3
	;; [unrolled: 1-line block ×3, first 2 shown]
	v_sub_co_u32_e32 v0, vcc, v42, v6
	v_subb_co_u32_e32 v1, vcc, v43, v7, vcc
	v_accvgpr_write_b32 a53, v1
	v_accvgpr_write_b32 a52, v0
	v_cmp_lt_i64_e32 vcc, v[0:1], v[4:5]
	s_and_saveexec_b64 s[28:29], vcc
	s_cbranch_execz .LBB2_53
; %bb.48:                               ;   in Loop: Header=BB2_47 Depth=1
	v_readlane_b32 s8, v61, 7
	v_mov_b32_e32 v1, s8
	v_readlane_b32 s8, v61, 6
	v_accvgpr_read_b32 v2, a52
	v_accvgpr_read_b32 v3, a53
	v_add_co_u32_e32 v0, vcc, s8, v2
	v_addc_co_u32_e32 v1, vcc, v1, v3, vcc
	v_or_b32_e32 v3, s79, v1
	v_mov_b32_e32 v2, v51
	v_cmp_ne_u64_e32 vcc, 0, v[2:3]
                                        ; implicit-def: $vgpr2_vgpr3
	s_and_saveexec_b64 s[26:27], vcc
	s_xor_b64 s[30:31], exec, s[26:27]
	s_cbranch_execz .LBB2_50
; %bb.49:                               ;   in Loop: Header=BB2_47 Depth=1
	s_add_u32 s26, s78, s79
	s_mov_b32 s34, s79
	s_mov_b32 s35, s79
	s_addc_u32 s27, s79, s79
	s_xor_b64 s[58:59], s[26:27], s[34:35]
	v_cvt_f32_u32_e32 v2, s58
	v_cvt_f32_u32_e32 v3, s59
	s_sub_u32 s8, 0, s58
	s_subb_u32 s26, 0, s59
	v_pk_mov_b32 v[12:13], v[6:7], v[6:7] op_sel:[0,1]
	v_mac_f32_e32 v2, 0x4f800000, v3
	v_rcp_f32_e32 v2, v2
	v_mul_f32_e32 v2, 0x5f7ffffc, v2
	v_mul_f32_e32 v3, 0x2f800000, v2
	v_trunc_f32_e32 v3, v3
	v_mac_f32_e32 v2, 0xcf800000, v3
	v_cvt_u32_f32_e32 v3, v3
	v_cvt_u32_f32_e32 v2, v2
	v_mul_lo_u32 v4, s8, v3
	v_mul_hi_u32 v6, s8, v2
	v_mul_lo_u32 v5, s26, v2
	v_add_u32_e32 v4, v6, v4
	v_mul_lo_u32 v7, s8, v2
	v_add_u32_e32 v4, v4, v5
	v_mul_lo_u32 v6, v2, v4
	v_mul_hi_u32 v8, v2, v7
	v_mul_hi_u32 v5, v2, v4
	v_add_co_u32_e32 v6, vcc, v8, v6
	v_addc_co_u32_e32 v5, vcc, 0, v5, vcc
	v_mul_hi_u32 v9, v3, v7
	v_mul_lo_u32 v7, v3, v7
	v_add_co_u32_e32 v6, vcc, v6, v7
	v_mul_hi_u32 v8, v3, v4
	v_addc_co_u32_e32 v5, vcc, v5, v9, vcc
	v_addc_co_u32_e32 v6, vcc, 0, v8, vcc
	v_mul_lo_u32 v4, v3, v4
	v_add_co_u32_e32 v4, vcc, v5, v4
	v_addc_co_u32_e32 v5, vcc, 0, v6, vcc
	v_add_co_u32_e32 v2, vcc, v2, v4
	v_addc_co_u32_e32 v3, vcc, v3, v5, vcc
	v_mul_lo_u32 v4, s8, v3
	v_mul_hi_u32 v5, s8, v2
	v_add_u32_e32 v4, v5, v4
	v_mul_lo_u32 v5, s26, v2
	v_add_u32_e32 v4, v4, v5
	v_mul_lo_u32 v6, s8, v2
	v_mul_hi_u32 v7, v3, v6
	v_mul_lo_u32 v8, v3, v6
	v_mul_lo_u32 v10, v2, v4
	v_mul_hi_u32 v6, v2, v6
	v_mul_hi_u32 v9, v2, v4
	v_add_co_u32_e32 v6, vcc, v6, v10
	v_addc_co_u32_e32 v9, vcc, 0, v9, vcc
	v_add_co_u32_e32 v6, vcc, v6, v8
	v_mul_hi_u32 v5, v3, v4
	v_addc_co_u32_e32 v6, vcc, v9, v7, vcc
	v_addc_co_u32_e32 v5, vcc, 0, v5, vcc
	v_mul_lo_u32 v4, v3, v4
	v_add_co_u32_e32 v4, vcc, v6, v4
	v_addc_co_u32_e32 v5, vcc, 0, v5, vcc
	v_add_co_u32_e32 v2, vcc, v2, v4
	v_addc_co_u32_e32 v3, vcc, v3, v5, vcc
	v_ashrrev_i32_e32 v4, 31, v1
	v_add_co_u32_e32 v0, vcc, v0, v4
	v_addc_co_u32_e32 v1, vcc, v1, v4, vcc
	v_xor_b32_e32 v6, v0, v4
	v_xor_b32_e32 v5, v1, v4
	v_mad_u64_u32 v[0:1], s[26:27], v6, v3, 0
	v_mul_hi_u32 v7, v6, v2
	v_add_co_u32_e32 v7, vcc, v7, v0
	v_addc_co_u32_e32 v8, vcc, 0, v1, vcc
	v_mad_u64_u32 v[0:1], s[26:27], v5, v3, 0
	v_mad_u64_u32 v[2:3], s[26:27], v5, v2, 0
	v_add_co_u32_e32 v2, vcc, v7, v2
	v_addc_co_u32_e32 v2, vcc, v8, v3, vcc
	v_addc_co_u32_e32 v1, vcc, 0, v1, vcc
	v_add_co_u32_e32 v2, vcc, v2, v0
	v_addc_co_u32_e32 v3, vcc, 0, v1, vcc
	v_mul_lo_u32 v7, s59, v2
	v_mul_lo_u32 v8, s58, v3
	v_mad_u64_u32 v[0:1], s[26:27], s58, v2, 0
	v_add3_u32 v1, v1, v8, v7
	v_sub_u32_e32 v7, v5, v1
	v_mov_b32_e32 v8, s59
	v_sub_co_u32_e32 v0, vcc, v6, v0
	v_subb_co_u32_e64 v6, s[26:27], v7, v8, vcc
	v_subrev_co_u32_e64 v7, s[26:27], s58, v0
	v_subbrev_co_u32_e64 v6, s[26:27], 0, v6, s[26:27]
	v_cmp_le_u32_e64 s[26:27], s59, v6
	v_cndmask_b32_e64 v8, 0, -1, s[26:27]
	v_cmp_le_u32_e64 s[26:27], s58, v7
	v_cndmask_b32_e64 v7, 0, -1, s[26:27]
	v_cmp_eq_u32_e64 s[26:27], s59, v6
	v_cndmask_b32_e64 v6, v8, v7, s[26:27]
	v_add_co_u32_e64 v7, s[26:27], 2, v2
	v_subb_co_u32_e32 v1, vcc, v5, v1, vcc
	v_addc_co_u32_e64 v8, s[26:27], 0, v3, s[26:27]
	v_cmp_le_u32_e32 vcc, s59, v1
	v_add_co_u32_e64 v9, s[26:27], 1, v2
	v_cndmask_b32_e64 v5, 0, -1, vcc
	v_cmp_le_u32_e32 vcc, s58, v0
	v_addc_co_u32_e64 v10, s[26:27], 0, v3, s[26:27]
	v_cndmask_b32_e64 v0, 0, -1, vcc
	v_cmp_eq_u32_e32 vcc, s59, v1
	v_cmp_ne_u32_e64 s[26:27], 0, v6
	v_cndmask_b32_e32 v0, v5, v0, vcc
	v_cmp_ne_u32_e32 vcc, 0, v0
	v_cndmask_b32_e64 v1, v9, v7, s[26:27]
	v_cndmask_b32_e64 v6, v10, v8, s[26:27]
	v_cndmask_b32_e32 v1, v2, v1, vcc
	v_xor_b32_e32 v2, s34, v4
	v_cndmask_b32_e32 v0, v3, v6, vcc
	v_xor_b32_e32 v3, s35, v4
	v_xor_b32_e32 v1, v1, v2
	;; [unrolled: 1-line block ×3, first 2 shown]
	v_sub_co_u32_e32 v2, vcc, v1, v2
	v_pk_mov_b32 v[6:7], v[12:13], v[12:13] op_sel:[0,1]
	v_subb_co_u32_e32 v3, vcc, v0, v3, vcc
                                        ; implicit-def: $vgpr0
.LBB2_50:                               ;   in Loop: Header=BB2_47 Depth=1
	s_andn2_saveexec_b64 s[26:27], s[30:31]
	s_cbranch_execz .LBB2_52
; %bb.51:                               ;   in Loop: Header=BB2_47 Depth=1
	v_cvt_f32_u32_e32 v1, s78
	s_sub_i32 s8, 0, s78
	v_rcp_iflag_f32_e32 v1, v1
	v_mul_f32_e32 v1, 0x4f7ffffe, v1
	v_cvt_u32_f32_e32 v1, v1
	v_mul_lo_u32 v2, s8, v1
	v_mul_hi_u32 v2, v1, v2
	v_add_u32_e32 v1, v1, v2
	v_mul_hi_u32 v1, v0, v1
	v_mul_lo_u32 v2, v1, s78
	v_sub_u32_e32 v0, v0, v2
	v_add_u32_e32 v3, 1, v1
	v_subrev_u32_e32 v2, s78, v0
	v_cmp_le_u32_e32 vcc, s78, v0
	v_cndmask_b32_e32 v0, v0, v2, vcc
	v_cndmask_b32_e32 v1, v1, v3, vcc
	v_add_u32_e32 v2, 1, v1
	v_cmp_le_u32_e32 vcc, s78, v0
	v_cndmask_b32_e32 v50, v1, v2, vcc
	v_pk_mov_b32 v[2:3], v[50:51], v[50:51] op_sel:[0,1]
.LBB2_52:                               ;   in Loop: Header=BB2_47 Depth=1
	s_or_b64 exec, exec, s[26:27]
	v_add_co_u32_e32 v0, vcc, 15, v2
	v_addc_co_u32_e32 v1, vcc, 0, v3, vcc
	v_and_b32_e32 v0, -16, v0
	v_accvgpr_write_b32 a51, v1
	v_accvgpr_write_b32 a50, v0
.LBB2_53:                               ;   in Loop: Header=BB2_47 Depth=1
	s_or_b64 exec, exec, s[28:29]
	v_accvgpr_read_b32 v2, a50
	v_accvgpr_read_b32 v3, a51
	v_mul_lo_u32 v0, v3, s84
	v_mul_lo_u32 v1, v2, s85
	v_mad_u64_u32 v[4:5], s[26:27], v2, s84, 0
	v_add3_u32 v5, v5, v1, v0
	v_accvgpr_read_b32 v0, a4
	v_accvgpr_read_b32 v1, a5
	v_add_co_u32_e32 v0, vcc, v6, v0
	v_accvgpr_write_b32 a54, v0
	v_addc_co_u32_e32 v0, vcc, v7, v1, vcc
	v_accvgpr_write_b32 a55, v0
	v_accvgpr_read_b32 v0, a52
	v_accvgpr_read_b32 v1, a53
	v_sub_co_u32_e32 v0, vcc, v0, v4
	v_subb_co_u32_e32 v1, vcc, v1, v5, vcc
	v_cmp_lt_i64_e32 vcc, v[2:3], v[0:1]
	v_cndmask_b32_e32 v0, v0, v2, vcc
	v_max_i32_e32 v1, 0, v0
	v_add_u32_e32 v2, 31, v1
	v_lshrrev_b32_e32 v2, 1, v2
	v_accvgpr_write_b32 a49, v7
	v_and_b32_e32 v2, 0x3ffffff0, v2
	v_cmp_lt_i32_e32 vcc, 0, v0
	v_accvgpr_write_b32 a48, v6
	v_max_i32_e32 v2, s86, v2
	s_and_b64 s[26:27], s[50:51], vcc
	v_mov_b32_e32 v0, 0
	v_mov_b32_e32 v6, 0
	s_and_saveexec_b64 s[28:29], s[26:27]
	s_cbranch_execz .LBB2_195
; %bb.54:                               ;   in Loop: Header=BB2_47 Depth=1
	s_mov_b32 s8, 1
	s_mov_b64 s[34:35], -1
	s_mov_b64 s[30:31], 0
	v_mov_b32_e32 v6, 0
	s_branch .LBB2_57
.LBB2_55:                               ;   in Loop: Header=BB2_57 Depth=2
	s_or_b64 exec, exec, vcc
	v_add_co_u32_e32 v32, vcc, 2, v32
	v_addc_co_u32_e32 v33, vcc, 0, v33, vcc
	flat_store_dwordx2 v[34:35], v[32:33]
.LBB2_56:                               ;   in Loop: Header=BB2_57 Depth=2
	s_or_b64 exec, exec, s[26:27]
	v_add_u32_e32 v6, v2, v6
	v_cmp_ge_i32_e32 vcc, v6, v1
	s_xor_b64 s[26:27], s[34:35], -1
	s_or_b64 s[26:27], s[26:27], vcc
	s_and_b64 s[26:27], exec, s[26:27]
	s_or_b64 s[30:31], s[26:27], s[30:31]
	s_mov_b64 s[34:35], 0
	v_mov_b32_e32 v0, s8
	s_mov_b32 s8, 2
	s_andn2_b64 exec, exec, s[30:31]
	s_cbranch_execz .LBB2_194
.LBB2_57:                               ;   Parent Loop BB2_47 Depth=1
                                        ; =>  This Loop Header: Depth=2
                                        ;       Child Loop BB2_65 Depth 3
                                        ;       Child Loop BB2_89 Depth 3
                                        ;       Child Loop BB2_108 Depth 3
                                        ;       Child Loop BB2_143 Depth 3
                                        ;       Child Loop BB2_148 Depth 3
                                        ;       Child Loop BB2_128 Depth 3
                                        ;       Child Loop BB2_133 Depth 3
                                        ;       Child Loop BB2_162 Depth 3
                                        ;       Child Loop BB2_181 Depth 3
	s_and_saveexec_b64 s[26:27], s[4:5]
	s_cbranch_execz .LBB2_59
; %bb.58:                               ;   in Loop: Header=BB2_57 Depth=2
	s_trap 2
	ds_read_b64 v[8:9], v0
	v_accvgpr_read_b32 v0, a54
	v_accvgpr_read_b32 v3, a55
	v_ashrrev_i32_e32 v7, 31, v6
	v_mov_b32_e32 v50, v51
	s_waitcnt lgkmcnt(0)
	v_add_co_u32_e32 v0, vcc, v8, v0
	v_addc_co_u32_e32 v3, vcc, v9, v3, vcc
	v_add_co_u32_e32 v0, vcc, v0, v4
	v_addc_co_u32_e32 v3, vcc, v3, v5, vcc
	v_add_co_u32_e32 v8, vcc, v0, v6
	v_addc_co_u32_e32 v9, vcc, v3, v7, vcc
	ds_write_b64 v0, v[8:9]
	ds_write_b64 v0, v[50:51]
.LBB2_59:                               ;   in Loop: Header=BB2_57 Depth=2
	s_or_b64 exec, exec, s[26:27]
	v_and_b32_e32 v0, 8, v60
	v_cmp_ne_u32_e32 vcc, 0, v0
	s_mov_b64 s[58:59], -1
	s_and_saveexec_b64 s[26:27], vcc
	s_cbranch_execz .LBB2_71
; %bb.60:                               ;   in Loop: Header=BB2_57 Depth=2
	v_add_co_u32_e32 v10, vcc, 8, v48
	v_addc_co_u32_e32 v11, vcc, 0, v49, vcc
	v_add_co_u32_e32 v8, vcc, 2, v32
	v_addc_co_u32_e32 v9, vcc, 0, v33, vcc
	v_cmp_lt_u64_e32 vcc, v[10:11], v[8:9]
	v_mov_b32_e32 v0, 1
	s_and_saveexec_b64 s[58:59], vcc
	s_cbranch_execz .LBB2_70
; %bb.61:                               ;   in Loop: Header=BB2_57 Depth=2
	s_mov_b64 s[60:61], 0
	v_mov_b32_e32 v0, 0
                                        ; implicit-def: $sgpr62_sgpr63
	s_branch .LBB2_65
.LBB2_62:                               ;   in Loop: Header=BB2_65 Depth=3
	s_or_b64 exec, exec, s[70:71]
	v_mov_b32_e32 v3, 0
	s_orn2_b64 s[68:69], s[68:69], exec
.LBB2_63:                               ;   in Loop: Header=BB2_65 Depth=3
	s_or_b64 exec, exec, s[66:67]
	s_andn2_b64 vcc, s[62:63], exec
	s_and_b64 s[62:63], s[68:69], exec
	s_or_b64 s[62:63], vcc, s[62:63]
	v_mov_b32_e32 v0, v3
.LBB2_64:                               ;   in Loop: Header=BB2_65 Depth=3
	s_or_b64 exec, exec, s[64:65]
	s_waitcnt vmcnt(0) lgkmcnt(0)
	v_add_co_u32_e32 v10, vcc, 8, v48
	v_addc_co_u32_e32 v11, vcc, 0, v49, vcc
	v_cmp_ge_u64_e32 vcc, v[10:11], v[8:9]
	s_xor_b64 s[64:65], s[62:63], -1
	s_or_b64 vcc, s[64:65], vcc
	s_and_b64 vcc, exec, vcc
	s_or_b64 s[60:61], vcc, s[60:61]
	s_andn2_b64 exec, exec, s[60:61]
	s_cbranch_execz .LBB2_69
.LBB2_65:                               ;   Parent Loop BB2_47 Depth=1
                                        ;     Parent Loop BB2_57 Depth=2
                                        ; =>    This Inner Loop Header: Depth=3
	s_sleep 1
	flat_load_dwordx2 v[48:49], v[34:35] glc
	v_and_b32_e32 v3, 64, v60
	v_cmp_eq_u32_e32 vcc, 0, v3
	s_andn2_b64 s[62:63], s[62:63], exec
	s_and_saveexec_b64 s[64:65], vcc
	s_cbranch_execz .LBB2_64
; %bb.66:                               ;   in Loop: Header=BB2_65 Depth=3
	v_add_u32_e32 v3, 1, v0
	v_cmp_lt_i32_e32 vcc, s91, v0
	s_mov_b64 s[68:69], -1
	s_and_saveexec_b64 s[66:67], vcc
	s_cbranch_execz .LBB2_63
; %bb.67:                               ;   in Loop: Header=BB2_65 Depth=3
	s_trap 2
	ds_read_b64 v[10:11], v0
	s_waitcnt vmcnt(0) lgkmcnt(0)
	flat_load_dword v0, v[10:11] glc
	s_waitcnt vmcnt(0) lgkmcnt(0)
	buffer_invl2
	buffer_wbinvl1_vol
	v_cmp_ne_u32_e32 vcc, 0, v0
	s_and_saveexec_b64 s[70:71], vcc
	s_cbranch_execz .LBB2_62
; %bb.68:                               ;   in Loop: Header=BB2_65 Depth=3
	v_or_b32_e32 v60, 64, v60
	s_xor_b64 s[68:69], exec, -1
	ds_write_b32 v0, v0
	s_trap 2
	s_branch .LBB2_62
.LBB2_69:                               ;   in Loop: Header=BB2_57 Depth=2
	s_or_b64 exec, exec, s[60:61]
	v_and_b32_e32 v0, 8, v60
.LBB2_70:                               ;   in Loop: Header=BB2_57 Depth=2
	s_or_b64 exec, exec, s[58:59]
	v_cmp_eq_u32_e32 vcc, 0, v0
	s_orn2_b64 s[58:59], vcc, exec
	;;#ASMSTART
	s_wakeup
	;;#ASMEND
.LBB2_71:                               ;   in Loop: Header=BB2_57 Depth=2
	s_or_b64 exec, exec, s[26:27]
	v_sub_u32_e32 v0, v1, v6
	s_xor_b64 s[26:27], s[58:59], -1
	v_min_i32_e32 v2, v2, v0
	s_and_saveexec_b64 s[58:59], s[26:27]
	s_cbranch_execz .LBB2_81
; %bb.72:                               ;   in Loop: Header=BB2_57 Depth=2
	v_and_b32_e32 v0, 0x100, v60
	v_cmp_ne_u32_e32 vcc, 0, v0
	v_and_b32_e32 v0, 7, v32
	s_mov_b64 s[26:27], -1
                                        ; implicit-def: $vgpr8_vgpr9
	s_and_saveexec_b64 s[60:61], vcc
	s_cbranch_execz .LBB2_76
; %bb.73:                               ;   in Loop: Header=BB2_57 Depth=2
	v_accvgpr_read_b32 v8, a12
	v_accvgpr_read_b32 v9, a13
	v_mad_u64_u32 v[10:11], s[26:27], v0, 24, v[8:9]
	flat_load_dword v7, v[10:11]
	v_ashrrev_i32_e32 v3, 31, v2
	flat_store_dwordx2 v[10:11], v[2:3] offset:8
                                        ; implicit-def: $vgpr8_vgpr9
	s_waitcnt vmcnt(0) lgkmcnt(0)
	v_cmp_ne_u32_e32 vcc, 1, v7
	v_cmp_eq_u32_e64 s[26:27], 1, v7
	s_and_saveexec_b64 s[62:63], s[26:27]
	s_cbranch_execz .LBB2_75
; %bb.74:                               ;   in Loop: Header=BB2_57 Depth=2
	flat_load_dword v8, v[10:11] offset:4 glc
	s_waitcnt vmcnt(0) lgkmcnt(0)
	v_ashrrev_i32_e32 v9, 31, v8
.LBB2_75:                               ;   in Loop: Header=BB2_57 Depth=2
	s_or_b64 exec, exec, s[62:63]
	s_orn2_b64 s[26:27], vcc, exec
.LBB2_76:                               ;   in Loop: Header=BB2_57 Depth=2
	s_or_b64 exec, exec, s[60:61]
	s_and_saveexec_b64 vcc, s[26:27]
; %bb.77:                               ;   in Loop: Header=BB2_57 Depth=2
	v_accvgpr_read_b32 v8, a16
	v_mad_i64_i32 v[8:9], s[26:27], v0, v8, 0
; %bb.78:                               ;   in Loop: Header=BB2_57 Depth=2
	s_or_b64 exec, exec, vcc
	v_accvgpr_read_b32 v10, a18
	v_accvgpr_read_b32 v11, a19
	v_add_co_u32_e32 v8, vcc, v10, v8
	v_addc_co_u32_e32 v9, vcc, v11, v9, vcc
	ds_write_b64 v0, v[8:9] offset:784
	v_and_b32_e32 v0, 0x2000, v60
	v_cmp_ne_u32_e32 vcc, 0, v0
	s_and_saveexec_b64 s[26:27], vcc
	s_cbranch_execz .LBB2_80
; %bb.79:                               ;   in Loop: Header=BB2_57 Depth=2
	ds_read_b64 v[8:9], v0 offset:584
	s_waitcnt lgkmcnt(0)
	v_add_co_u32_e32 v8, vcc, 1, v8
	v_addc_co_u32_e32 v9, vcc, 0, v9, vcc
	ds_write_b64 v0, v[8:9] offset:584
.LBB2_80:                               ;   in Loop: Header=BB2_57 Depth=2
	s_or_b64 exec, exec, s[26:27]
	v_add_co_u32_e32 v32, vcc, 2, v32
	v_addc_co_u32_e32 v33, vcc, 0, v33, vcc
.LBB2_81:                               ;   in Loop: Header=BB2_57 Depth=2
	s_or_b64 exec, exec, s[58:59]
	s_and_saveexec_b64 s[26:27], s[10:11]
	s_cbranch_execz .LBB2_100
; %bb.82:                               ;   in Loop: Header=BB2_57 Depth=2
	s_and_saveexec_b64 vcc, s[44:45]
	s_xor_b64 s[58:59], exec, vcc
	s_cbranch_execz .LBB2_97
; %bb.83:                               ;   in Loop: Header=BB2_57 Depth=2
	s_and_saveexec_b64 s[60:61], s[16:17]
	s_cbranch_execz .LBB2_96
; %bb.84:                               ;   in Loop: Header=BB2_57 Depth=2
	s_mov_b64 s[64:65], exec
	v_mbcnt_lo_u32_b32 v0, s64, 0
	v_mbcnt_hi_u32_b32 v0, s65, v0
	v_cmp_eq_u32_e32 vcc, 0, v0
	s_waitcnt vmcnt(0) lgkmcnt(0)
	buffer_wbinvl1_vol
	s_and_saveexec_b64 s[62:63], vcc
	s_cbranch_execz .LBB2_86
; %bb.85:                               ;   in Loop: Header=BB2_57 Depth=2
	s_bcnt1_i32_b64 vcc_lo, s[64:65]
	v_mov_b32_e32 v50, vcc_lo
	ds_add_u64 v0, v[50:51]
	s_trap 2
.LBB2_86:                               ;   in Loop: Header=BB2_57 Depth=2
	s_or_b64 exec, exec, s[62:63]
	s_trap 2
	ds_read_b64 v[8:9], v0
	v_accvgpr_read_b32 v10, a14
	v_accvgpr_read_b32 v11, a15
	v_add_co_u32_e32 v10, vcc, v10, v44
	v_addc_co_u32_e32 v11, vcc, 0, v11, vcc
	v_accvgpr_write_b32 a15, v11
	v_accvgpr_write_b32 a14, v10
	s_waitcnt lgkmcnt(0)
	v_cmp_lt_u64_e32 vcc, v[8:9], v[10:11]
	s_and_saveexec_b64 s[62:63], vcc
	s_cbranch_execz .LBB2_95
; %bb.87:                               ;   in Loop: Header=BB2_57 Depth=2
	s_mov_b32 s74, 0
	s_mov_b64 s[64:65], 0
                                        ; implicit-def: $sgpr66_sgpr67
                                        ; implicit-def: $sgpr68_sgpr69
	s_branch .LBB2_89
.LBB2_88:                               ;   in Loop: Header=BB2_89 Depth=3
	s_or_b64 exec, exec, s[72:73]
	s_and_b64 vcc, exec, vcc
	s_or_b64 s[64:65], vcc, s[64:65]
	s_andn2_b64 vcc, s[66:67], exec
	s_and_b64 s[46:47], s[68:69], exec
	s_or_b64 s[66:67], vcc, s[46:47]
	s_andn2_b64 exec, exec, s[64:65]
	s_cbranch_execz .LBB2_93
.LBB2_89:                               ;   Parent Loop BB2_47 Depth=1
                                        ;     Parent Loop BB2_57 Depth=2
                                        ; =>    This Inner Loop Header: Depth=3
	s_add_i32 s74, s74, 1
	s_cmpk_lg_i32 s74, 0x2710
	s_cselect_b64 s[70:71], -1, 0
	s_and_b64 vcc, exec, s[70:71]
                                        ; implicit-def: $sgpr72_sgpr73
	s_cbranch_vccnz .LBB2_91
; %bb.90:                               ;   in Loop: Header=BB2_89 Depth=3
	s_trap 2
	ds_read_b64 v[8:9], v0
	s_andn2_b64 s[70:71], s[70:71], exec
	s_mov_b32 s74, 0
	s_mov_b64 s[72:73], -1
	s_waitcnt lgkmcnt(0)
	flat_load_dword v0, v[8:9] glc
	s_waitcnt vmcnt(0) lgkmcnt(0)
	buffer_invl2
	buffer_wbinvl1_vol
	v_cmp_eq_u32_e32 vcc, 0, v0
	s_and_b64 vcc, vcc, exec
	s_or_b64 s[70:71], s[70:71], vcc
.LBB2_91:                               ;   in Loop: Header=BB2_89 Depth=3
	s_andn2_b64 s[68:69], s[68:69], exec
	s_and_b64 s[72:73], s[72:73], exec
	s_mov_b64 vcc, -1
	s_or_b64 s[68:69], s[68:69], s[72:73]
	s_and_saveexec_b64 s[72:73], s[70:71]
	s_cbranch_execz .LBB2_88
; %bb.92:                               ;   in Loop: Header=BB2_89 Depth=3
	s_sleep 1
	s_trap 2
	ds_read_b64 v[8:9], v0
	v_accvgpr_read_b32 v10, a14
	v_accvgpr_read_b32 v11, a15
	s_andn2_b64 s[68:69], s[68:69], exec
	s_waitcnt lgkmcnt(0)
	v_cmp_ge_u64_e32 vcc, v[8:9], v[10:11]
	s_orn2_b64 vcc, vcc, exec
	s_branch .LBB2_88
.LBB2_93:                               ;   in Loop: Header=BB2_57 Depth=2
	s_or_b64 exec, exec, s[64:65]
	s_and_saveexec_b64 vcc, s[66:67]
	s_xor_b64 vcc, exec, vcc
	s_cbranch_execz .LBB2_95
; %bb.94:                               ;   in Loop: Header=BB2_57 Depth=2
	v_mov_b32_e32 v0, 1
	ds_write_b32 v0, v0
	s_trap 2
.LBB2_95:                               ;   in Loop: Header=BB2_57 Depth=2
	s_or_b64 exec, exec, s[62:63]
	;;#ASMSTART
	s_wakeup
	;;#ASMEND
.LBB2_96:                               ;   in Loop: Header=BB2_57 Depth=2
	s_or_b64 exec, exec, s[60:61]
.LBB2_97:                               ;   in Loop: Header=BB2_57 Depth=2
	s_andn2_saveexec_b64 vcc, s[58:59]
	s_cbranch_execz .LBB2_99
; %bb.98:                               ;   in Loop: Header=BB2_57 Depth=2
	s_waitcnt vmcnt(0) lgkmcnt(0)
	buffer_wbinvl1_vol
	s_barrier
.LBB2_99:                               ;   in Loop: Header=BB2_57 Depth=2
	s_or_b64 exec, exec, vcc
.LBB2_100:                              ;   in Loop: Header=BB2_57 Depth=2
	s_or_b64 exec, exec, s[26:27]
	s_trap 2
	ds_read_b32 v3, v0
	v_and_b32_e32 v0, 0x4000, v60
	v_cmp_ne_u32_e32 vcc, 0, v0
	s_xor_b64 s[26:27], s[6:7], -1
	s_and_b64 vcc, s[26:27], vcc
	s_and_saveexec_b64 s[26:27], vcc
	s_cbranch_execz .LBB2_119
; %bb.101:                              ;   in Loop: Header=BB2_57 Depth=2
	s_and_saveexec_b64 vcc, s[44:45]
	s_xor_b64 s[58:59], exec, vcc
	s_cbranch_execz .LBB2_116
; %bb.102:                              ;   in Loop: Header=BB2_57 Depth=2
	s_and_saveexec_b64 s[60:61], s[16:17]
	s_cbranch_execz .LBB2_115
; %bb.103:                              ;   in Loop: Header=BB2_57 Depth=2
	s_mov_b64 s[64:65], exec
	v_mbcnt_lo_u32_b32 v0, s64, 0
	v_mbcnt_hi_u32_b32 v0, s65, v0
	v_cmp_eq_u32_e32 vcc, 0, v0
	s_waitcnt vmcnt(0) lgkmcnt(0)
	buffer_wbinvl1_vol
	s_and_saveexec_b64 s[62:63], vcc
	s_cbranch_execz .LBB2_105
; %bb.104:                              ;   in Loop: Header=BB2_57 Depth=2
	s_bcnt1_i32_b64 vcc_lo, s[64:65]
	v_mov_b32_e32 v50, vcc_lo
	ds_add_u64 v0, v[50:51]
	s_trap 2
.LBB2_105:                              ;   in Loop: Header=BB2_57 Depth=2
	s_or_b64 exec, exec, s[62:63]
	s_trap 2
	ds_read_b64 v[8:9], v0
	v_accvgpr_read_b32 v10, a14
	v_accvgpr_read_b32 v11, a15
	v_add_co_u32_e32 v10, vcc, v10, v44
	v_addc_co_u32_e32 v11, vcc, 0, v11, vcc
	v_accvgpr_write_b32 a15, v11
	v_accvgpr_write_b32 a14, v10
	s_waitcnt lgkmcnt(0)
	v_cmp_lt_u64_e32 vcc, v[8:9], v[10:11]
	s_and_saveexec_b64 s[62:63], vcc
	s_cbranch_execz .LBB2_114
; %bb.106:                              ;   in Loop: Header=BB2_57 Depth=2
	s_mov_b32 s74, 0
	s_mov_b64 s[64:65], 0
                                        ; implicit-def: $sgpr66_sgpr67
                                        ; implicit-def: $sgpr68_sgpr69
	s_branch .LBB2_108
.LBB2_107:                              ;   in Loop: Header=BB2_108 Depth=3
	s_or_b64 exec, exec, s[72:73]
	s_and_b64 vcc, exec, vcc
	s_or_b64 s[64:65], vcc, s[64:65]
	s_andn2_b64 vcc, s[66:67], exec
	s_and_b64 s[46:47], s[68:69], exec
	s_or_b64 s[66:67], vcc, s[46:47]
	s_andn2_b64 exec, exec, s[64:65]
	s_cbranch_execz .LBB2_112
.LBB2_108:                              ;   Parent Loop BB2_47 Depth=1
                                        ;     Parent Loop BB2_57 Depth=2
                                        ; =>    This Inner Loop Header: Depth=3
	s_add_i32 s74, s74, 1
	s_cmpk_lg_i32 s74, 0x2710
	s_cselect_b64 s[70:71], -1, 0
	s_and_b64 vcc, exec, s[70:71]
                                        ; implicit-def: $sgpr72_sgpr73
	s_cbranch_vccnz .LBB2_110
; %bb.109:                              ;   in Loop: Header=BB2_108 Depth=3
	s_trap 2
	ds_read_b64 v[8:9], v0
	s_andn2_b64 s[70:71], s[70:71], exec
	s_mov_b32 s74, 0
	s_mov_b64 s[72:73], -1
	s_waitcnt lgkmcnt(0)
	flat_load_dword v0, v[8:9] glc
	s_waitcnt vmcnt(0) lgkmcnt(0)
	buffer_invl2
	buffer_wbinvl1_vol
	v_cmp_eq_u32_e32 vcc, 0, v0
	s_and_b64 vcc, vcc, exec
	s_or_b64 s[70:71], s[70:71], vcc
.LBB2_110:                              ;   in Loop: Header=BB2_108 Depth=3
	s_andn2_b64 s[68:69], s[68:69], exec
	s_and_b64 s[72:73], s[72:73], exec
	s_mov_b64 vcc, -1
	s_or_b64 s[68:69], s[68:69], s[72:73]
	s_and_saveexec_b64 s[72:73], s[70:71]
	s_cbranch_execz .LBB2_107
; %bb.111:                              ;   in Loop: Header=BB2_108 Depth=3
	s_sleep 1
	s_trap 2
	ds_read_b64 v[8:9], v0
	v_accvgpr_read_b32 v10, a14
	v_accvgpr_read_b32 v11, a15
	s_andn2_b64 s[68:69], s[68:69], exec
	s_waitcnt lgkmcnt(0)
	v_cmp_ge_u64_e32 vcc, v[8:9], v[10:11]
	s_orn2_b64 vcc, vcc, exec
	s_branch .LBB2_107
.LBB2_112:                              ;   in Loop: Header=BB2_57 Depth=2
	s_or_b64 exec, exec, s[64:65]
	s_and_saveexec_b64 vcc, s[66:67]
	s_xor_b64 vcc, exec, vcc
	s_cbranch_execz .LBB2_114
; %bb.113:                              ;   in Loop: Header=BB2_57 Depth=2
	v_mov_b32_e32 v0, 1
	ds_write_b32 v0, v0
	s_trap 2
.LBB2_114:                              ;   in Loop: Header=BB2_57 Depth=2
	s_or_b64 exec, exec, s[62:63]
	;;#ASMSTART
	s_wakeup
	;;#ASMEND
.LBB2_115:                              ;   in Loop: Header=BB2_57 Depth=2
	s_or_b64 exec, exec, s[60:61]
.LBB2_116:                              ;   in Loop: Header=BB2_57 Depth=2
	s_andn2_saveexec_b64 vcc, s[58:59]
	s_cbranch_execz .LBB2_118
; %bb.117:                              ;   in Loop: Header=BB2_57 Depth=2
	s_waitcnt vmcnt(0) lgkmcnt(0)
	buffer_wbinvl1_vol
	s_barrier
.LBB2_118:                              ;   in Loop: Header=BB2_57 Depth=2
	s_or_b64 exec, exec, vcc
.LBB2_119:                              ;   in Loop: Header=BB2_57 Depth=2
	s_or_b64 exec, exec, s[26:27]
	s_trap 2
	ds_read_b64 v[8:9], v0
	v_mov_b32_e32 v0, 0
	s_waitcnt lgkmcnt(0)
	v_readfirstlane_b32 s26, v8
	v_readfirstlane_b32 s27, v9
	s_cmp_eq_u64 s[26:27], 0
	s_cselect_b64 s[26:27], -1, 0
	s_or_b64 s[26:27], s[26:27], s[26:27]
	s_and_b64 vcc, exec, s[26:27]
	s_cbranch_vccnz .LBB2_140
; %bb.120:                              ;   in Loop: Header=BB2_57 Depth=2
	s_mov_b64 s[26:27], -1
	s_and_saveexec_b64 s[58:59], s[18:19]
	s_cbranch_execz .LBB2_122
; %bb.121:                              ;   in Loop: Header=BB2_57 Depth=2
	ds_read_b32 v0, v0 offset:720
	s_waitcnt lgkmcnt(0)
	v_and_b32_e32 v0, 15, v0
	v_cmp_eq_u32_e32 vcc, 0, v0
	s_orn2_b64 s[26:27], vcc, exec
.LBB2_122:                              ;   in Loop: Header=BB2_57 Depth=2
	s_or_b64 exec, exec, s[58:59]
	s_and_saveexec_b64 s[58:59], s[20:21]
	s_cbranch_execz .LBB2_124
; %bb.123:                              ;   in Loop: Header=BB2_57 Depth=2
	ds_read_b32 v0, v0 offset:784
	s_waitcnt lgkmcnt(0)
	v_and_b32_e32 v0, 15, v0
	v_cmp_eq_u32_e32 vcc, 0, v0
	s_and_b64 vcc, s[26:27], vcc
	s_andn2_b64 s[26:27], s[26:27], exec
	s_and_b64 vcc, vcc, exec
	s_or_b64 s[26:27], s[26:27], vcc
.LBB2_124:                              ;   in Loop: Header=BB2_57 Depth=2
	s_or_b64 exec, exec, s[58:59]
	s_xor_b64 s[26:27], s[26:27], -1
	v_cmp_eq_u32_e32 vcc, 0, v3
	v_cndmask_b32_e64 v3, 0, 1, s[26:27]
	v_cndmask_b32_e32 v0, 0, v2, vcc
	;;#ASMSTART
	;;#ASMEND
	v_mov_b32_e32 v7, 0
	s_mov_b64 s[60:61], -1
	v_cmp_ne_u32_e32 vcc, 0, v3
	v_mov_b32_e32 v11, v0
	v_mov_b32_e32 v14, v40
	v_accvgpr_read_b32 v3, a31
	s_cbranch_vccz .LBB2_141
; %bb.125:                              ;   in Loop: Header=BB2_57 Depth=2
	s_and_saveexec_b64 s[26:27], s[60:61]
	s_cbranch_execz .LBB2_154
.LBB2_126:                              ;   in Loop: Header=BB2_57 Depth=2
	v_ashrrev_i32_e32 v8, 31, v11
	v_lshrrev_b32_e32 v8, 23, v8
	v_add_u32_e32 v8, v11, v8
	v_ashrrev_i32_e32 v17, 9, v8
	v_sub_u32_e32 v15, v17, v3
	v_ashrrev_i32_e32 v8, 31, v14
	v_cmp_lt_i32_e32 vcc, 0, v15
	v_lshrrev_b32_e32 v16, 26, v8
	s_and_saveexec_b64 s[58:59], vcc
	s_cbranch_execz .LBB2_130
; %bb.127:                              ;   in Loop: Header=BB2_57 Depth=2
	s_trap 2
	ds_read_b64 v[8:9], v0
	v_add_u32_e32 v10, v14, v16
	v_and_b32_e32 v10, 0xffffffc0, v10
	v_sub_u32_e32 v10, v14, v10
	v_lshlrev_b32_e32 v3, 9, v3
	v_add3_u32 v10, v7, v10, v3
	v_ashrrev_i32_e32 v3, 31, v10
	s_mov_b64 s[60:61], 0
	s_waitcnt lgkmcnt(0)
	v_pk_mov_b32 v[12:13], v[8:9], v[8:9] op_sel:[0,1]
	v_accvgpr_read_b32 v28, a34
	v_accvgpr_read_b32 v29, a35
.LBB2_128:                              ;   Parent Loop BB2_47 Depth=1
                                        ;     Parent Loop BB2_57 Depth=2
                                        ; =>    This Inner Loop Header: Depth=3
	v_add_co_u32_e32 v18, vcc, v10, v12
	v_addc_co_u32_e32 v19, vcc, v3, v13, vcc
	flat_load_ubyte v20, v[18:19] glc slc
	flat_load_ubyte v21, v[18:19] offset:64 glc slc
	flat_load_ubyte v22, v[18:19] offset:128 glc slc
	;; [unrolled: 1-line block ×7, first 2 shown]
	v_add_co_u32_e32 v18, vcc, v10, v8
	v_addc_co_u32_e32 v19, vcc, v3, v9, vcc
	v_add_co_u32_e32 v12, vcc, v12, v28
	v_addc_co_u32_e32 v13, vcc, v13, v29, vcc
	v_add_co_u32_e32 v8, vcc, v8, v28
	v_sub_u32_e32 v15, v15, v44
	v_addc_co_u32_e32 v9, vcc, v9, v29, vcc
	v_cmp_gt_i32_e32 vcc, 1, v15
	s_or_b64 s[60:61], vcc, s[60:61]
	s_waitcnt vmcnt(0) lgkmcnt(0)
	flat_store_byte v[18:19], v20 glc slc
	flat_store_byte v[18:19], v21 offset:64 glc slc
	flat_store_byte v[18:19], v22 offset:128 glc slc
	flat_store_byte v[18:19], v23 offset:192 glc slc
	flat_store_byte v[18:19], v24 offset:256 glc slc
	flat_store_byte v[18:19], v25 offset:320 glc slc
	flat_store_byte v[18:19], v26 offset:384 glc slc
	flat_store_byte v[18:19], v27 offset:448 glc slc
	s_andn2_b64 exec, exec, s[60:61]
	s_cbranch_execnz .LBB2_128
; %bb.129:                              ;   in Loop: Header=BB2_57 Depth=2
	s_or_b64 exec, exec, s[60:61]
.LBB2_130:                              ;   in Loop: Header=BB2_57 Depth=2
	s_or_b64 exec, exec, s[58:59]
	v_lshlrev_b32_e32 v3, 9, v17
	v_cmp_ne_u32_e32 vcc, v11, v3
	s_mov_b64 s[58:59], exec
	s_and_b64 vcc, s[58:59], vcc
	v_accvgpr_read_b32 v17, a36
	v_accvgpr_read_b32 v18, a37
	s_mov_b64 exec, vcc
	s_cbranch_execz .LBB2_134
; %bb.131:                              ;   in Loop: Header=BB2_57 Depth=2
	v_add_u32_e32 v8, v14, v16
	v_and_b32_e32 v8, 0xffffffc0, v8
	v_sub_u32_e32 v8, v14, v8
	v_lshlrev_b32_e32 v9, 6, v15
	v_sub_u32_e32 v8, v8, v9
	v_add_u32_e32 v3, v3, v8
	v_sub_u32_e32 v11, v11, v3
	v_cmp_lt_i32_e32 vcc, 0, v11
	s_and_b64 exec, exec, vcc
	s_cbranch_execz .LBB2_134
; %bb.132:                              ;   in Loop: Header=BB2_57 Depth=2
	s_trap 2
	ds_read_b64 v[8:9], v0
	v_add_u32_e32 v10, v3, v7
	v_ashrrev_i32_e32 v3, 31, v10
	s_mov_b64 s[60:61], 0
.LBB2_133:                              ;   Parent Loop BB2_47 Depth=1
                                        ;     Parent Loop BB2_57 Depth=2
                                        ; =>    This Inner Loop Header: Depth=3
	s_waitcnt lgkmcnt(0)
	v_add_co_u32_e32 v12, vcc, v8, v10
	v_addc_co_u32_e32 v13, vcc, v9, v3, vcc
	flat_load_ubyte v7, v[12:13] glc slc
	v_add_co_u32_e32 v10, vcc, v10, v17
	v_sub_u32_e32 v11, v11, v41
	v_addc_co_u32_e32 v3, vcc, v3, v18, vcc
	v_cmp_gt_i32_e32 vcc, 1, v11
	s_or_b64 s[60:61], vcc, s[60:61]
	s_waitcnt vmcnt(0) lgkmcnt(0)
	flat_store_byte v[12:13], v7 glc slc
	s_andn2_b64 exec, exec, s[60:61]
	s_cbranch_execnz .LBB2_133
.LBB2_134:                              ;   in Loop: Header=BB2_57 Depth=2
	s_or_b64 exec, exec, s[58:59]
	s_or_b64 exec, exec, s[26:27]
	s_and_saveexec_b64 s[26:27], s[10:11]
	s_cbranch_execnz .LBB2_155
.LBB2_135:                              ;   in Loop: Header=BB2_57 Depth=2
	s_or_b64 exec, exec, s[26:27]
                                        ; implicit-def: $vgpr3
	s_and_saveexec_b64 s[26:27], s[24:25]
	s_xor_b64 s[58:59], exec, s[26:27]
	s_cbranch_execz .LBB2_173
.LBB2_136:                              ;   in Loop: Header=BB2_57 Depth=2
	v_cmp_lt_i32_e32 vcc, 0, v0
	v_and_b32_e32 v0, 16, v60
	v_cmp_ne_u32_e64 s[26:27], 0, v0
	v_and_b32_e32 v3, 16, v60
	s_and_b64 vcc, s[26:27], vcc
	s_and_saveexec_b64 s[26:27], vcc
	s_cbranch_execz .LBB2_138
; %bb.137:                              ;   in Loop: Header=BB2_57 Depth=2
	v_mov_b32_e32 v3, 1
	s_waitcnt vmcnt(0) lgkmcnt(0)
	buffer_wbinvl1_vol
.LBB2_138:                              ;   in Loop: Header=BB2_57 Depth=2
	s_or_b64 exec, exec, s[26:27]
	s_andn2_saveexec_b64 s[26:27], s[58:59]
	s_cbranch_execnz .LBB2_174
.LBB2_139:                              ;   in Loop: Header=BB2_57 Depth=2
	s_or_b64 exec, exec, s[26:27]
	v_cmp_ne_u32_e32 vcc, 0, v3
	s_and_saveexec_b64 s[26:27], vcc
	s_cbranch_execz .LBB2_56
	s_branch .LBB2_192
.LBB2_140:                              ;   in Loop: Header=BB2_57 Depth=2
	s_and_saveexec_b64 s[26:27], s[10:11]
	s_cbranch_execnz .LBB2_155
	s_branch .LBB2_135
.LBB2_141:                              ;   in Loop: Header=BB2_57 Depth=2
	v_ashrrev_i32_e32 v7, 31, v0
	v_lshrrev_b32_e32 v7, 22, v7
	v_add_u32_e32 v7, v0, v7
	v_and_b32_e32 v12, 0xfffffc00, v7
	v_accvgpr_read_b32 v8, a24
	v_sub_u32_e32 v16, v0, v12
	v_sub_u32_e32 v3, v0, v8
	v_ashrrev_i32_e32 v8, 10, v7
	v_cmp_lt_i32_e32 vcc, 15, v16
	v_accvgpr_read_b32 v7, a41
	v_addc_co_u32_e64 v15, s[26:27], v8, v7, vcc
	v_cmp_lt_i32_e64 s[26:27], 15, v3
	v_accvgpr_read_b32 v9, a25
	s_and_saveexec_b64 s[58:59], s[26:27]
	s_cbranch_execz .LBB2_145
; %bb.142:                              ;   in Loop: Header=BB2_57 Depth=2
	s_trap 2
	ds_read_b64 v[8:9], v0
	v_accvgpr_read_b32 v10, a24
	s_mov_b64 s[60:61], 0
	v_accvgpr_read_b32 v11, a25
	v_accvgpr_read_b32 v7, a28
	;; [unrolled: 1-line block ×4, first 2 shown]
.LBB2_143:                              ;   Parent Loop BB2_47 Depth=1
                                        ;     Parent Loop BB2_57 Depth=2
                                        ; =>    This Inner Loop Header: Depth=3
	s_waitcnt lgkmcnt(0)
	v_add_co_u32_e64 v22, s[26:27], v8, v10
	v_addc_co_u32_e64 v23, s[26:27], v9, v11, s[26:27]
	global_load_dwordx4 v[18:21], v[22:23], off glc slc
	v_add_co_u32_e64 v10, s[26:27], v10, v13
	v_sub_u32_e32 v3, v3, v7
	v_addc_co_u32_e64 v11, s[26:27], v11, v14, s[26:27]
	v_cmp_gt_i32_e64 s[26:27], 16, v3
	v_sub_u32_e32 v15, v15, v44
	s_or_b64 s[60:61], s[26:27], s[60:61]
	s_waitcnt vmcnt(0)
	global_store_dwordx4 v[22:23], v[18:21], off glc slc
	s_andn2_b64 exec, exec, s[60:61]
	s_cbranch_execnz .LBB2_143
; %bb.144:                              ;   in Loop: Header=BB2_57 Depth=2
	s_or_b64 exec, exec, s[60:61]
.LBB2_145:                              ;   in Loop: Header=BB2_57 Depth=2
	s_or_b64 exec, exec, s[58:59]
	v_and_b32_e32 v8, 15, v0
	v_cndmask_b32_e32 v13, v16, v8, vcc
	v_cmp_ne_u32_e64 s[26:27], 0, v13
	s_mov_b64 s[60:61], 0
	v_mov_b32_e32 v7, 0
                                        ; implicit-def: $vgpr11
                                        ; implicit-def: $vgpr14
                                        ; implicit-def: $vgpr3
	s_and_saveexec_b64 s[58:59], s[26:27]
	s_cbranch_execz .LBB2_153
; %bb.146:                              ;   in Loop: Header=BB2_57 Depth=2
	v_sub_u32_e32 v3, v16, v8
	v_cndmask_b32_e32 v3, 0, v3, vcc
	v_cmp_lt_i32_e32 vcc, 0, v15
	v_add_u32_e32 v12, v3, v12
	v_cndmask_b32_e32 v3, 0, v44, vcc
	v_sub_u32_e32 v3, v3, v15
	v_accvgpr_read_b32 v7, a40
	v_lshl_add_u32 v3, v3, 6, v7
	v_ashrrev_i32_e32 v7, 31, v3
	v_lshrrev_b32_e32 v7, 26, v7
	v_ashrrev_i32_e32 v9, 31, v13
	v_add_u32_e32 v7, v3, v7
	v_lshrrev_b32_e32 v9, 22, v9
	v_ashrrev_i32_e32 v8, 6, v7
	v_and_b32_e32 v7, 0xffffffc0, v7
	v_add_u32_e32 v9, v13, v9
	v_sub_u32_e32 v15, v3, v7
	v_and_b32_e32 v16, 0xfffffc00, v9
	v_lshlrev_b32_e32 v3, 4, v15
	v_sub_u32_e32 v18, v13, v16
	v_lshl_add_u32 v3, v8, 10, v3
	v_ashrrev_i32_e32 v10, 10, v9
	v_cmp_lt_i32_e32 vcc, 15, v18
	v_sub_u32_e32 v7, v13, v3
	v_addc_co_u32_e64 v9, s[26:27], 0, v10, vcc
	v_sub_u32_e32 v17, v9, v8
	v_cmp_lt_i32_e64 s[26:27], 15, v7
	s_and_saveexec_b64 s[60:61], s[26:27]
	s_cbranch_execz .LBB2_150
; %bb.147:                              ;   in Loop: Header=BB2_57 Depth=2
	s_trap 2
	ds_read_b64 v[8:9], v0
	v_add_u32_e32 v10, v3, v12
	v_ashrrev_i32_e32 v3, 31, v10
	s_mov_b64 s[62:63], 0
	v_accvgpr_read_b32 v11, a28
	v_accvgpr_read_b32 v14, a42
	;; [unrolled: 1-line block ×3, first 2 shown]
.LBB2_148:                              ;   Parent Loop BB2_47 Depth=1
                                        ;     Parent Loop BB2_57 Depth=2
                                        ; =>    This Inner Loop Header: Depth=3
	s_waitcnt lgkmcnt(0)
	v_add_co_u32_e64 v26, s[26:27], v8, v10
	v_addc_co_u32_e64 v27, s[26:27], v9, v3, s[26:27]
	global_load_dwordx4 v[20:23], v[26:27], off glc slc
	v_add_co_u32_e64 v10, s[26:27], v10, v14
	v_sub_u32_e32 v7, v7, v11
	v_addc_co_u32_e64 v3, s[26:27], v3, v19, s[26:27]
	v_cmp_gt_i32_e64 s[26:27], 16, v7
	v_sub_u32_e32 v17, v17, v44
	s_or_b64 s[62:63], s[26:27], s[62:63]
	s_waitcnt vmcnt(0)
	global_store_dwordx4 v[26:27], v[20:23], off glc slc
	s_andn2_b64 exec, exec, s[62:63]
	s_cbranch_execnz .LBB2_148
; %bb.149:                              ;   in Loop: Header=BB2_57 Depth=2
	s_or_b64 exec, exec, s[62:63]
.LBB2_150:                              ;   in Loop: Header=BB2_57 Depth=2
	s_or_b64 exec, exec, s[60:61]
	v_and_b32_e32 v8, 15, v13
	v_cndmask_b32_e32 v11, v18, v8, vcc
	v_cmp_ne_u32_e64 s[26:27], 0, v11
	s_mov_b64 s[60:61], 0
	v_mov_b32_e32 v7, 0
                                        ; implicit-def: $vgpr14
                                        ; implicit-def: $vgpr3
	s_and_saveexec_b64 s[62:63], s[26:27]
	s_cbranch_execz .LBB2_152
; %bb.151:                              ;   in Loop: Header=BB2_57 Depth=2
	v_sub_u32_e32 v3, v18, v8
	v_cndmask_b32_e32 v3, 0, v3, vcc
	v_cmp_lt_i32_e32 vcc, 0, v17
	v_add3_u32 v7, v16, v12, v3
	v_cndmask_b32_e32 v3, 0, v44, vcc
	v_sub_u32_e32 v3, v3, v17
	v_lshl_add_u32 v14, v3, 6, v15
	v_ashrrev_i32_e32 v3, 31, v14
	v_lshrrev_b32_e32 v3, 26, v3
	v_add_u32_e32 v3, v14, v3
	s_mov_b64 s[60:61], exec
	v_ashrrev_i32_e32 v3, 6, v3
.LBB2_152:                              ;   in Loop: Header=BB2_57 Depth=2
	s_or_b64 exec, exec, s[62:63]
	s_and_b64 s[60:61], s[60:61], exec
.LBB2_153:                              ;   in Loop: Header=BB2_57 Depth=2
	s_or_b64 exec, exec, s[58:59]
	s_and_saveexec_b64 s[26:27], s[60:61]
	s_cbranch_execnz .LBB2_126
.LBB2_154:                              ;   in Loop: Header=BB2_57 Depth=2
	s_or_b64 exec, exec, s[26:27]
	s_and_saveexec_b64 s[26:27], s[10:11]
	s_cbranch_execz .LBB2_135
.LBB2_155:                              ;   in Loop: Header=BB2_57 Depth=2
	s_and_saveexec_b64 vcc, s[44:45]
	s_xor_b64 s[58:59], exec, vcc
	s_cbranch_execz .LBB2_170
; %bb.156:                              ;   in Loop: Header=BB2_57 Depth=2
	s_and_saveexec_b64 s[60:61], s[16:17]
	s_cbranch_execz .LBB2_169
; %bb.157:                              ;   in Loop: Header=BB2_57 Depth=2
	s_mov_b64 s[64:65], exec
	v_mbcnt_lo_u32_b32 v3, s64, 0
	v_mbcnt_hi_u32_b32 v3, s65, v3
	v_cmp_eq_u32_e32 vcc, 0, v3
	s_waitcnt vmcnt(0) lgkmcnt(0)
	buffer_wbinvl1_vol
	s_and_saveexec_b64 s[62:63], vcc
	s_cbranch_execz .LBB2_159
; %bb.158:                              ;   in Loop: Header=BB2_57 Depth=2
	s_bcnt1_i32_b64 vcc_lo, s[64:65]
	v_mov_b32_e32 v50, vcc_lo
	ds_add_u64 v0, v[50:51]
	s_trap 2
.LBB2_159:                              ;   in Loop: Header=BB2_57 Depth=2
	s_or_b64 exec, exec, s[62:63]
	s_trap 2
	ds_read_b64 v[8:9], v0
	v_accvgpr_read_b32 v10, a14
	v_accvgpr_read_b32 v11, a15
	v_add_co_u32_e32 v10, vcc, v10, v44
	v_addc_co_u32_e32 v11, vcc, 0, v11, vcc
	v_accvgpr_write_b32 a15, v11
	v_accvgpr_write_b32 a14, v10
	s_waitcnt lgkmcnt(0)
	v_cmp_lt_u64_e32 vcc, v[8:9], v[10:11]
	s_and_saveexec_b64 s[62:63], vcc
	s_cbranch_execz .LBB2_168
; %bb.160:                              ;   in Loop: Header=BB2_57 Depth=2
	s_mov_b32 s74, 0
	s_mov_b64 s[64:65], 0
                                        ; implicit-def: $sgpr66_sgpr67
                                        ; implicit-def: $sgpr68_sgpr69
	s_branch .LBB2_162
.LBB2_161:                              ;   in Loop: Header=BB2_162 Depth=3
	s_or_b64 exec, exec, s[72:73]
	s_and_b64 vcc, exec, vcc
	s_or_b64 s[64:65], vcc, s[64:65]
	s_andn2_b64 vcc, s[66:67], exec
	s_and_b64 s[46:47], s[68:69], exec
	s_or_b64 s[66:67], vcc, s[46:47]
	s_andn2_b64 exec, exec, s[64:65]
	s_cbranch_execz .LBB2_166
.LBB2_162:                              ;   Parent Loop BB2_47 Depth=1
                                        ;     Parent Loop BB2_57 Depth=2
                                        ; =>    This Inner Loop Header: Depth=3
	s_add_i32 s74, s74, 1
	s_cmpk_lg_i32 s74, 0x2710
	s_cselect_b64 s[70:71], -1, 0
	s_and_b64 vcc, exec, s[70:71]
                                        ; implicit-def: $sgpr72_sgpr73
	s_cbranch_vccnz .LBB2_164
; %bb.163:                              ;   in Loop: Header=BB2_162 Depth=3
	s_trap 2
	ds_read_b64 v[8:9], v0
	s_andn2_b64 s[70:71], s[70:71], exec
	s_mov_b32 s74, 0
	s_mov_b64 s[72:73], -1
	s_waitcnt lgkmcnt(0)
	flat_load_dword v3, v[8:9] glc
	s_waitcnt vmcnt(0) lgkmcnt(0)
	buffer_invl2
	buffer_wbinvl1_vol
	v_cmp_eq_u32_e32 vcc, 0, v3
	s_and_b64 vcc, vcc, exec
	s_or_b64 s[70:71], s[70:71], vcc
.LBB2_164:                              ;   in Loop: Header=BB2_162 Depth=3
	s_andn2_b64 s[68:69], s[68:69], exec
	s_and_b64 s[72:73], s[72:73], exec
	s_mov_b64 vcc, -1
	s_or_b64 s[68:69], s[68:69], s[72:73]
	s_and_saveexec_b64 s[72:73], s[70:71]
	s_cbranch_execz .LBB2_161
; %bb.165:                              ;   in Loop: Header=BB2_162 Depth=3
	s_sleep 1
	s_trap 2
	ds_read_b64 v[8:9], v0
	v_accvgpr_read_b32 v10, a14
	v_accvgpr_read_b32 v11, a15
	s_andn2_b64 s[68:69], s[68:69], exec
	s_waitcnt lgkmcnt(0)
	v_cmp_ge_u64_e32 vcc, v[8:9], v[10:11]
	s_orn2_b64 vcc, vcc, exec
	s_branch .LBB2_161
.LBB2_166:                              ;   in Loop: Header=BB2_57 Depth=2
	s_or_b64 exec, exec, s[64:65]
	s_and_saveexec_b64 vcc, s[66:67]
	s_xor_b64 vcc, exec, vcc
	s_cbranch_execz .LBB2_168
; %bb.167:                              ;   in Loop: Header=BB2_57 Depth=2
	v_mov_b32_e32 v3, 1
	ds_write_b32 v0, v3
	s_trap 2
.LBB2_168:                              ;   in Loop: Header=BB2_57 Depth=2
	s_or_b64 exec, exec, s[62:63]
	;;#ASMSTART
	s_wakeup
	;;#ASMEND
.LBB2_169:                              ;   in Loop: Header=BB2_57 Depth=2
	s_or_b64 exec, exec, s[60:61]
.LBB2_170:                              ;   in Loop: Header=BB2_57 Depth=2
	s_andn2_saveexec_b64 vcc, s[58:59]
	s_cbranch_execz .LBB2_172
; %bb.171:                              ;   in Loop: Header=BB2_57 Depth=2
	s_waitcnt vmcnt(0) lgkmcnt(0)
	buffer_wbinvl1_vol
	s_barrier
.LBB2_172:                              ;   in Loop: Header=BB2_57 Depth=2
	s_or_b64 exec, exec, vcc
	s_or_b64 exec, exec, s[26:27]
                                        ; implicit-def: $vgpr3
	s_and_saveexec_b64 s[26:27], s[24:25]
	s_xor_b64 s[58:59], exec, s[26:27]
	s_cbranch_execnz .LBB2_136
.LBB2_173:                              ;   in Loop: Header=BB2_57 Depth=2
	s_andn2_saveexec_b64 s[26:27], s[58:59]
	s_cbranch_execz .LBB2_139
.LBB2_174:                              ;   in Loop: Header=BB2_57 Depth=2
	s_and_saveexec_b64 vcc, s[44:45]
	s_xor_b64 s[58:59], exec, vcc
	s_cbranch_execz .LBB2_189
; %bb.175:                              ;   in Loop: Header=BB2_57 Depth=2
	s_and_saveexec_b64 s[60:61], s[16:17]
	s_cbranch_execz .LBB2_188
; %bb.176:                              ;   in Loop: Header=BB2_57 Depth=2
	s_mov_b64 s[64:65], exec
	v_mbcnt_lo_u32_b32 v0, s64, 0
	v_mbcnt_hi_u32_b32 v0, s65, v0
	v_cmp_eq_u32_e32 vcc, 0, v0
	;;#ASMSTART
	s_waitcnt lgkmcnt(0) vmcnt(0)
	;;#ASMEND
	s_and_saveexec_b64 s[62:63], vcc
	s_cbranch_execz .LBB2_178
; %bb.177:                              ;   in Loop: Header=BB2_57 Depth=2
	s_bcnt1_i32_b64 vcc_lo, s[64:65]
	v_mov_b32_e32 v50, vcc_lo
	ds_add_u64 v0, v[50:51]
	s_trap 2
.LBB2_178:                              ;   in Loop: Header=BB2_57 Depth=2
	s_or_b64 exec, exec, s[62:63]
	s_trap 2
	ds_read_b64 v[8:9], v0
	v_accvgpr_read_b32 v10, a14
	v_accvgpr_read_b32 v11, a15
	v_add_co_u32_e32 v10, vcc, v10, v44
	v_addc_co_u32_e32 v11, vcc, 0, v11, vcc
	v_accvgpr_write_b32 a15, v11
	v_accvgpr_write_b32 a14, v10
	s_waitcnt lgkmcnt(0)
	v_cmp_lt_u64_e32 vcc, v[8:9], v[10:11]
	s_and_saveexec_b64 s[62:63], vcc
	s_cbranch_execz .LBB2_187
; %bb.179:                              ;   in Loop: Header=BB2_57 Depth=2
	s_mov_b32 s74, 0
	s_mov_b64 s[64:65], 0
                                        ; implicit-def: $sgpr66_sgpr67
                                        ; implicit-def: $sgpr68_sgpr69
	s_branch .LBB2_181
.LBB2_180:                              ;   in Loop: Header=BB2_181 Depth=3
	s_or_b64 exec, exec, s[72:73]
	s_and_b64 vcc, exec, vcc
	s_or_b64 s[64:65], vcc, s[64:65]
	s_andn2_b64 vcc, s[66:67], exec
	s_and_b64 s[46:47], s[68:69], exec
	s_or_b64 s[66:67], vcc, s[46:47]
	s_andn2_b64 exec, exec, s[64:65]
	s_cbranch_execz .LBB2_185
.LBB2_181:                              ;   Parent Loop BB2_47 Depth=1
                                        ;     Parent Loop BB2_57 Depth=2
                                        ; =>    This Inner Loop Header: Depth=3
	s_add_i32 s74, s74, 1
	s_cmpk_lg_i32 s74, 0x2710
	s_cselect_b64 s[70:71], -1, 0
	s_and_b64 vcc, exec, s[70:71]
                                        ; implicit-def: $sgpr72_sgpr73
	s_cbranch_vccnz .LBB2_183
; %bb.182:                              ;   in Loop: Header=BB2_181 Depth=3
	s_trap 2
	ds_read_b64 v[8:9], v0
	s_andn2_b64 s[70:71], s[70:71], exec
	s_mov_b32 s74, 0
	s_mov_b64 s[72:73], -1
	s_waitcnt vmcnt(0) lgkmcnt(0)
	flat_load_dword v0, v[8:9] glc
	s_waitcnt vmcnt(0) lgkmcnt(0)
	buffer_invl2
	buffer_wbinvl1_vol
	v_cmp_eq_u32_e32 vcc, 0, v0
	s_and_b64 vcc, vcc, exec
	s_or_b64 s[70:71], s[70:71], vcc
.LBB2_183:                              ;   in Loop: Header=BB2_181 Depth=3
	s_andn2_b64 s[68:69], s[68:69], exec
	s_and_b64 s[72:73], s[72:73], exec
	s_mov_b64 vcc, -1
	s_or_b64 s[68:69], s[68:69], s[72:73]
	s_and_saveexec_b64 s[72:73], s[70:71]
	s_cbranch_execz .LBB2_180
; %bb.184:                              ;   in Loop: Header=BB2_181 Depth=3
	s_sleep 1
	s_trap 2
	ds_read_b64 v[8:9], v0
	v_accvgpr_read_b32 v10, a14
	v_accvgpr_read_b32 v11, a15
	s_andn2_b64 s[68:69], s[68:69], exec
	s_waitcnt lgkmcnt(0)
	v_cmp_ge_u64_e32 vcc, v[8:9], v[10:11]
	s_orn2_b64 vcc, vcc, exec
	s_branch .LBB2_180
.LBB2_185:                              ;   in Loop: Header=BB2_57 Depth=2
	s_or_b64 exec, exec, s[64:65]
	s_and_saveexec_b64 vcc, s[66:67]
	s_xor_b64 vcc, exec, vcc
	s_cbranch_execz .LBB2_187
; %bb.186:                              ;   in Loop: Header=BB2_57 Depth=2
	v_mov_b32_e32 v0, 1
	ds_write_b32 v0, v0
	s_trap 2
.LBB2_187:                              ;   in Loop: Header=BB2_57 Depth=2
	s_or_b64 exec, exec, s[62:63]
	;;#ASMSTART
	s_wakeup
	;;#ASMEND
.LBB2_188:                              ;   in Loop: Header=BB2_57 Depth=2
	s_or_b64 exec, exec, s[60:61]
.LBB2_189:                              ;   in Loop: Header=BB2_57 Depth=2
	s_andn2_saveexec_b64 vcc, s[58:59]
	s_cbranch_execz .LBB2_191
; %bb.190:                              ;   in Loop: Header=BB2_57 Depth=2
	;;#ASMSTART
	s_waitcnt lgkmcnt(0) vmcnt(0)
	;;#ASMEND
	s_barrier
.LBB2_191:                              ;   in Loop: Header=BB2_57 Depth=2
	s_or_b64 exec, exec, vcc
	v_and_b32_e32 v3, 16, v60
	s_or_b64 exec, exec, s[26:27]
	v_cmp_ne_u32_e32 vcc, 0, v3
	s_and_saveexec_b64 s[26:27], vcc
	s_cbranch_execz .LBB2_56
.LBB2_192:                              ;   in Loop: Header=BB2_57 Depth=2
	s_and_saveexec_b64 vcc, s[14:15]
	s_cbranch_execz .LBB2_55
; %bb.193:                              ;   in Loop: Header=BB2_57 Depth=2
	v_accvgpr_read_b32 v8, a20
	v_accvgpr_read_b32 v9, a21
	v_mov_b32_e32 v0, 1
	flat_store_dword v[8:9], v0
	s_branch .LBB2_55
.LBB2_194:                              ;   in Loop: Header=BB2_47 Depth=1
	s_or_b64 exec, exec, s[30:31]
.LBB2_195:                              ;   in Loop: Header=BB2_47 Depth=1
	s_or_b64 exec, exec, s[28:29]
	v_cmp_gt_i32_e32 vcc, 2, v0
	s_and_saveexec_b64 s[28:29], vcc
	s_cbranch_execz .LBB2_267
; %bb.196:                              ;   in Loop: Header=BB2_47 Depth=1
	v_cmp_eq_u32_e64 s[26:27], 0, v0
	s_mov_b64 s[30:31], 0
	s_branch .LBB2_199
.LBB2_197:                              ;   in Loop: Header=BB2_199 Depth=2
	s_or_b64 exec, exec, vcc
	v_add_co_u32_e32 v32, vcc, 2, v32
	v_addc_co_u32_e32 v33, vcc, 0, v33, vcc
	flat_store_dwordx2 v[34:35], v[32:33]
.LBB2_198:                              ;   in Loop: Header=BB2_199 Depth=2
	s_or_b64 exec, exec, s[26:27]
	v_add_u32_e32 v6, v2, v6
	s_mov_b64 s[26:27], 0
	s_andn2_b64 exec, exec, s[30:31]
	s_cbranch_execz .LBB2_266
.LBB2_199:                              ;   Parent Loop BB2_47 Depth=1
                                        ; =>  This Loop Header: Depth=2
                                        ;       Child Loop BB2_205 Depth 3
                                        ;       Child Loop BB2_234 Depth 3
	;; [unrolled: 1-line block ×3, first 2 shown]
	v_and_b32_e32 v0, 8, v60
	s_mov_b64 s[58:59], -1
	v_cmp_ne_u32_e32 vcc, 0, v0
	s_and_saveexec_b64 s[34:35], vcc
	s_cbranch_execz .LBB2_211
; %bb.200:                              ;   in Loop: Header=BB2_199 Depth=2
	v_add_co_u32_e32 v8, vcc, 8, v48
	v_addc_co_u32_e32 v9, vcc, 0, v49, vcc
	v_add_co_u32_e32 v4, vcc, 2, v32
	v_addc_co_u32_e32 v5, vcc, 0, v33, vcc
	v_cmp_lt_u64_e32 vcc, v[8:9], v[4:5]
	v_mov_b32_e32 v0, 1
	s_and_saveexec_b64 s[58:59], vcc
	s_cbranch_execz .LBB2_210
; %bb.201:                              ;   in Loop: Header=BB2_199 Depth=2
	s_mov_b64 s[60:61], 0
	v_mov_b32_e32 v0, 0
                                        ; implicit-def: $sgpr62_sgpr63
	s_branch .LBB2_205
.LBB2_202:                              ;   in Loop: Header=BB2_205 Depth=3
	s_or_b64 exec, exec, s[70:71]
	v_mov_b32_e32 v3, 0
	s_orn2_b64 s[68:69], s[68:69], exec
.LBB2_203:                              ;   in Loop: Header=BB2_205 Depth=3
	s_or_b64 exec, exec, s[66:67]
	s_andn2_b64 vcc, s[62:63], exec
	s_and_b64 s[62:63], s[68:69], exec
	s_or_b64 s[62:63], vcc, s[62:63]
	v_mov_b32_e32 v0, v3
.LBB2_204:                              ;   in Loop: Header=BB2_205 Depth=3
	s_or_b64 exec, exec, s[64:65]
	s_waitcnt vmcnt(0) lgkmcnt(0)
	v_add_co_u32_e32 v8, vcc, 8, v48
	v_addc_co_u32_e32 v9, vcc, 0, v49, vcc
	v_cmp_ge_u64_e32 vcc, v[8:9], v[4:5]
	s_xor_b64 s[64:65], s[62:63], -1
	s_or_b64 vcc, s[64:65], vcc
	s_and_b64 vcc, exec, vcc
	s_or_b64 s[60:61], vcc, s[60:61]
	s_andn2_b64 exec, exec, s[60:61]
	s_cbranch_execz .LBB2_209
.LBB2_205:                              ;   Parent Loop BB2_47 Depth=1
                                        ;     Parent Loop BB2_199 Depth=2
                                        ; =>    This Inner Loop Header: Depth=3
	s_sleep 1
	flat_load_dwordx2 v[48:49], v[34:35] glc
	v_and_b32_e32 v3, 64, v60
	v_cmp_eq_u32_e32 vcc, 0, v3
	s_andn2_b64 s[62:63], s[62:63], exec
	s_and_saveexec_b64 s[64:65], vcc
	s_cbranch_execz .LBB2_204
; %bb.206:                              ;   in Loop: Header=BB2_205 Depth=3
	v_add_u32_e32 v3, 1, v0
	v_cmp_lt_i32_e32 vcc, s91, v0
	s_mov_b64 s[68:69], -1
	s_and_saveexec_b64 s[66:67], vcc
	s_cbranch_execz .LBB2_203
; %bb.207:                              ;   in Loop: Header=BB2_205 Depth=3
	s_trap 2
	ds_read_b64 v[8:9], v0
	s_waitcnt vmcnt(0) lgkmcnt(0)
	flat_load_dword v0, v[8:9] glc
	s_waitcnt vmcnt(0) lgkmcnt(0)
	buffer_invl2
	buffer_wbinvl1_vol
	v_cmp_ne_u32_e32 vcc, 0, v0
	s_and_saveexec_b64 s[70:71], vcc
	s_cbranch_execz .LBB2_202
; %bb.208:                              ;   in Loop: Header=BB2_205 Depth=3
	v_or_b32_e32 v60, 64, v60
	s_xor_b64 s[68:69], exec, -1
	ds_write_b32 v0, v0
	s_trap 2
	s_branch .LBB2_202
.LBB2_209:                              ;   in Loop: Header=BB2_199 Depth=2
	s_or_b64 exec, exec, s[60:61]
	v_and_b32_e32 v0, 8, v60
.LBB2_210:                              ;   in Loop: Header=BB2_199 Depth=2
	s_or_b64 exec, exec, s[58:59]
	v_cmp_eq_u32_e32 vcc, 0, v0
	s_orn2_b64 s[58:59], vcc, exec
	;;#ASMSTART
	s_wakeup
	;;#ASMEND
.LBB2_211:                              ;   in Loop: Header=BB2_199 Depth=2
	s_or_b64 exec, exec, s[34:35]
	s_xor_b64 s[26:27], s[26:27], -1
	s_and_b64 s[26:27], exec, s[26:27]
	s_or_b64 s[30:31], s[26:27], s[30:31]
	v_sub_u32_e32 v0, v1, v6
	s_xor_b64 s[26:27], s[58:59], -1
	v_min_i32_e32 v2, v2, v0
	s_and_saveexec_b64 s[34:35], s[26:27]
	s_cbranch_execz .LBB2_226
; %bb.212:                              ;   in Loop: Header=BB2_199 Depth=2
	v_and_b32_e32 v0, 0x100, v60
	v_cmp_ne_u32_e32 vcc, 0, v0
	v_and_b32_e32 v0, 7, v32
	s_mov_b64 s[26:27], -1
                                        ; implicit-def: $vgpr4_vgpr5
	s_and_saveexec_b64 s[58:59], vcc
	s_cbranch_execz .LBB2_216
; %bb.213:                              ;   in Loop: Header=BB2_199 Depth=2
	v_accvgpr_read_b32 v4, a12
	v_accvgpr_read_b32 v5, a13
	v_mad_u64_u32 v[8:9], s[26:27], v0, 24, v[4:5]
	flat_load_dword v4, v[8:9]
	v_ashrrev_i32_e32 v3, 31, v2
	flat_store_dwordx2 v[8:9], v[2:3] offset:8
	s_waitcnt vmcnt(0) lgkmcnt(0)
	v_cmp_ne_u32_e32 vcc, 1, v4
	v_cmp_eq_u32_e64 s[26:27], 1, v4
                                        ; implicit-def: $vgpr4_vgpr5
	s_and_saveexec_b64 s[60:61], s[26:27]
	s_cbranch_execz .LBB2_215
; %bb.214:                              ;   in Loop: Header=BB2_199 Depth=2
	flat_load_dword v4, v[8:9] offset:4 glc
	s_waitcnt vmcnt(0) lgkmcnt(0)
	v_ashrrev_i32_e32 v5, 31, v4
.LBB2_215:                              ;   in Loop: Header=BB2_199 Depth=2
	s_or_b64 exec, exec, s[60:61]
	s_orn2_b64 s[26:27], vcc, exec
.LBB2_216:                              ;   in Loop: Header=BB2_199 Depth=2
	s_or_b64 exec, exec, s[58:59]
	s_and_saveexec_b64 vcc, s[26:27]
; %bb.217:                              ;   in Loop: Header=BB2_199 Depth=2
	v_accvgpr_read_b32 v4, a16
	v_mad_i64_i32 v[4:5], s[26:27], v0, v4, 0
; %bb.218:                              ;   in Loop: Header=BB2_199 Depth=2
	s_or_b64 exec, exec, vcc
	v_accvgpr_read_b32 v8, a18
	v_accvgpr_read_b32 v9, a19
	v_add_co_u32_e32 v4, vcc, v8, v4
	v_addc_co_u32_e32 v5, vcc, v9, v5, vcc
	ds_write_b64 v0, v[4:5] offset:784
	v_and_b32_e32 v0, 0x2000, v60
	v_cmp_ne_u32_e32 vcc, 0, v0
	s_and_saveexec_b64 s[26:27], vcc
	s_cbranch_execz .LBB2_220
; %bb.219:                              ;   in Loop: Header=BB2_199 Depth=2
	ds_read_b64 v[4:5], v0 offset:584
	s_waitcnt lgkmcnt(0)
	v_add_co_u32_e32 v4, vcc, 1, v4
	v_addc_co_u32_e32 v5, vcc, 0, v5, vcc
	ds_write_b64 v0, v[4:5] offset:584
.LBB2_220:                              ;   in Loop: Header=BB2_199 Depth=2
	s_or_b64 exec, exec, s[26:27]
	v_add_co_u32_e32 v32, vcc, 2, v32
	v_addc_co_u32_e32 v33, vcc, 0, v33, vcc
	s_or_b64 exec, exec, s[34:35]
	s_and_saveexec_b64 s[26:27], s[10:11]
	s_cbranch_execnz .LBB2_227
.LBB2_221:                              ;   in Loop: Header=BB2_199 Depth=2
	s_or_b64 exec, exec, s[26:27]
                                        ; implicit-def: $vgpr0
	s_and_saveexec_b64 s[26:27], s[24:25]
	s_xor_b64 s[26:27], exec, s[26:27]
	s_cbranch_execz .LBB2_245
.LBB2_222:                              ;   in Loop: Header=BB2_199 Depth=2
	s_trap 2
	ds_read_b32 v3, v0
	v_cmp_lt_i32_e32 vcc, 0, v2
	v_and_b32_e32 v4, 16, v60
	v_and_b32_e32 v0, 16, v60
	s_waitcnt lgkmcnt(0)
	v_readfirstlane_b32 s8, v3
	s_cmp_eq_u32 s8, 0
	s_cselect_b64 s[34:35], -1, 0
	s_and_b64 s[34:35], vcc, s[34:35]
	v_cmp_ne_u32_e32 vcc, 0, v4
	s_and_b64 s[34:35], vcc, s[34:35]
	s_and_saveexec_b64 vcc, s[34:35]
	s_cbranch_execz .LBB2_224
; %bb.223:                              ;   in Loop: Header=BB2_199 Depth=2
	v_mov_b32_e32 v0, 1
	s_waitcnt vmcnt(0)
	buffer_wbinvl1_vol
.LBB2_224:                              ;   in Loop: Header=BB2_199 Depth=2
	s_or_b64 exec, exec, vcc
	s_andn2_saveexec_b64 s[26:27], s[26:27]
	s_cbranch_execnz .LBB2_246
.LBB2_225:                              ;   in Loop: Header=BB2_199 Depth=2
	s_or_b64 exec, exec, s[26:27]
	v_cmp_ne_u32_e32 vcc, 0, v0
	s_and_saveexec_b64 s[26:27], vcc
	s_cbranch_execz .LBB2_198
	s_branch .LBB2_264
.LBB2_226:                              ;   in Loop: Header=BB2_199 Depth=2
	s_or_b64 exec, exec, s[34:35]
	s_and_saveexec_b64 s[26:27], s[10:11]
	s_cbranch_execz .LBB2_221
.LBB2_227:                              ;   in Loop: Header=BB2_199 Depth=2
	s_and_saveexec_b64 vcc, s[44:45]
	s_xor_b64 s[34:35], exec, vcc
	s_cbranch_execz .LBB2_242
; %bb.228:                              ;   in Loop: Header=BB2_199 Depth=2
	s_and_saveexec_b64 s[58:59], s[16:17]
	s_cbranch_execz .LBB2_241
; %bb.229:                              ;   in Loop: Header=BB2_199 Depth=2
	s_mov_b64 s[62:63], exec
	v_mbcnt_lo_u32_b32 v0, s62, 0
	v_mbcnt_hi_u32_b32 v0, s63, v0
	v_cmp_eq_u32_e32 vcc, 0, v0
	s_waitcnt vmcnt(0) lgkmcnt(0)
	buffer_wbinvl1_vol
	s_and_saveexec_b64 s[60:61], vcc
	s_cbranch_execz .LBB2_231
; %bb.230:                              ;   in Loop: Header=BB2_199 Depth=2
	s_bcnt1_i32_b64 s8, s[62:63]
	v_mov_b32_e32 v50, s8
	ds_add_u64 v0, v[50:51]
	s_trap 2
.LBB2_231:                              ;   in Loop: Header=BB2_199 Depth=2
	s_or_b64 exec, exec, s[60:61]
	s_trap 2
	ds_read_b64 v[4:5], v0
	v_accvgpr_read_b32 v8, a14
	v_accvgpr_read_b32 v9, a15
	v_add_co_u32_e32 v8, vcc, v8, v44
	v_addc_co_u32_e32 v9, vcc, 0, v9, vcc
	v_accvgpr_write_b32 a15, v9
	v_accvgpr_write_b32 a14, v8
	s_waitcnt lgkmcnt(0)
	v_cmp_lt_u64_e32 vcc, v[4:5], v[8:9]
	s_and_saveexec_b64 s[60:61], vcc
	s_cbranch_execz .LBB2_240
; %bb.232:                              ;   in Loop: Header=BB2_199 Depth=2
	s_mov_b32 s8, 0
	s_mov_b64 s[62:63], 0
                                        ; implicit-def: $sgpr64_sgpr65
                                        ; implicit-def: $sgpr66_sgpr67
	s_branch .LBB2_234
.LBB2_233:                              ;   in Loop: Header=BB2_234 Depth=3
	s_or_b64 exec, exec, s[70:71]
	s_and_b64 vcc, exec, vcc
	s_or_b64 s[62:63], vcc, s[62:63]
	s_andn2_b64 vcc, s[64:65], exec
	s_and_b64 s[46:47], s[66:67], exec
	s_or_b64 s[64:65], vcc, s[46:47]
	s_andn2_b64 exec, exec, s[62:63]
	s_cbranch_execz .LBB2_238
.LBB2_234:                              ;   Parent Loop BB2_47 Depth=1
                                        ;     Parent Loop BB2_199 Depth=2
                                        ; =>    This Inner Loop Header: Depth=3
	s_add_i32 s8, s8, 1
	s_cmpk_lg_i32 s8, 0x2710
	s_cselect_b64 s[68:69], -1, 0
	s_and_b64 vcc, exec, s[68:69]
                                        ; implicit-def: $sgpr70_sgpr71
	s_cbranch_vccnz .LBB2_236
; %bb.235:                              ;   in Loop: Header=BB2_234 Depth=3
	s_trap 2
	ds_read_b64 v[4:5], v0
	s_andn2_b64 s[68:69], s[68:69], exec
	s_mov_b32 s8, 0
	s_mov_b64 s[70:71], -1
	s_waitcnt lgkmcnt(0)
	flat_load_dword v0, v[4:5] glc
	s_waitcnt vmcnt(0) lgkmcnt(0)
	buffer_invl2
	buffer_wbinvl1_vol
	v_cmp_eq_u32_e32 vcc, 0, v0
	s_and_b64 vcc, vcc, exec
	s_or_b64 s[68:69], s[68:69], vcc
.LBB2_236:                              ;   in Loop: Header=BB2_234 Depth=3
	s_andn2_b64 s[66:67], s[66:67], exec
	s_and_b64 s[70:71], s[70:71], exec
	s_mov_b64 vcc, -1
	s_or_b64 s[66:67], s[66:67], s[70:71]
	s_and_saveexec_b64 s[70:71], s[68:69]
	s_cbranch_execz .LBB2_233
; %bb.237:                              ;   in Loop: Header=BB2_234 Depth=3
	s_sleep 1
	s_trap 2
	ds_read_b64 v[4:5], v0
	v_accvgpr_read_b32 v8, a14
	v_accvgpr_read_b32 v9, a15
	s_andn2_b64 s[66:67], s[66:67], exec
	s_waitcnt lgkmcnt(0)
	v_cmp_ge_u64_e32 vcc, v[4:5], v[8:9]
	s_orn2_b64 vcc, vcc, exec
	s_branch .LBB2_233
.LBB2_238:                              ;   in Loop: Header=BB2_199 Depth=2
	s_or_b64 exec, exec, s[62:63]
	s_and_saveexec_b64 vcc, s[64:65]
	s_xor_b64 vcc, exec, vcc
	s_cbranch_execz .LBB2_240
; %bb.239:                              ;   in Loop: Header=BB2_199 Depth=2
	v_mov_b32_e32 v0, 1
	ds_write_b32 v0, v0
	s_trap 2
.LBB2_240:                              ;   in Loop: Header=BB2_199 Depth=2
	s_or_b64 exec, exec, s[60:61]
	;;#ASMSTART
	s_wakeup
	;;#ASMEND
.LBB2_241:                              ;   in Loop: Header=BB2_199 Depth=2
	s_or_b64 exec, exec, s[58:59]
.LBB2_242:                              ;   in Loop: Header=BB2_199 Depth=2
	s_andn2_saveexec_b64 vcc, s[34:35]
	s_cbranch_execz .LBB2_244
; %bb.243:                              ;   in Loop: Header=BB2_199 Depth=2
	s_waitcnt vmcnt(0) lgkmcnt(0)
	buffer_wbinvl1_vol
	s_barrier
.LBB2_244:                              ;   in Loop: Header=BB2_199 Depth=2
	s_or_b64 exec, exec, vcc
	s_or_b64 exec, exec, s[26:27]
                                        ; implicit-def: $vgpr0
	s_and_saveexec_b64 s[26:27], s[24:25]
	s_xor_b64 s[26:27], exec, s[26:27]
	s_cbranch_execnz .LBB2_222
.LBB2_245:                              ;   in Loop: Header=BB2_199 Depth=2
	s_andn2_saveexec_b64 s[26:27], s[26:27]
	s_cbranch_execz .LBB2_225
.LBB2_246:                              ;   in Loop: Header=BB2_199 Depth=2
	s_and_saveexec_b64 vcc, s[44:45]
	s_xor_b64 s[34:35], exec, vcc
	s_cbranch_execz .LBB2_261
; %bb.247:                              ;   in Loop: Header=BB2_199 Depth=2
	s_and_saveexec_b64 s[58:59], s[16:17]
	s_cbranch_execz .LBB2_260
; %bb.248:                              ;   in Loop: Header=BB2_199 Depth=2
	s_mov_b64 s[62:63], exec
	v_mbcnt_lo_u32_b32 v0, s62, 0
	v_mbcnt_hi_u32_b32 v0, s63, v0
	v_cmp_eq_u32_e32 vcc, 0, v0
	;;#ASMSTART
	s_waitcnt lgkmcnt(0) vmcnt(0)
	;;#ASMEND
	s_and_saveexec_b64 s[60:61], vcc
	s_cbranch_execz .LBB2_250
; %bb.249:                              ;   in Loop: Header=BB2_199 Depth=2
	s_bcnt1_i32_b64 s8, s[62:63]
	v_mov_b32_e32 v50, s8
	ds_add_u64 v0, v[50:51]
	s_trap 2
.LBB2_250:                              ;   in Loop: Header=BB2_199 Depth=2
	s_or_b64 exec, exec, s[60:61]
	s_trap 2
	ds_read_b64 v[4:5], v0
	v_accvgpr_read_b32 v8, a14
	v_accvgpr_read_b32 v9, a15
	v_add_co_u32_e32 v8, vcc, v8, v44
	v_addc_co_u32_e32 v9, vcc, 0, v9, vcc
	v_accvgpr_write_b32 a15, v9
	v_accvgpr_write_b32 a14, v8
	s_waitcnt lgkmcnt(0)
	v_cmp_lt_u64_e32 vcc, v[4:5], v[8:9]
	s_and_saveexec_b64 s[60:61], vcc
	s_cbranch_execz .LBB2_259
; %bb.251:                              ;   in Loop: Header=BB2_199 Depth=2
	s_mov_b32 s8, 0
	s_mov_b64 s[62:63], 0
                                        ; implicit-def: $sgpr64_sgpr65
                                        ; implicit-def: $sgpr66_sgpr67
	s_branch .LBB2_253
.LBB2_252:                              ;   in Loop: Header=BB2_253 Depth=3
	s_or_b64 exec, exec, s[70:71]
	s_and_b64 vcc, exec, vcc
	s_or_b64 s[62:63], vcc, s[62:63]
	s_andn2_b64 vcc, s[64:65], exec
	s_and_b64 s[46:47], s[66:67], exec
	s_or_b64 s[64:65], vcc, s[46:47]
	s_andn2_b64 exec, exec, s[62:63]
	s_cbranch_execz .LBB2_257
.LBB2_253:                              ;   Parent Loop BB2_47 Depth=1
                                        ;     Parent Loop BB2_199 Depth=2
                                        ; =>    This Inner Loop Header: Depth=3
	s_add_i32 s8, s8, 1
	s_cmpk_lg_i32 s8, 0x2710
	s_cselect_b64 s[68:69], -1, 0
	s_and_b64 vcc, exec, s[68:69]
                                        ; implicit-def: $sgpr70_sgpr71
	s_cbranch_vccnz .LBB2_255
; %bb.254:                              ;   in Loop: Header=BB2_253 Depth=3
	s_trap 2
	ds_read_b64 v[4:5], v0
	s_andn2_b64 s[68:69], s[68:69], exec
	s_mov_b32 s8, 0
	s_mov_b64 s[70:71], -1
	s_waitcnt vmcnt(0) lgkmcnt(0)
	flat_load_dword v0, v[4:5] glc
	s_waitcnt vmcnt(0) lgkmcnt(0)
	buffer_invl2
	buffer_wbinvl1_vol
	v_cmp_eq_u32_e32 vcc, 0, v0
	s_and_b64 vcc, vcc, exec
	s_or_b64 s[68:69], s[68:69], vcc
.LBB2_255:                              ;   in Loop: Header=BB2_253 Depth=3
	s_andn2_b64 s[66:67], s[66:67], exec
	s_and_b64 s[70:71], s[70:71], exec
	s_mov_b64 vcc, -1
	s_or_b64 s[66:67], s[66:67], s[70:71]
	s_and_saveexec_b64 s[70:71], s[68:69]
	s_cbranch_execz .LBB2_252
; %bb.256:                              ;   in Loop: Header=BB2_253 Depth=3
	s_sleep 1
	s_trap 2
	ds_read_b64 v[4:5], v0
	v_accvgpr_read_b32 v8, a14
	v_accvgpr_read_b32 v9, a15
	s_andn2_b64 s[66:67], s[66:67], exec
	s_waitcnt lgkmcnt(0)
	v_cmp_ge_u64_e32 vcc, v[4:5], v[8:9]
	s_orn2_b64 vcc, vcc, exec
	s_branch .LBB2_252
.LBB2_257:                              ;   in Loop: Header=BB2_199 Depth=2
	s_or_b64 exec, exec, s[62:63]
	s_and_saveexec_b64 vcc, s[64:65]
	s_xor_b64 vcc, exec, vcc
	s_cbranch_execz .LBB2_259
; %bb.258:                              ;   in Loop: Header=BB2_199 Depth=2
	v_mov_b32_e32 v0, 1
	ds_write_b32 v0, v0
	s_trap 2
.LBB2_259:                              ;   in Loop: Header=BB2_199 Depth=2
	s_or_b64 exec, exec, s[60:61]
	;;#ASMSTART
	s_wakeup
	;;#ASMEND
.LBB2_260:                              ;   in Loop: Header=BB2_199 Depth=2
	s_or_b64 exec, exec, s[58:59]
.LBB2_261:                              ;   in Loop: Header=BB2_199 Depth=2
	s_andn2_saveexec_b64 vcc, s[34:35]
	s_cbranch_execz .LBB2_263
; %bb.262:                              ;   in Loop: Header=BB2_199 Depth=2
	;;#ASMSTART
	s_waitcnt lgkmcnt(0) vmcnt(0)
	;;#ASMEND
	s_barrier
.LBB2_263:                              ;   in Loop: Header=BB2_199 Depth=2
	s_or_b64 exec, exec, vcc
	v_and_b32_e32 v0, 16, v60
	s_or_b64 exec, exec, s[26:27]
	v_cmp_ne_u32_e32 vcc, 0, v0
	s_and_saveexec_b64 s[26:27], vcc
	s_cbranch_execz .LBB2_198
.LBB2_264:                              ;   in Loop: Header=BB2_199 Depth=2
	s_and_saveexec_b64 vcc, s[14:15]
	s_cbranch_execz .LBB2_197
; %bb.265:                              ;   in Loop: Header=BB2_199 Depth=2
	v_accvgpr_read_b32 v4, a20
	v_accvgpr_read_b32 v5, a21
	v_mov_b32_e32 v0, 1
	flat_store_dword v[4:5], v0
	s_branch .LBB2_197
.LBB2_266:                              ;   in Loop: Header=BB2_47 Depth=1
	s_or_b64 exec, exec, s[30:31]
.LBB2_267:                              ;   in Loop: Header=BB2_47 Depth=1
	s_or_b64 exec, exec, s[28:29]
	v_readlane_b32 s28, v61, 8
	v_readlane_b32 s29, v61, 9
	v_cndmask_b32_e64 v0, 0, 1, s[28:29]
	v_cmp_ne_u32_e64 s[26:27], 1, v0
	s_andn2_b64 vcc, exec, s[28:29]
	s_cbranch_vccnz .LBB2_3053
; %bb.268:                              ;   in Loop: Header=BB2_47 Depth=1
	s_mov_b32 s8, 2
	s_branch .LBB2_271
.LBB2_269:                              ;   in Loop: Header=BB2_271 Depth=2
	s_or_b64 exec, exec, s[34:35]
.LBB2_270:                              ;   in Loop: Header=BB2_271 Depth=2
	s_or_b64 exec, exec, s[30:31]
	s_add_i32 s8, s8, 1
	s_cmp_eq_u32 s8, s78
	s_cbranch_scc1 .LBB2_3052
.LBB2_271:                              ;   Parent Loop BB2_47 Depth=1
                                        ; =>  This Loop Header: Depth=2
                                        ;       Child Loop BB2_274 Depth 3
                                        ;         Child Loop BB2_282 Depth 4
                                        ;         Child Loop BB2_308 Depth 4
	;; [unrolled: 1-line block ×9, first 2 shown]
                                        ;       Child Loop BB2_2982 Depth 3
                                        ;         Child Loop BB2_2988 Depth 4
                                        ;         Child Loop BB2_3026 Depth 4
	;; [unrolled: 1-line block ×3, first 2 shown]
	s_sub_i32 s28, s83, s8
	s_cmp_le_i32 s78, s28
	s_cselect_b32 s29, s78, 0
	s_sub_i32 s28, s28, s29
	v_accvgpr_read_b32 v2, a50
	s_ashr_i32 s29, s28, 31
	v_accvgpr_read_b32 v3, a51
	v_mul_lo_u32 v0, v2, s29
	v_mul_lo_u32 v1, v3, s28
	v_mad_u64_u32 v[46:47], s[28:29], v2, s28, 0
	v_add3_u32 v47, v47, v0, v1
	v_accvgpr_read_b32 v0, a52
	v_accvgpr_read_b32 v1, a53
	v_sub_co_u32_e32 v0, vcc, v0, v46
	v_subb_co_u32_e32 v1, vcc, v1, v47, vcc
	v_cmp_lt_i64_e32 vcc, v[2:3], v[0:1]
	v_cndmask_b32_e32 v0, v0, v2, vcc
	v_max_i32_e32 v45, 0, v0
	v_add_u32_e32 v1, 31, v45
	v_lshrrev_b32_e32 v1, 1, v1
	v_and_b32_e32 v1, 0x3ffffff0, v1
	v_cmp_lt_i32_e32 vcc, 0, v0
	v_max_i32_e32 v2, s86, v1
	s_and_b64 s[28:29], s[50:51], vcc
	v_mov_b32_e32 v0, 0
	v_mov_b32_e32 v41, 0
	s_and_saveexec_b64 s[58:59], s[28:29]
	s_cbranch_execz .LBB2_2978
; %bb.272:                              ;   in Loop: Header=BB2_271 Depth=2
	s_mov_b32 s82, 1
	s_mov_b64 s[62:63], -1
	s_mov_b64 s[60:61], 0
	v_mov_b32_e32 v41, 0
	s_branch .LBB2_274
.LBB2_273:                              ;   in Loop: Header=BB2_274 Depth=3
	s_or_b64 exec, exec, s[28:29]
	v_add_u32_e32 v41, v2, v41
	v_cmp_ge_i32_e32 vcc, v41, v45
	s_xor_b64 s[28:29], s[62:63], -1
	s_or_b64 s[28:29], s[28:29], vcc
	s_and_b64 s[28:29], exec, s[28:29]
	s_or_b64 s[60:61], s[28:29], s[60:61]
	s_mov_b64 s[62:63], 0
	v_mov_b32_e32 v0, s82
	s_mov_b32 s82, 2
	s_andn2_b64 exec, exec, s[60:61]
	s_cbranch_execz .LBB2_2979
.LBB2_274:                              ;   Parent Loop BB2_47 Depth=1
                                        ;     Parent Loop BB2_271 Depth=2
                                        ; =>    This Loop Header: Depth=3
                                        ;         Child Loop BB2_282 Depth 4
                                        ;         Child Loop BB2_308 Depth 4
	;; [unrolled: 1-line block ×9, first 2 shown]
	s_and_saveexec_b64 s[28:29], s[4:5]
	s_cbranch_execz .LBB2_276
; %bb.275:                              ;   in Loop: Header=BB2_274 Depth=3
	s_trap 2
	ds_read_b64 v[0:1], v0
	v_accvgpr_read_b32 v3, a54
	v_mov_b32_e32 v50, v51
	s_waitcnt lgkmcnt(0)
	v_add_co_u32_e32 v0, vcc, v0, v3
	v_accvgpr_read_b32 v3, a55
	v_addc_co_u32_e32 v1, vcc, v1, v3, vcc
	v_add_co_u32_e32 v0, vcc, v0, v46
	v_addc_co_u32_e32 v1, vcc, v1, v47, vcc
	v_ashrrev_i32_e32 v3, 31, v41
	v_add_co_u32_e32 v0, vcc, v0, v41
	v_addc_co_u32_e32 v1, vcc, v1, v3, vcc
	ds_write_b64 v0, v[0:1]
	ds_write_b64 v0, v[50:51]
.LBB2_276:                              ;   in Loop: Header=BB2_274 Depth=3
	s_or_b64 exec, exec, s[28:29]
	v_and_b32_e32 v0, 12, v60
	v_cmp_ne_u32_e32 vcc, 0, v0
	s_mov_b64 s[30:31], -1
	s_and_saveexec_b64 s[28:29], vcc
	s_cbranch_execz .LBB2_288
; %bb.277:                              ;   in Loop: Header=BB2_274 Depth=3
	v_and_b32_e32 v4, 8, v60
	v_add_co_u32_e32 v0, vcc, v48, v4
	v_addc_co_u32_e32 v1, vcc, 0, v49, vcc
	v_add_co_u32_e32 v8, vcc, 2, v32
	v_addc_co_u32_e32 v9, vcc, 0, v33, vcc
	v_cmp_lt_u64_e32 vcc, v[0:1], v[8:9]
	v_mov_b32_e32 v0, 1
	s_and_saveexec_b64 s[30:31], vcc
	s_cbranch_execz .LBB2_287
; %bb.278:                              ;   in Loop: Header=BB2_274 Depth=3
	s_mov_b64 s[34:35], 0
	v_mov_b32_e32 v0, 0
                                        ; implicit-def: $sgpr64_sgpr65
	s_branch .LBB2_282
.LBB2_279:                              ;   in Loop: Header=BB2_282 Depth=4
	s_or_b64 exec, exec, s[72:73]
	v_mov_b32_e32 v1, 0
	s_orn2_b64 s[70:71], s[70:71], exec
.LBB2_280:                              ;   in Loop: Header=BB2_282 Depth=4
	s_or_b64 exec, exec, s[68:69]
	s_andn2_b64 vcc, s[64:65], exec
	s_and_b64 s[64:65], s[70:71], exec
	s_or_b64 s[64:65], vcc, s[64:65]
	v_mov_b32_e32 v0, v1
.LBB2_281:                              ;   in Loop: Header=BB2_282 Depth=4
	s_or_b64 exec, exec, s[66:67]
	s_waitcnt vmcnt(0) lgkmcnt(0)
	v_add_co_u32_e32 v6, vcc, v48, v4
	v_addc_co_u32_e32 v7, vcc, 0, v49, vcc
	v_cmp_ge_u64_e32 vcc, v[6:7], v[8:9]
	s_xor_b64 s[66:67], s[64:65], -1
	s_or_b64 vcc, s[66:67], vcc
	s_and_b64 vcc, exec, vcc
	s_or_b64 s[34:35], vcc, s[34:35]
	s_andn2_b64 exec, exec, s[34:35]
	s_cbranch_execz .LBB2_286
.LBB2_282:                              ;   Parent Loop BB2_47 Depth=1
                                        ;     Parent Loop BB2_271 Depth=2
                                        ;       Parent Loop BB2_274 Depth=3
                                        ; =>      This Inner Loop Header: Depth=4
	s_sleep 1
	flat_load_dwordx2 v[48:49], v[34:35] glc
	v_and_b32_e32 v1, 64, v60
	v_cmp_eq_u32_e32 vcc, 0, v1
	s_andn2_b64 s[64:65], s[64:65], exec
	s_and_saveexec_b64 s[66:67], vcc
	s_cbranch_execz .LBB2_281
; %bb.283:                              ;   in Loop: Header=BB2_282 Depth=4
	v_add_u32_e32 v1, 1, v0
	v_cmp_lt_i32_e32 vcc, s91, v0
	s_mov_b64 s[70:71], -1
	s_and_saveexec_b64 s[68:69], vcc
	s_cbranch_execz .LBB2_280
; %bb.284:                              ;   in Loop: Header=BB2_282 Depth=4
	s_trap 2
	ds_read_b64 v[0:1], v0
	s_waitcnt vmcnt(0) lgkmcnt(0)
	flat_load_dword v0, v[0:1] glc
	s_waitcnt vmcnt(0) lgkmcnt(0)
	buffer_invl2
	buffer_wbinvl1_vol
	v_cmp_ne_u32_e32 vcc, 0, v0
	s_and_saveexec_b64 s[72:73], vcc
	s_cbranch_execz .LBB2_279
; %bb.285:                              ;   in Loop: Header=BB2_282 Depth=4
	v_or_b32_e32 v60, 64, v60
	s_xor_b64 s[70:71], exec, -1
	ds_write_b32 v0, v0
	s_trap 2
	s_branch .LBB2_279
.LBB2_286:                              ;   in Loop: Header=BB2_274 Depth=3
	s_or_b64 exec, exec, s[34:35]
	v_and_b32_e32 v0, 12, v60
.LBB2_287:                              ;   in Loop: Header=BB2_274 Depth=3
	s_or_b64 exec, exec, s[30:31]
	v_cmp_eq_u32_e32 vcc, 0, v0
	s_orn2_b64 s[30:31], vcc, exec
	;;#ASMSTART
	s_wakeup
	;;#ASMEND
.LBB2_288:                              ;   in Loop: Header=BB2_274 Depth=3
	s_or_b64 exec, exec, s[28:29]
	v_sub_u32_e32 v0, v45, v41
	s_xor_b64 s[28:29], s[30:31], -1
	v_min_i32_e32 v2, v2, v0
	s_and_saveexec_b64 s[30:31], s[28:29]
	s_cbranch_execz .LBB2_300
; %bb.289:                              ;   in Loop: Header=BB2_274 Depth=3
	v_and_b32_e32 v0, 0x108, v60
	v_cmp_ne_u32_e32 vcc, s92, v0
	v_and_b32_e32 v4, 7, v32
	s_and_saveexec_b64 s[28:29], vcc
	s_xor_b64 s[28:29], exec, s[28:29]
	s_andn2_saveexec_b64 s[28:29], s[28:29]
	s_cbranch_execz .LBB2_291
; %bb.290:                              ;   in Loop: Header=BB2_274 Depth=3
	v_accvgpr_read_b32 v0, a12
	v_accvgpr_read_b32 v1, a13
	v_mad_u64_u32 v[0:1], vcc, v4, 24, v[0:1]
	v_ashrrev_i32_e32 v3, 31, v2
	flat_store_dwordx2 v[0:1], v[2:3] offset:8
.LBB2_291:                              ;   in Loop: Header=BB2_274 Depth=3
	s_or_b64 exec, exec, s[28:29]
	v_and_b32_e32 v0, 0x100, v60
	v_cmp_ne_u32_e32 vcc, 0, v0
	s_mov_b64 s[28:29], -1
                                        ; implicit-def: $vgpr8_vgpr9
	s_and_saveexec_b64 s[34:35], vcc
	s_cbranch_execz .LBB2_295
; %bb.292:                              ;   in Loop: Header=BB2_274 Depth=3
	v_accvgpr_read_b32 v0, a12
	v_accvgpr_read_b32 v1, a13
	v_mad_u64_u32 v[10:11], s[28:29], v4, 24, v[0:1]
	v_mov_b32_e32 v0, v11
	v_mad_u64_u32 v[0:1], s[28:29], v51, 24, v[0:1]
	v_mov_b32_e32 v11, v0
	flat_load_dword v0, v[10:11]
                                        ; implicit-def: $vgpr8_vgpr9
	s_waitcnt vmcnt(0) lgkmcnt(0)
	v_cmp_ne_u32_e32 vcc, 1, v0
	v_cmp_eq_u32_e64 s[28:29], 1, v0
	s_and_saveexec_b64 s[64:65], s[28:29]
	s_cbranch_execz .LBB2_294
; %bb.293:                              ;   in Loop: Header=BB2_274 Depth=3
	flat_load_dword v8, v[10:11] offset:4 glc
	s_waitcnt vmcnt(0) lgkmcnt(0)
	v_ashrrev_i32_e32 v9, 31, v8
.LBB2_294:                              ;   in Loop: Header=BB2_274 Depth=3
	s_or_b64 exec, exec, s[64:65]
	s_orn2_b64 s[28:29], vcc, exec
.LBB2_295:                              ;   in Loop: Header=BB2_274 Depth=3
	s_or_b64 exec, exec, s[34:35]
	s_and_saveexec_b64 vcc, s[28:29]
; %bb.296:                              ;   in Loop: Header=BB2_274 Depth=3
	v_accvgpr_read_b32 v6, a16
	v_accvgpr_read_b32 v1, a17
	v_mul_lo_u32 v0, v51, v6
	v_mul_lo_u32 v1, v4, v1
	v_mad_u64_u32 v[8:9], s[28:29], v4, v6, 0
	v_add3_u32 v9, v9, v1, v0
; %bb.297:                              ;   in Loop: Header=BB2_274 Depth=3
	s_or_b64 exec, exec, vcc
	v_accvgpr_read_b32 v0, a18
	v_accvgpr_read_b32 v1, a19
	v_add_co_u32_e32 v0, vcc, v0, v8
	v_addc_co_u32_e32 v1, vcc, v1, v9, vcc
	s_trap 2
	ds_write_b64 v0, v[0:1]
	v_and_b32_e32 v0, 0x2000, v60
	v_cmp_ne_u32_e32 vcc, 0, v0
	s_and_saveexec_b64 s[28:29], vcc
	s_cbranch_execz .LBB2_299
; %bb.298:                              ;   in Loop: Header=BB2_274 Depth=3
	ds_read_b64 v[0:1], v0 offset:584
	s_waitcnt lgkmcnt(0)
	v_add_co_u32_e32 v0, vcc, 1, v0
	v_addc_co_u32_e32 v1, vcc, 0, v1, vcc
	ds_write_b64 v0, v[0:1] offset:584
.LBB2_299:                              ;   in Loop: Header=BB2_274 Depth=3
	s_or_b64 exec, exec, s[28:29]
	v_add_co_u32_e32 v32, vcc, 2, v32
	v_addc_co_u32_e32 v33, vcc, 0, v33, vcc
.LBB2_300:                              ;   in Loop: Header=BB2_274 Depth=3
	s_or_b64 exec, exec, s[30:31]
	s_and_saveexec_b64 s[28:29], s[10:11]
	s_cbranch_execz .LBB2_319
; %bb.301:                              ;   in Loop: Header=BB2_274 Depth=3
	s_and_saveexec_b64 vcc, s[44:45]
	s_xor_b64 s[30:31], exec, vcc
	s_cbranch_execz .LBB2_316
; %bb.302:                              ;   in Loop: Header=BB2_274 Depth=3
	s_and_saveexec_b64 s[34:35], s[16:17]
	s_cbranch_execz .LBB2_315
; %bb.303:                              ;   in Loop: Header=BB2_274 Depth=3
	s_mov_b64 s[66:67], exec
	v_mbcnt_lo_u32_b32 v0, s66, 0
	v_mbcnt_hi_u32_b32 v0, s67, v0
	v_cmp_eq_u32_e32 vcc, 0, v0
	s_waitcnt vmcnt(0) lgkmcnt(0)
	buffer_wbinvl1_vol
	s_and_saveexec_b64 s[64:65], vcc
	s_cbranch_execz .LBB2_305
; %bb.304:                              ;   in Loop: Header=BB2_274 Depth=3
	s_bcnt1_i32_b64 vcc_lo, s[66:67]
	v_mov_b32_e32 v50, vcc_lo
	ds_add_u64 v0, v[50:51]
	s_trap 2
.LBB2_305:                              ;   in Loop: Header=BB2_274 Depth=3
	s_or_b64 exec, exec, s[64:65]
	s_trap 2
	ds_read_b64 v[0:1], v0
	v_accvgpr_read_b32 v4, a14
	v_accvgpr_read_b32 v5, a15
	v_add_co_u32_e32 v4, vcc, v4, v44
	v_addc_co_u32_e32 v5, vcc, 0, v5, vcc
	v_accvgpr_write_b32 a15, v5
	v_accvgpr_write_b32 a14, v4
	s_waitcnt lgkmcnt(0)
	v_cmp_lt_u64_e32 vcc, v[0:1], v[4:5]
	s_and_saveexec_b64 s[64:65], vcc
	s_cbranch_execz .LBB2_314
; %bb.306:                              ;   in Loop: Header=BB2_274 Depth=3
	s_mov_b32 s76, 0
	s_mov_b64 s[66:67], 0
                                        ; implicit-def: $sgpr68_sgpr69
                                        ; implicit-def: $sgpr70_sgpr71
	s_branch .LBB2_308
.LBB2_307:                              ;   in Loop: Header=BB2_308 Depth=4
	s_or_b64 exec, exec, s[74:75]
	s_and_b64 vcc, exec, vcc
	s_or_b64 s[66:67], vcc, s[66:67]
	s_andn2_b64 vcc, s[68:69], exec
	s_and_b64 s[46:47], s[70:71], exec
	s_or_b64 s[68:69], vcc, s[46:47]
	s_andn2_b64 exec, exec, s[66:67]
	s_cbranch_execz .LBB2_312
.LBB2_308:                              ;   Parent Loop BB2_47 Depth=1
                                        ;     Parent Loop BB2_271 Depth=2
                                        ;       Parent Loop BB2_274 Depth=3
                                        ; =>      This Inner Loop Header: Depth=4
	s_add_i32 s76, s76, 1
	s_cmpk_lg_i32 s76, 0x2710
	s_cselect_b64 s[72:73], -1, 0
	s_and_b64 vcc, exec, s[72:73]
                                        ; implicit-def: $sgpr74_sgpr75
	s_cbranch_vccnz .LBB2_310
; %bb.309:                              ;   in Loop: Header=BB2_308 Depth=4
	s_trap 2
	ds_read_b64 v[0:1], v0
	s_andn2_b64 s[72:73], s[72:73], exec
	s_mov_b32 s76, 0
	s_mov_b64 s[74:75], -1
	s_waitcnt lgkmcnt(0)
	flat_load_dword v0, v[0:1] glc
	s_waitcnt vmcnt(0) lgkmcnt(0)
	buffer_invl2
	buffer_wbinvl1_vol
	v_cmp_eq_u32_e32 vcc, 0, v0
	s_and_b64 vcc, vcc, exec
	s_or_b64 s[72:73], s[72:73], vcc
.LBB2_310:                              ;   in Loop: Header=BB2_308 Depth=4
	s_andn2_b64 s[70:71], s[70:71], exec
	s_and_b64 s[74:75], s[74:75], exec
	s_mov_b64 vcc, -1
	s_or_b64 s[70:71], s[70:71], s[74:75]
	s_and_saveexec_b64 s[74:75], s[72:73]
	s_cbranch_execz .LBB2_307
; %bb.311:                              ;   in Loop: Header=BB2_308 Depth=4
	s_sleep 1
	s_trap 2
	ds_read_b64 v[0:1], v0
	v_accvgpr_read_b32 v4, a14
	v_accvgpr_read_b32 v5, a15
	s_andn2_b64 s[70:71], s[70:71], exec
	s_waitcnt lgkmcnt(0)
	v_cmp_ge_u64_e32 vcc, v[0:1], v[4:5]
	s_orn2_b64 vcc, vcc, exec
	s_branch .LBB2_307
.LBB2_312:                              ;   in Loop: Header=BB2_274 Depth=3
	s_or_b64 exec, exec, s[66:67]
	s_and_saveexec_b64 vcc, s[68:69]
	s_xor_b64 vcc, exec, vcc
	s_cbranch_execz .LBB2_314
; %bb.313:                              ;   in Loop: Header=BB2_274 Depth=3
	v_mov_b32_e32 v0, 1
	ds_write_b32 v0, v0
	s_trap 2
.LBB2_314:                              ;   in Loop: Header=BB2_274 Depth=3
	s_or_b64 exec, exec, s[64:65]
	;;#ASMSTART
	s_wakeup
	;;#ASMEND
.LBB2_315:                              ;   in Loop: Header=BB2_274 Depth=3
	s_or_b64 exec, exec, s[34:35]
.LBB2_316:                              ;   in Loop: Header=BB2_274 Depth=3
	s_andn2_saveexec_b64 vcc, s[30:31]
	s_cbranch_execz .LBB2_318
; %bb.317:                              ;   in Loop: Header=BB2_274 Depth=3
	s_waitcnt vmcnt(0) lgkmcnt(0)
	buffer_wbinvl1_vol
	s_barrier
.LBB2_318:                              ;   in Loop: Header=BB2_274 Depth=3
	s_or_b64 exec, exec, vcc
.LBB2_319:                              ;   in Loop: Header=BB2_274 Depth=3
	s_or_b64 exec, exec, s[28:29]
	s_trap 2
	ds_read_b32 v0, v0
	v_and_b32_e32 v1, 0x4000, v60
	v_cmp_ne_u32_e32 vcc, 0, v1
	s_xor_b64 s[28:29], s[6:7], -1
	s_and_b64 vcc, s[28:29], vcc
	s_and_saveexec_b64 s[28:29], vcc
	s_cbranch_execz .LBB2_338
; %bb.320:                              ;   in Loop: Header=BB2_274 Depth=3
	s_and_saveexec_b64 vcc, s[44:45]
	s_xor_b64 s[30:31], exec, vcc
	s_cbranch_execz .LBB2_335
; %bb.321:                              ;   in Loop: Header=BB2_274 Depth=3
	s_and_saveexec_b64 s[34:35], s[16:17]
	s_cbranch_execz .LBB2_334
; %bb.322:                              ;   in Loop: Header=BB2_274 Depth=3
	s_mov_b64 s[66:67], exec
	v_mbcnt_lo_u32_b32 v1, s66, 0
	v_mbcnt_hi_u32_b32 v1, s67, v1
	v_cmp_eq_u32_e32 vcc, 0, v1
	s_waitcnt vmcnt(0) lgkmcnt(0)
	buffer_wbinvl1_vol
	s_and_saveexec_b64 s[64:65], vcc
	s_cbranch_execz .LBB2_324
; %bb.323:                              ;   in Loop: Header=BB2_274 Depth=3
	s_bcnt1_i32_b64 vcc_lo, s[66:67]
	v_mov_b32_e32 v50, vcc_lo
	ds_add_u64 v0, v[50:51]
	s_trap 2
.LBB2_324:                              ;   in Loop: Header=BB2_274 Depth=3
	s_or_b64 exec, exec, s[64:65]
	s_trap 2
	ds_read_b64 v[4:5], v0
	v_accvgpr_read_b32 v6, a14
	v_accvgpr_read_b32 v7, a15
	v_add_co_u32_e32 v6, vcc, v6, v44
	v_addc_co_u32_e32 v7, vcc, 0, v7, vcc
	v_accvgpr_write_b32 a15, v7
	v_accvgpr_write_b32 a14, v6
	s_waitcnt lgkmcnt(0)
	v_cmp_lt_u64_e32 vcc, v[4:5], v[6:7]
	s_and_saveexec_b64 s[64:65], vcc
	s_cbranch_execz .LBB2_333
; %bb.325:                              ;   in Loop: Header=BB2_274 Depth=3
	s_mov_b32 s76, 0
	s_mov_b64 s[66:67], 0
                                        ; implicit-def: $sgpr68_sgpr69
                                        ; implicit-def: $sgpr70_sgpr71
	s_branch .LBB2_327
.LBB2_326:                              ;   in Loop: Header=BB2_327 Depth=4
	s_or_b64 exec, exec, s[74:75]
	s_and_b64 vcc, exec, vcc
	s_or_b64 s[66:67], vcc, s[66:67]
	s_andn2_b64 vcc, s[68:69], exec
	s_and_b64 s[46:47], s[70:71], exec
	s_or_b64 s[68:69], vcc, s[46:47]
	s_andn2_b64 exec, exec, s[66:67]
	s_cbranch_execz .LBB2_331
.LBB2_327:                              ;   Parent Loop BB2_47 Depth=1
                                        ;     Parent Loop BB2_271 Depth=2
                                        ;       Parent Loop BB2_274 Depth=3
                                        ; =>      This Inner Loop Header: Depth=4
	s_add_i32 s76, s76, 1
	s_cmpk_lg_i32 s76, 0x2710
	s_cselect_b64 s[72:73], -1, 0
	s_and_b64 vcc, exec, s[72:73]
                                        ; implicit-def: $sgpr74_sgpr75
	s_cbranch_vccnz .LBB2_329
; %bb.328:                              ;   in Loop: Header=BB2_327 Depth=4
	s_trap 2
	ds_read_b64 v[4:5], v0
	s_andn2_b64 s[72:73], s[72:73], exec
	s_mov_b32 s76, 0
	s_mov_b64 s[74:75], -1
	s_waitcnt lgkmcnt(0)
	flat_load_dword v1, v[4:5] glc
	s_waitcnt vmcnt(0) lgkmcnt(0)
	buffer_invl2
	buffer_wbinvl1_vol
	v_cmp_eq_u32_e32 vcc, 0, v1
	s_and_b64 vcc, vcc, exec
	s_or_b64 s[72:73], s[72:73], vcc
.LBB2_329:                              ;   in Loop: Header=BB2_327 Depth=4
	s_andn2_b64 s[70:71], s[70:71], exec
	s_and_b64 s[74:75], s[74:75], exec
	s_mov_b64 vcc, -1
	s_or_b64 s[70:71], s[70:71], s[74:75]
	s_and_saveexec_b64 s[74:75], s[72:73]
	s_cbranch_execz .LBB2_326
; %bb.330:                              ;   in Loop: Header=BB2_327 Depth=4
	s_sleep 1
	s_trap 2
	ds_read_b64 v[4:5], v0
	v_accvgpr_read_b32 v6, a14
	v_accvgpr_read_b32 v7, a15
	s_andn2_b64 s[70:71], s[70:71], exec
	s_waitcnt lgkmcnt(0)
	v_cmp_ge_u64_e32 vcc, v[4:5], v[6:7]
	s_orn2_b64 vcc, vcc, exec
	s_branch .LBB2_326
.LBB2_331:                              ;   in Loop: Header=BB2_274 Depth=3
	s_or_b64 exec, exec, s[66:67]
	s_and_saveexec_b64 vcc, s[68:69]
	s_xor_b64 vcc, exec, vcc
	s_cbranch_execz .LBB2_333
; %bb.332:                              ;   in Loop: Header=BB2_274 Depth=3
	v_mov_b32_e32 v1, 1
	ds_write_b32 v0, v1
	s_trap 2
.LBB2_333:                              ;   in Loop: Header=BB2_274 Depth=3
	s_or_b64 exec, exec, s[64:65]
	;;#ASMSTART
	s_wakeup
	;;#ASMEND
.LBB2_334:                              ;   in Loop: Header=BB2_274 Depth=3
	s_or_b64 exec, exec, s[34:35]
.LBB2_335:                              ;   in Loop: Header=BB2_274 Depth=3
	s_andn2_saveexec_b64 vcc, s[30:31]
	s_cbranch_execz .LBB2_337
; %bb.336:                              ;   in Loop: Header=BB2_274 Depth=3
	s_waitcnt vmcnt(0) lgkmcnt(0)
	buffer_wbinvl1_vol
	s_barrier
.LBB2_337:                              ;   in Loop: Header=BB2_274 Depth=3
	s_or_b64 exec, exec, vcc
.LBB2_338:                              ;   in Loop: Header=BB2_274 Depth=3
	s_or_b64 exec, exec, s[28:29]
	s_trap 2
	s_waitcnt lgkmcnt(0)
	ds_read_b64 v[4:5], v0
	v_mov_b32_e32 v56, 0
	s_waitcnt lgkmcnt(0)
	v_readfirstlane_b32 s28, v4
	v_readfirstlane_b32 s29, v5
	s_cmp_eq_u64 s[28:29], 0
	s_cselect_b64 s[28:29], -1, 0
	s_or_b64 s[28:29], s[28:29], s[28:29]
	s_and_b64 vcc, exec, s[28:29]
	s_cbranch_vccnz .LBB2_556
; %bb.339:                              ;   in Loop: Header=BB2_274 Depth=3
	s_trap 2
	ds_read_b64 v[4:5], v0
	s_mov_b64 s[30:31], -1
	s_waitcnt lgkmcnt(0)
	v_readfirstlane_b32 s76, v4
	s_and_saveexec_b64 s[28:29], s[22:23]
	s_cbranch_execz .LBB2_341
; %bb.340:                              ;   in Loop: Header=BB2_274 Depth=3
	ds_read_b32 v1, v0 offset:720
	s_waitcnt lgkmcnt(0)
	v_and_b32_e32 v1, 15, v1
	v_cmp_eq_u32_e32 vcc, 0, v1
	s_orn2_b64 s[30:31], vcc, exec
.LBB2_341:                              ;   in Loop: Header=BB2_274 Depth=3
	s_or_b64 exec, exec, s[28:29]
	s_and_saveexec_b64 s[28:29], s[20:21]
	s_cbranch_execz .LBB2_343
; %bb.342:                              ;   in Loop: Header=BB2_274 Depth=3
	ds_read_b32 v1, v0 offset:784
	s_waitcnt lgkmcnt(0)
	v_and_b32_e32 v1, 15, v1
	v_cmp_eq_u32_e32 vcc, 0, v1
	s_and_b64 vcc, s[30:31], vcc
	s_andn2_b64 s[30:31], s[30:31], exec
	s_and_b64 vcc, vcc, exec
	s_or_b64 s[30:31], s[30:31], vcc
.LBB2_343:                              ;   in Loop: Header=BB2_274 Depth=3
	s_or_b64 exec, exec, s[28:29]
	v_cmp_eq_u32_e32 vcc, 0, v0
	v_cndmask_b32_e32 v56, 0, v2, vcc
	s_xor_b64 vcc, s[30:31], -1
	v_cndmask_b32_e64 v0, 0, 1, vcc
	;;#ASMSTART
	;;#ASMEND
	v_mov_b32_e32 v7, 0
	s_mov_b64 s[28:29], -1
	v_cmp_ne_u32_e32 vcc, 0, v0
	s_waitcnt vmcnt(0)
	v_mov_b32_e32 v30, v56
	v_mov_b32_e32 v31, v40
	v_accvgpr_read_b32 v0, a31
	s_cbranch_vccz .LBB2_561
; %bb.344:                              ;   in Loop: Header=BB2_274 Depth=3
	s_and_saveexec_b64 s[64:65], s[28:29]
	s_cbranch_execz .LBB2_2936
.LBB2_345:                              ;   in Loop: Header=BB2_274 Depth=3
	v_ashrrev_i32_e32 v1, 31, v30
	v_add_u32_sdwa v1, v30, v1 dst_sel:DWORD dst_unused:UNUSED_PAD src0_sel:DWORD src1_sel:BYTE_3
	v_ashrrev_i32_e32 v6, 8, v1
	v_sub_u32_e32 v1, v6, v0
	v_ashrrev_i32_e32 v3, 31, v31
	v_cmp_lt_i32_e32 vcc, 0, v1
	v_lshrrev_b32_e32 v3, 26, v3
	s_and_saveexec_b64 s[34:35], vcc
	s_cbranch_execz .LBB2_2101
; %bb.346:                              ;   in Loop: Header=BB2_274 Depth=3
	v_lshlrev_b32_e32 v0, 8, v0
	s_trap 2
	v_add_u32_e32 v4, v31, v3
	ds_read_b128 v[8:11], v0
	v_and_b32_e32 v4, 0xffffffc0, v4
	v_sub_u32_e32 v4, v31, v4
	v_add3_u32 v0, v7, v4, v0
	ds_read_b64 v[12:13], v0
	v_ashrrev_i32_e32 v14, 31, v0
	s_waitcnt lgkmcnt(0)
	v_add_co_u32_e32 v4, vcc, v8, v0
	v_addc_co_u32_e32 v5, vcc, v9, v14, vcc
	v_add_co_u32_e32 v8, vcc, v10, v0
	v_addc_co_u32_e32 v9, vcc, v11, v14, vcc
	v_add_co_u32_e32 v10, vcc, v12, v0
	s_bitcmp1_b32 s76, 0
	v_addc_co_u32_e32 v11, vcc, v13, v14, vcc
	s_mov_b64 s[66:67], 0
	s_cselect_b64 s[68:69], -1, 0
	s_branch .LBB2_348
.LBB2_347:                              ;   in Loop: Header=BB2_348 Depth=4
	s_or_b64 exec, exec, s[28:29]
	flat_store_byte v[10:11], v0 glc slc
	flat_store_byte v[10:11], v20 offset:64 glc slc
	flat_store_byte v[10:11], v15 offset:128 glc slc
	;; [unrolled: 1-line block ×3, first 2 shown]
	v_accvgpr_read_b32 v0, a46
	v_add_co_u32_e32 v4, vcc, v4, v0
	v_accvgpr_read_b32 v12, a47
	v_addc_co_u32_e32 v5, vcc, v5, v12, vcc
	v_add_co_u32_e32 v8, vcc, v8, v0
	v_addc_co_u32_e32 v9, vcc, v9, v12, vcc
	v_sub_u32_e32 v1, v1, v44
	v_cmp_gt_i32_e32 vcc, 1, v1
	s_or_b64 s[66:67], vcc, s[66:67]
	v_add_co_u32_e32 v10, vcc, v10, v0
	v_addc_co_u32_e32 v11, vcc, v11, v12, vcc
	s_andn2_b64 exec, exec, s[66:67]
	s_cbranch_execz .LBB2_2100
.LBB2_348:                              ;   Parent Loop BB2_47 Depth=1
                                        ;     Parent Loop BB2_271 Depth=2
                                        ;       Parent Loop BB2_274 Depth=3
                                        ; =>      This Inner Loop Header: Depth=4
	flat_load_ubyte v13, v[4:5] glc slc
	flat_load_sbyte v26, v[4:5] offset:64 glc slc
	flat_load_sbyte v18, v[4:5] offset:128 glc slc
	;; [unrolled: 1-line block ×3, first 2 shown]
	flat_load_sbyte v28, v[8:9] glc slc
	flat_load_sbyte v20, v[8:9] offset:64 glc slc
	flat_load_sbyte v16, v[8:9] offset:128 glc slc
	;; [unrolled: 1-line block ×3, first 2 shown]
	s_and_b64 vcc, exec, s[68:69]
	s_waitcnt vmcnt(0) lgkmcnt(0)
	v_bfe_i32 v50, v13, 0, 8
	v_and_b32_e32 v0, 0xffff, v13
	v_cmp_ne_u16_e64 s[28:29], 0, v13
	s_cbranch_vccz .LBB2_366
; %bb.349:                              ;   in Loop: Header=BB2_348 Depth=4
	v_mov_b32_e32 v14, 0
	v_mov_b32_e32 v13, 0
	s_and_saveexec_b64 s[30:31], s[28:29]
	s_cbranch_execz .LBB2_357
; %bb.350:                              ;   in Loop: Header=BB2_348 Depth=4
	v_cmp_ne_u16_e32 vcc, s94, v50
	v_bfrev_b32_e32 v13, 1
	s_and_saveexec_b64 s[70:71], vcc
	s_cbranch_execz .LBB2_356
; %bb.351:                              ;   in Loop: Header=BB2_348 Depth=4
	v_and_b32_e32 v13, 0x7c, v0
	v_and_b32_e32 v15, 3, v0
	v_cmp_ne_u32_e32 vcc, s95, v13
                                        ; implicit-def: $vgpr13
	s_and_saveexec_b64 s[72:73], vcc
	s_xor_b64 s[72:73], exec, s[72:73]
	s_cbranch_execz .LBB2_353
; %bb.352:                              ;   in Loop: Header=BB2_348 Depth=4
	v_ffbh_u32_e32 v19, v15
	v_bfe_u32 v13, v0, 2, 5
	v_min_u32_e32 v19, 32, v19
	v_subrev_u32_e32 v21, 29, v19
	v_sub_u32_e32 v19, 30, v19
	v_cmp_eq_u32_e32 vcc, 0, v13
	v_lshlrev_b64 v[24:25], v21, v[50:51]
	v_cndmask_b32_e32 v13, v13, v19, vcc
	v_bfrev_b32_e32 v19, 28
	v_bfe_i32 v17, v50, 0, 16
	v_and_b32_e32 v21, 3, v24
	v_lshl_add_u32 v13, v13, 23, v19
	v_cndmask_b32_e32 v15, v15, v21, vcc
	v_and_or_b32 v13, v17, s96, v13
	v_lshl_or_b32 v13, v15, 21, v13
                                        ; implicit-def: $vgpr15
.LBB2_353:                              ;   in Loop: Header=BB2_348 Depth=4
	s_andn2_saveexec_b64 s[72:73], s[72:73]
; %bb.354:                              ;   in Loop: Header=BB2_348 Depth=4
	v_cmp_lt_i16_e32 vcc, -1, v50
	v_mov_b32_e32 v13, 0xc7600000
	v_mov_b32_e32 v17, 0x47600000
	v_cndmask_b32_e32 v13, v13, v17, vcc
	v_cmp_eq_u32_e32 vcc, 0, v15
	v_mov_b32_e32 v15, 0x7f800001
	v_cndmask_b32_e32 v13, v15, v13, vcc
; %bb.355:                              ;   in Loop: Header=BB2_348 Depth=4
	s_or_b64 exec, exec, s[72:73]
.LBB2_356:                              ;   in Loop: Header=BB2_348 Depth=4
	s_or_b64 exec, exec, s[70:71]
.LBB2_357:                              ;   in Loop: Header=BB2_348 Depth=4
	s_or_b64 exec, exec, s[30:31]
	v_cmp_ne_u16_e32 vcc, 0, v28
	s_and_saveexec_b64 s[30:31], vcc
	s_cbranch_execz .LBB2_365
; %bb.358:                              ;   in Loop: Header=BB2_348 Depth=4
	v_cmp_ne_u16_e32 vcc, s94, v28
	v_bfrev_b32_e32 v14, 1
	s_and_saveexec_b64 s[70:71], vcc
	s_cbranch_execz .LBB2_364
; %bb.359:                              ;   in Loop: Header=BB2_348 Depth=4
	v_and_b32_e32 v14, 0x7c, v28
	v_and_b32_e32 v15, 3, v28
	v_cmp_ne_u32_e32 vcc, s95, v14
                                        ; implicit-def: $vgpr14
	s_and_saveexec_b64 s[72:73], vcc
	s_xor_b64 s[72:73], exec, s[72:73]
	s_cbranch_execz .LBB2_361
; %bb.360:                              ;   in Loop: Header=BB2_348 Depth=4
	v_and_b32_e32 v14, 0xff, v28
	v_ffbh_u32_e32 v19, v15
	v_bfe_u32 v14, v14, 2, 5
	v_min_u32_e32 v19, 32, v19
	v_mov_b32_e32 v29, v51
	v_subrev_u32_e32 v21, 29, v19
	v_sub_u32_e32 v19, 30, v19
	v_cmp_eq_u32_e32 vcc, 0, v14
	v_lshlrev_b64 v[24:25], v21, v[28:29]
	v_cndmask_b32_e32 v14, v14, v19, vcc
	v_bfrev_b32_e32 v19, 28
	v_bfe_i32 v17, v28, 0, 16
	v_and_b32_e32 v21, 3, v24
	v_lshl_add_u32 v14, v14, 23, v19
	v_cndmask_b32_e32 v15, v15, v21, vcc
	v_and_or_b32 v14, v17, s96, v14
	v_lshl_or_b32 v14, v15, 21, v14
                                        ; implicit-def: $vgpr15
.LBB2_361:                              ;   in Loop: Header=BB2_348 Depth=4
	s_andn2_saveexec_b64 s[72:73], s[72:73]
; %bb.362:                              ;   in Loop: Header=BB2_348 Depth=4
	v_cmp_lt_i16_e32 vcc, -1, v28
	v_mov_b32_e32 v14, 0xc7600000
	v_mov_b32_e32 v17, 0x47600000
	v_cndmask_b32_e32 v14, v14, v17, vcc
	v_cmp_eq_u32_e32 vcc, 0, v15
	v_mov_b32_e32 v15, 0x7f800001
	v_cndmask_b32_e32 v14, v15, v14, vcc
; %bb.363:                              ;   in Loop: Header=BB2_348 Depth=4
	s_or_b64 exec, exec, s[72:73]
.LBB2_364:                              ;   in Loop: Header=BB2_348 Depth=4
	s_or_b64 exec, exec, s[70:71]
.LBB2_365:                              ;   in Loop: Header=BB2_348 Depth=4
	s_or_b64 exec, exec, s[30:31]
	v_max_f32_e32 v14, v14, v14
	v_max_f32_e32 v13, v13, v13
	;; [unrolled: 1-line block ×3, first 2 shown]
	s_branch .LBB2_384
.LBB2_366:                              ;   in Loop: Header=BB2_348 Depth=4
                                        ; implicit-def: $vgpr14
	s_cbranch_execz .LBB2_384
; %bb.367:                              ;   in Loop: Header=BB2_348 Depth=4
	v_mov_b32_e32 v14, 0
	v_mov_b32_e32 v13, 0
	s_and_saveexec_b64 s[30:31], s[28:29]
	s_cbranch_execz .LBB2_375
; %bb.368:                              ;   in Loop: Header=BB2_348 Depth=4
	v_cmp_ne_u16_e32 vcc, s94, v50
	v_bfrev_b32_e32 v13, 1
	s_and_saveexec_b64 s[28:29], vcc
	s_cbranch_execz .LBB2_374
; %bb.369:                              ;   in Loop: Header=BB2_348 Depth=4
	v_and_b32_e32 v13, 0x7c, v0
	v_and_b32_e32 v15, 3, v0
	v_cmp_ne_u32_e32 vcc, s95, v13
                                        ; implicit-def: $vgpr13
	s_and_saveexec_b64 s[70:71], vcc
	s_xor_b64 s[70:71], exec, s[70:71]
	s_cbranch_execz .LBB2_371
; %bb.370:                              ;   in Loop: Header=BB2_348 Depth=4
	v_ffbh_u32_e32 v17, v15
	v_bfe_u32 v0, v0, 2, 5
	v_min_u32_e32 v17, 32, v17
	v_subrev_u32_e32 v19, 29, v17
	v_sub_u32_e32 v17, 30, v17
	v_cmp_eq_u32_e32 vcc, 0, v0
	v_lshlrev_b64 v[24:25], v19, v[50:51]
	v_cndmask_b32_e32 v0, v0, v17, vcc
	v_bfrev_b32_e32 v17, 28
	v_bfe_i32 v13, v50, 0, 16
	v_and_b32_e32 v19, 3, v24
	v_lshl_add_u32 v0, v0, 23, v17
	v_cndmask_b32_e32 v15, v15, v19, vcc
	v_and_or_b32 v0, v13, s96, v0
	v_lshl_or_b32 v13, v15, 21, v0
                                        ; implicit-def: $vgpr15
.LBB2_371:                              ;   in Loop: Header=BB2_348 Depth=4
	s_andn2_saveexec_b64 s[70:71], s[70:71]
; %bb.372:                              ;   in Loop: Header=BB2_348 Depth=4
	v_cmp_lt_i16_e32 vcc, -1, v50
	v_mov_b32_e32 v0, 0xc7600000
	v_mov_b32_e32 v13, 0x47600000
	v_cndmask_b32_e32 v0, v0, v13, vcc
	v_cmp_eq_u32_e32 vcc, 0, v15
	v_mov_b32_e32 v13, 0x7f800001
	v_cndmask_b32_e32 v13, v13, v0, vcc
; %bb.373:                              ;   in Loop: Header=BB2_348 Depth=4
	s_or_b64 exec, exec, s[70:71]
.LBB2_374:                              ;   in Loop: Header=BB2_348 Depth=4
	s_or_b64 exec, exec, s[28:29]
.LBB2_375:                              ;   in Loop: Header=BB2_348 Depth=4
	s_or_b64 exec, exec, s[30:31]
	v_cmp_ne_u16_e32 vcc, 0, v28
	s_and_saveexec_b64 s[28:29], vcc
	s_cbranch_execz .LBB2_383
; %bb.376:                              ;   in Loop: Header=BB2_348 Depth=4
	v_cmp_ne_u16_e32 vcc, s94, v28
	v_bfrev_b32_e32 v14, 1
	s_and_saveexec_b64 s[30:31], vcc
	s_cbranch_execz .LBB2_382
; %bb.377:                              ;   in Loop: Header=BB2_348 Depth=4
	v_and_b32_e32 v14, 0x7c, v28
	v_and_b32_e32 v0, 3, v28
	v_cmp_ne_u32_e32 vcc, s95, v14
                                        ; implicit-def: $vgpr14
	s_and_saveexec_b64 s[70:71], vcc
	s_xor_b64 s[70:71], exec, s[70:71]
	s_cbranch_execz .LBB2_379
; %bb.378:                              ;   in Loop: Header=BB2_348 Depth=4
	v_and_b32_e32 v14, 0xff, v28
	v_bfe_u32 v17, v14, 2, 5
	v_ffbh_u32_e32 v14, v0
	v_min_u32_e32 v21, 32, v14
	v_mov_b32_e32 v29, v51
	v_subrev_u32_e32 v14, 29, v21
	v_lshlrev_b64 v[14:15], v14, v[28:29]
	v_sub_u32_e32 v15, 30, v21
	v_and_b32_e32 v14, 3, v14
	v_cmp_eq_u32_e32 vcc, 0, v17
	v_cndmask_b32_e32 v15, v17, v15, vcc
	v_cndmask_b32_e32 v0, v0, v14, vcc
	v_bfrev_b32_e32 v14, 28
	v_bfe_i32 v19, v28, 0, 16
	v_lshl_add_u32 v14, v15, 23, v14
	v_and_or_b32 v14, v19, s96, v14
	v_lshl_or_b32 v14, v0, 21, v14
                                        ; implicit-def: $vgpr0
                                        ; implicit-def: $vgpr28
.LBB2_379:                              ;   in Loop: Header=BB2_348 Depth=4
	s_andn2_saveexec_b64 s[70:71], s[70:71]
; %bb.380:                              ;   in Loop: Header=BB2_348 Depth=4
	v_cmp_lt_i16_e32 vcc, -1, v28
	v_mov_b32_e32 v14, 0xc7600000
	v_mov_b32_e32 v15, 0x47600000
	v_cndmask_b32_e32 v14, v14, v15, vcc
	v_cmp_eq_u32_e32 vcc, 0, v0
	v_mov_b32_e32 v0, 0x7f800001
	v_cndmask_b32_e32 v14, v0, v14, vcc
; %bb.381:                              ;   in Loop: Header=BB2_348 Depth=4
	s_or_b64 exec, exec, s[70:71]
.LBB2_382:                              ;   in Loop: Header=BB2_348 Depth=4
	s_or_b64 exec, exec, s[30:31]
.LBB2_383:                              ;   in Loop: Header=BB2_348 Depth=4
	s_or_b64 exec, exec, s[28:29]
	v_max_f32_e32 v0, v14, v14
	v_max_f32_e32 v13, v13, v13
	v_min_f32_e32 v14, v13, v0
.LBB2_384:                              ;   in Loop: Header=BB2_348 Depth=4
	v_and_b32_sdwa v13, v14, s97 dst_sel:DWORD dst_unused:UNUSED_PAD src0_sel:BYTE_3 src1_sel:DWORD
	v_and_b32_e32 v24, 0x7f800000, v14
	v_mov_b32_e32 v25, v51
	v_and_b32_e32 v50, 0x7fffff, v14
	v_or_b32_e32 v0, 0x7b, v13
	v_cmp_ne_u64_e32 vcc, s[52:53], v[24:25]
	s_and_saveexec_b64 s[28:29], vcc
	s_xor_b64 s[30:31], exec, s[28:29]
	s_cbranch_execz .LBB2_398
; %bb.385:                              ;   in Loop: Header=BB2_348 Depth=4
	v_and_b32_e32 v24, 0x7fffffff, v14
	v_mov_b32_e32 v25, v51
	v_cmp_gt_u64_e32 vcc, s[54:55], v[24:25]
	s_and_saveexec_b64 s[28:29], vcc
	s_xor_b64 s[70:71], exec, s[28:29]
	s_cbranch_execz .LBB2_397
; %bb.386:                              ;   in Loop: Header=BB2_348 Depth=4
	v_cmp_ne_u32_e32 vcc, 0, v14
	v_mov_b32_e32 v0, 0
	s_and_saveexec_b64 s[72:73], vcc
	s_cbranch_execz .LBB2_396
; %bb.387:                              ;   in Loop: Header=BB2_348 Depth=4
	v_bfe_u32 v0, v14, 23, 8
	v_sub_u32_e32 v15, 0x71, v0
	v_cmp_gt_u32_e32 vcc, s38, v0
	v_add_u32_e32 v14, 0xffffff81, v0
	v_cndmask_b32_e32 v15, 0, v15, vcc
	v_cmp_eq_u32_e32 vcc, 0, v0
	v_mov_b32_e32 v0, 0xffffff82
	v_cndmask_b32_e32 v0, v14, v0, vcc
	v_mov_b32_e32 v14, 0x70
	v_or_b32_e32 v17, 0x800000, v50
	v_cndmask_b32_e32 v19, v15, v14, vcc
	v_cndmask_b32_e32 v50, v17, v50, vcc
	v_add_u32_e32 v14, 21, v19
	v_lshlrev_b64 v[14:15], v14, -1
	v_add_u32_e32 v17, 20, v19
	v_lshrrev_b64 v[28:29], v19, v[50:51]
	v_not_b32_e32 v15, v15
	v_not_b32_e32 v14, v14
	v_lshlrev_b64 v[24:25], v17, 1
	v_lshrrev_b32_e32 v17, 23, v28
	v_and_b32_e32 v15, 0, v15
	v_and_b32_e32 v14, v50, v14
	v_add3_u32 v19, v19, v0, v17
	v_bfe_u32 v17, v28, 21, 1
	v_add_u32_e32 v17, -1, v17
	v_cmp_eq_u64_e32 vcc, v[14:15], v[24:25]
	v_cndmask_b32_e32 v14, 0, v17, vcc
	v_add_u32_e32 v14, v14, v28
	v_and_b32_e32 v14, 0x1fffff, v14
	v_add_co_u32_e32 v14, vcc, v14, v28
	v_add_u32_e32 v0, 14, v19
	v_addc_co_u32_e32 v15, vcc, 0, v29, vcc
	v_cmp_ne_u32_e32 vcc, 0, v0
                                        ; implicit-def: $vgpr17
	s_and_saveexec_b64 s[28:29], vcc
	s_xor_b64 s[28:29], exec, s[28:29]
; %bb.388:                              ;   in Loop: Header=BB2_348 Depth=4
	v_add_u32_e32 v17, 15, v19
	v_cmp_lt_u64_e32 vcc, s[56:57], v[14:15]
	v_cndmask_b32_e32 v17, v0, v17, vcc
	v_cndmask_b32_e64 v0, 0, 1, vcc
	v_lshrrev_b64 v[14:15], v0, v[14:15]
; %bb.389:                              ;   in Loop: Header=BB2_348 Depth=4
	s_andn2_saveexec_b64 s[28:29], s[28:29]
; %bb.390:                              ;   in Loop: Header=BB2_348 Depth=4
	v_bfe_u32 v17, v14, 23, 1
; %bb.391:                              ;   in Loop: Header=BB2_348 Depth=4
	s_or_b64 exec, exec, s[28:29]
	v_lshrrev_b64 v[14:15], 21, v[14:15]
	v_cmp_gt_i32_e32 vcc, 32, v17
	v_cndmask_b32_e32 v15, 0, v15, vcc
	v_cndmask_b32_e32 v14, 3, v14, vcc
	v_cmp_ne_u32_e32 vcc, 0, v17
	v_cmp_ne_u64_e64 s[28:29], 0, v[14:15]
	s_or_b64 s[28:29], vcc, s[28:29]
                                        ; implicit-def: $vgpr0
	s_and_saveexec_b64 vcc, s[28:29]
	s_xor_b64 s[28:29], exec, vcc
; %bb.392:                              ;   in Loop: Header=BB2_348 Depth=4
	v_min_i32_e32 v0, 31, v17
	v_lshl_or_b32 v0, v0, 2, v13
	v_and_or_b32 v0, v14, 3, v0
                                        ; implicit-def: $vgpr13
; %bb.393:                              ;   in Loop: Header=BB2_348 Depth=4
	s_andn2_saveexec_b64 s[28:29], s[28:29]
; %bb.394:                              ;   in Loop: Header=BB2_348 Depth=4
	v_mov_b32_e32 v0, v13
; %bb.395:                              ;   in Loop: Header=BB2_348 Depth=4
	s_or_b64 exec, exec, s[28:29]
.LBB2_396:                              ;   in Loop: Header=BB2_348 Depth=4
	s_or_b64 exec, exec, s[72:73]
.LBB2_397:                              ;   in Loop: Header=BB2_348 Depth=4
	s_andn2_saveexec_b64 s[28:29], s[70:71]
	s_or_b64 exec, exec, s[28:29]
                                        ; implicit-def: $vgpr14
.LBB2_398:                              ;   in Loop: Header=BB2_348 Depth=4
	s_andn2_saveexec_b64 s[28:29], s[30:31]
; %bb.399:                              ;   in Loop: Header=BB2_348 Depth=4
	v_or_b32_sdwa v13, v14, s39 dst_sel:DWORD dst_unused:UNUSED_PAD src0_sel:BYTE_3 src1_sel:DWORD
	v_cmp_eq_u64_e32 vcc, 0, v[50:51]
	v_cndmask_b32_e32 v0, v13, v0, vcc
; %bb.400:                              ;   in Loop: Header=BB2_348 Depth=4
	s_or_b64 exec, exec, s[28:29]
	v_cndmask_b32_e64 v14, 0, 1, s[68:69]
	v_and_b32_e32 v13, 0xff, v26
	v_cmp_ne_u32_e64 s[28:29], 1, v14
	s_andn2_b64 vcc, exec, s[68:69]
	v_cmp_ne_u16_e64 s[30:31], 0, v26
	s_cbranch_vccnz .LBB2_418
; %bb.401:                              ;   in Loop: Header=BB2_348 Depth=4
	v_mov_b32_e32 v15, 0
	v_mov_b32_e32 v14, 0
	s_and_saveexec_b64 s[70:71], s[30:31]
	s_cbranch_execz .LBB2_409
; %bb.402:                              ;   in Loop: Header=BB2_348 Depth=4
	v_cmp_ne_u16_e32 vcc, s94, v26
	v_bfrev_b32_e32 v14, 1
	s_and_saveexec_b64 s[72:73], vcc
	s_cbranch_execz .LBB2_408
; %bb.403:                              ;   in Loop: Header=BB2_348 Depth=4
	v_and_b32_e32 v14, 0x7c, v13
	v_and_b32_e32 v17, 3, v13
	v_cmp_ne_u32_e32 vcc, s95, v14
                                        ; implicit-def: $vgpr14
	s_and_saveexec_b64 s[74:75], vcc
	s_xor_b64 s[74:75], exec, s[74:75]
	s_cbranch_execz .LBB2_405
; %bb.404:                              ;   in Loop: Header=BB2_348 Depth=4
	v_ffbh_u32_e32 v21, v17
	v_bfe_u32 v14, v13, 2, 5
	v_min_u32_e32 v21, 32, v21
	v_mov_b32_e32 v27, v51
	v_subrev_u32_e32 v23, 29, v21
	v_sub_u32_e32 v21, 30, v21
	v_cmp_eq_u32_e32 vcc, 0, v14
	v_lshlrev_b64 v[24:25], v23, v[26:27]
	v_cndmask_b32_e32 v14, v14, v21, vcc
	v_bfrev_b32_e32 v21, 28
	v_bfe_i32 v19, v26, 0, 16
	v_and_b32_e32 v23, 3, v24
	v_lshl_add_u32 v14, v14, 23, v21
	v_cndmask_b32_e32 v17, v17, v23, vcc
	v_and_or_b32 v14, v19, s96, v14
	v_lshl_or_b32 v14, v17, 21, v14
                                        ; implicit-def: $vgpr17
.LBB2_405:                              ;   in Loop: Header=BB2_348 Depth=4
	s_andn2_saveexec_b64 s[74:75], s[74:75]
; %bb.406:                              ;   in Loop: Header=BB2_348 Depth=4
	v_cmp_lt_i16_e32 vcc, -1, v26
	v_mov_b32_e32 v14, 0xc7600000
	v_mov_b32_e32 v19, 0x47600000
	v_cndmask_b32_e32 v14, v14, v19, vcc
	v_cmp_eq_u32_e32 vcc, 0, v17
	v_mov_b32_e32 v17, 0x7f800001
	v_cndmask_b32_e32 v14, v17, v14, vcc
; %bb.407:                              ;   in Loop: Header=BB2_348 Depth=4
	s_or_b64 exec, exec, s[74:75]
.LBB2_408:                              ;   in Loop: Header=BB2_348 Depth=4
	s_or_b64 exec, exec, s[72:73]
.LBB2_409:                              ;   in Loop: Header=BB2_348 Depth=4
	s_or_b64 exec, exec, s[70:71]
	v_cmp_ne_u16_e32 vcc, 0, v20
	s_and_saveexec_b64 s[70:71], vcc
	s_cbranch_execz .LBB2_417
; %bb.410:                              ;   in Loop: Header=BB2_348 Depth=4
	v_cmp_ne_u16_e32 vcc, s94, v20
	v_bfrev_b32_e32 v15, 1
	s_and_saveexec_b64 s[72:73], vcc
	s_cbranch_execz .LBB2_416
; %bb.411:                              ;   in Loop: Header=BB2_348 Depth=4
	v_and_b32_e32 v15, 0x7c, v20
	v_and_b32_e32 v17, 3, v20
	v_cmp_ne_u32_e32 vcc, s95, v15
                                        ; implicit-def: $vgpr15
	s_and_saveexec_b64 s[74:75], vcc
	s_xor_b64 s[74:75], exec, s[74:75]
	s_cbranch_execz .LBB2_413
; %bb.412:                              ;   in Loop: Header=BB2_348 Depth=4
	v_ffbh_u32_e32 v23, v17
	v_and_b32_e32 v15, 0xff, v20
	v_min_u32_e32 v23, 32, v23
	v_mov_b32_e32 v21, v51
	v_bfe_u32 v15, v15, 2, 5
	v_subrev_u32_e32 v24, 29, v23
	v_lshlrev_b64 v[24:25], v24, v[20:21]
	v_sub_u32_e32 v21, 30, v23
	v_cmp_eq_u32_e32 vcc, 0, v15
	v_cndmask_b32_e32 v15, v15, v21, vcc
	v_bfrev_b32_e32 v21, 28
	v_bfe_i32 v19, v20, 0, 16
	v_and_b32_e32 v23, 3, v24
	v_lshl_add_u32 v15, v15, 23, v21
	v_cndmask_b32_e32 v17, v17, v23, vcc
	v_and_or_b32 v15, v19, s96, v15
	v_lshl_or_b32 v15, v17, 21, v15
                                        ; implicit-def: $vgpr17
.LBB2_413:                              ;   in Loop: Header=BB2_348 Depth=4
	s_andn2_saveexec_b64 s[74:75], s[74:75]
; %bb.414:                              ;   in Loop: Header=BB2_348 Depth=4
	v_cmp_lt_i16_e32 vcc, -1, v20
	v_mov_b32_e32 v15, 0xc7600000
	v_mov_b32_e32 v19, 0x47600000
	v_cndmask_b32_e32 v15, v15, v19, vcc
	v_cmp_eq_u32_e32 vcc, 0, v17
	v_mov_b32_e32 v17, 0x7f800001
	v_cndmask_b32_e32 v15, v17, v15, vcc
; %bb.415:                              ;   in Loop: Header=BB2_348 Depth=4
	s_or_b64 exec, exec, s[74:75]
.LBB2_416:                              ;   in Loop: Header=BB2_348 Depth=4
	s_or_b64 exec, exec, s[72:73]
.LBB2_417:                              ;   in Loop: Header=BB2_348 Depth=4
	s_or_b64 exec, exec, s[70:71]
	v_max_f32_e32 v15, v15, v15
	v_max_f32_e32 v14, v14, v14
	;; [unrolled: 1-line block ×3, first 2 shown]
	s_branch .LBB2_436
.LBB2_418:                              ;   in Loop: Header=BB2_348 Depth=4
                                        ; implicit-def: $vgpr14
	s_cbranch_execz .LBB2_436
; %bb.419:                              ;   in Loop: Header=BB2_348 Depth=4
	v_mov_b32_e32 v15, 0
	v_mov_b32_e32 v14, 0
	s_and_saveexec_b64 s[70:71], s[30:31]
	s_cbranch_execz .LBB2_427
; %bb.420:                              ;   in Loop: Header=BB2_348 Depth=4
	v_cmp_ne_u16_e32 vcc, s94, v26
	v_bfrev_b32_e32 v14, 1
	s_and_saveexec_b64 s[30:31], vcc
	s_cbranch_execz .LBB2_426
; %bb.421:                              ;   in Loop: Header=BB2_348 Depth=4
	v_and_b32_e32 v14, 0x7c, v13
	v_and_b32_e32 v17, 3, v13
	v_cmp_ne_u32_e32 vcc, s95, v14
                                        ; implicit-def: $vgpr14
	s_and_saveexec_b64 s[72:73], vcc
	s_xor_b64 s[72:73], exec, s[72:73]
	s_cbranch_execz .LBB2_423
; %bb.422:                              ;   in Loop: Header=BB2_348 Depth=4
	v_ffbh_u32_e32 v19, v17
	v_bfe_u32 v13, v13, 2, 5
	v_min_u32_e32 v19, 32, v19
	v_mov_b32_e32 v27, v51
	v_subrev_u32_e32 v21, 29, v19
	v_sub_u32_e32 v19, 30, v19
	v_cmp_eq_u32_e32 vcc, 0, v13
	v_lshlrev_b64 v[24:25], v21, v[26:27]
	v_cndmask_b32_e32 v13, v13, v19, vcc
	v_bfrev_b32_e32 v19, 28
	v_bfe_i32 v14, v26, 0, 16
	v_and_b32_e32 v21, 3, v24
	v_lshl_add_u32 v13, v13, 23, v19
	v_cndmask_b32_e32 v17, v17, v21, vcc
	v_and_or_b32 v13, v14, s96, v13
	v_lshl_or_b32 v14, v17, 21, v13
                                        ; implicit-def: $vgpr17
                                        ; implicit-def: $vgpr26
.LBB2_423:                              ;   in Loop: Header=BB2_348 Depth=4
	s_andn2_saveexec_b64 s[72:73], s[72:73]
; %bb.424:                              ;   in Loop: Header=BB2_348 Depth=4
	v_cmp_lt_i16_e32 vcc, -1, v26
	v_mov_b32_e32 v13, 0xc7600000
	v_mov_b32_e32 v14, 0x47600000
	v_cndmask_b32_e32 v13, v13, v14, vcc
	v_cmp_eq_u32_e32 vcc, 0, v17
	v_mov_b32_e32 v14, 0x7f800001
	v_cndmask_b32_e32 v14, v14, v13, vcc
; %bb.425:                              ;   in Loop: Header=BB2_348 Depth=4
	s_or_b64 exec, exec, s[72:73]
.LBB2_426:                              ;   in Loop: Header=BB2_348 Depth=4
	s_or_b64 exec, exec, s[30:31]
.LBB2_427:                              ;   in Loop: Header=BB2_348 Depth=4
	s_or_b64 exec, exec, s[70:71]
	v_cmp_ne_u16_e32 vcc, 0, v20
	s_and_saveexec_b64 s[30:31], vcc
	s_cbranch_execz .LBB2_435
; %bb.428:                              ;   in Loop: Header=BB2_348 Depth=4
	v_cmp_ne_u16_e32 vcc, s94, v20
	v_bfrev_b32_e32 v15, 1
	s_and_saveexec_b64 s[70:71], vcc
	s_cbranch_execz .LBB2_434
; %bb.429:                              ;   in Loop: Header=BB2_348 Depth=4
	v_and_b32_e32 v15, 0x7c, v20
	v_and_b32_e32 v13, 3, v20
	v_cmp_ne_u32_e32 vcc, s95, v15
                                        ; implicit-def: $vgpr15
	s_and_saveexec_b64 s[72:73], vcc
	s_xor_b64 s[72:73], exec, s[72:73]
	s_cbranch_execz .LBB2_431
; %bb.430:                              ;   in Loop: Header=BB2_348 Depth=4
	v_and_b32_e32 v15, 0xff, v20
	v_ffbh_u32_e32 v19, v13
	v_bfe_u32 v15, v15, 2, 5
	v_min_u32_e32 v19, 32, v19
	v_mov_b32_e32 v21, v51
	v_subrev_u32_e32 v23, 29, v19
	v_sub_u32_e32 v19, 30, v19
	v_cmp_eq_u32_e32 vcc, 0, v15
	v_bfe_i32 v17, v20, 0, 16
	v_lshlrev_b64 v[20:21], v23, v[20:21]
	v_cndmask_b32_e32 v15, v15, v19, vcc
	v_bfrev_b32_e32 v19, 28
	v_and_b32_e32 v20, 3, v20
	v_lshl_add_u32 v15, v15, 23, v19
	v_cndmask_b32_e32 v13, v13, v20, vcc
	v_and_or_b32 v15, v17, s96, v15
	v_lshl_or_b32 v15, v13, 21, v15
                                        ; implicit-def: $vgpr13
                                        ; implicit-def: $vgpr20
.LBB2_431:                              ;   in Loop: Header=BB2_348 Depth=4
	s_andn2_saveexec_b64 s[72:73], s[72:73]
; %bb.432:                              ;   in Loop: Header=BB2_348 Depth=4
	v_cmp_lt_i16_e32 vcc, -1, v20
	v_mov_b32_e32 v15, 0xc7600000
	v_mov_b32_e32 v17, 0x47600000
	v_cndmask_b32_e32 v15, v15, v17, vcc
	v_cmp_eq_u32_e32 vcc, 0, v13
	v_mov_b32_e32 v13, 0x7f800001
	v_cndmask_b32_e32 v15, v13, v15, vcc
; %bb.433:                              ;   in Loop: Header=BB2_348 Depth=4
	s_or_b64 exec, exec, s[72:73]
.LBB2_434:                              ;   in Loop: Header=BB2_348 Depth=4
	s_or_b64 exec, exec, s[70:71]
.LBB2_435:                              ;   in Loop: Header=BB2_348 Depth=4
	s_or_b64 exec, exec, s[30:31]
	v_max_f32_e32 v13, v15, v15
	v_max_f32_e32 v14, v14, v14
	v_min_f32_e32 v14, v14, v13
.LBB2_436:                              ;   in Loop: Header=BB2_348 Depth=4
	v_and_b32_sdwa v13, v14, s97 dst_sel:DWORD dst_unused:UNUSED_PAD src0_sel:BYTE_3 src1_sel:DWORD
	v_and_b32_e32 v24, 0x7f800000, v14
	v_mov_b32_e32 v25, v51
	v_and_b32_e32 v50, 0x7fffff, v14
	v_or_b32_e32 v20, 0x7b, v13
	v_cmp_ne_u64_e32 vcc, s[52:53], v[24:25]
	s_and_saveexec_b64 s[30:31], vcc
	s_xor_b64 s[70:71], exec, s[30:31]
	s_cbranch_execz .LBB2_450
; %bb.437:                              ;   in Loop: Header=BB2_348 Depth=4
	v_and_b32_e32 v24, 0x7fffffff, v14
	v_mov_b32_e32 v25, v51
	v_cmp_gt_u64_e32 vcc, s[54:55], v[24:25]
	s_and_saveexec_b64 s[30:31], vcc
	s_xor_b64 s[72:73], exec, s[30:31]
	s_cbranch_execz .LBB2_449
; %bb.438:                              ;   in Loop: Header=BB2_348 Depth=4
	v_cmp_ne_u32_e32 vcc, 0, v14
	v_mov_b32_e32 v20, 0
	s_and_saveexec_b64 s[74:75], vcc
	s_cbranch_execz .LBB2_448
; %bb.439:                              ;   in Loop: Header=BB2_348 Depth=4
	v_bfe_u32 v14, v14, 23, 8
	v_sub_u32_e32 v17, 0x71, v14
	v_cmp_gt_u32_e32 vcc, s38, v14
	v_add_u32_e32 v15, 0xffffff81, v14
	v_cndmask_b32_e32 v17, 0, v17, vcc
	v_cmp_eq_u32_e32 vcc, 0, v14
	v_mov_b32_e32 v14, 0xffffff82
	v_cndmask_b32_e32 v20, v15, v14, vcc
	v_mov_b32_e32 v14, 0x70
	v_or_b32_e32 v19, 0x800000, v50
	v_cndmask_b32_e32 v17, v17, v14, vcc
	v_cndmask_b32_e32 v50, v19, v50, vcc
	v_add_u32_e32 v14, 21, v17
	v_lshlrev_b64 v[14:15], v14, -1
	v_add_u32_e32 v19, 20, v17
	v_lshrrev_b64 v[26:27], v17, v[50:51]
	v_not_b32_e32 v15, v15
	v_not_b32_e32 v14, v14
	v_lshlrev_b64 v[24:25], v19, 1
	v_lshrrev_b32_e32 v19, 23, v26
	v_and_b32_e32 v15, 0, v15
	v_and_b32_e32 v14, v50, v14
	v_add3_u32 v20, v17, v20, v19
	v_bfe_u32 v17, v26, 21, 1
	v_add_u32_e32 v17, -1, v17
	v_cmp_eq_u64_e32 vcc, v[14:15], v[24:25]
	v_cndmask_b32_e32 v14, 0, v17, vcc
	v_add_u32_e32 v14, v14, v26
	v_and_b32_e32 v14, 0x1fffff, v14
	v_add_co_u32_e32 v14, vcc, v14, v26
	v_add_u32_e32 v19, 14, v20
	v_addc_co_u32_e32 v15, vcc, 0, v27, vcc
	v_cmp_ne_u32_e32 vcc, 0, v19
                                        ; implicit-def: $vgpr17
	s_and_saveexec_b64 s[30:31], vcc
	s_xor_b64 s[30:31], exec, s[30:31]
; %bb.440:                              ;   in Loop: Header=BB2_348 Depth=4
	v_add_u32_e32 v17, 15, v20
	v_cmp_lt_u64_e32 vcc, s[56:57], v[14:15]
	v_cndmask_b32_e32 v17, v19, v17, vcc
	v_cndmask_b32_e64 v19, 0, 1, vcc
	v_lshrrev_b64 v[14:15], v19, v[14:15]
; %bb.441:                              ;   in Loop: Header=BB2_348 Depth=4
	s_andn2_saveexec_b64 vcc, s[30:31]
; %bb.442:                              ;   in Loop: Header=BB2_348 Depth=4
	v_bfe_u32 v17, v14, 23, 1
; %bb.443:                              ;   in Loop: Header=BB2_348 Depth=4
	s_or_b64 exec, exec, vcc
	v_lshrrev_b64 v[14:15], 21, v[14:15]
	v_cmp_gt_i32_e32 vcc, 32, v17
	v_cndmask_b32_e32 v15, 0, v15, vcc
	v_cndmask_b32_e32 v14, 3, v14, vcc
	v_cmp_ne_u32_e32 vcc, 0, v17
	v_cmp_ne_u64_e64 s[30:31], 0, v[14:15]
	s_or_b64 vcc, vcc, s[30:31]
                                        ; implicit-def: $vgpr20
	s_and_saveexec_b64 s[30:31], vcc
	s_xor_b64 vcc, exec, s[30:31]
; %bb.444:                              ;   in Loop: Header=BB2_348 Depth=4
	v_min_i32_e32 v15, 31, v17
	v_lshl_or_b32 v13, v15, 2, v13
	v_and_or_b32 v20, v14, 3, v13
                                        ; implicit-def: $vgpr13
; %bb.445:                              ;   in Loop: Header=BB2_348 Depth=4
	s_andn2_saveexec_b64 vcc, vcc
; %bb.446:                              ;   in Loop: Header=BB2_348 Depth=4
	v_mov_b32_e32 v20, v13
; %bb.447:                              ;   in Loop: Header=BB2_348 Depth=4
	s_or_b64 exec, exec, vcc
.LBB2_448:                              ;   in Loop: Header=BB2_348 Depth=4
	s_or_b64 exec, exec, s[74:75]
.LBB2_449:                              ;   in Loop: Header=BB2_348 Depth=4
	s_andn2_saveexec_b64 vcc, s[72:73]
	s_or_b64 exec, exec, vcc
                                        ; implicit-def: $vgpr14
.LBB2_450:                              ;   in Loop: Header=BB2_348 Depth=4
	s_andn2_saveexec_b64 s[30:31], s[70:71]
; %bb.451:                              ;   in Loop: Header=BB2_348 Depth=4
	v_or_b32_sdwa v13, v14, s39 dst_sel:DWORD dst_unused:UNUSED_PAD src0_sel:BYTE_3 src1_sel:DWORD
	v_cmp_eq_u64_e32 vcc, 0, v[50:51]
	v_cndmask_b32_e32 v20, v13, v20, vcc
; %bb.452:                              ;   in Loop: Header=BB2_348 Depth=4
	s_or_b64 exec, exec, s[30:31]
	v_and_b32_e32 v13, 0xff, v18
	s_and_b64 vcc, exec, s[28:29]
	v_cmp_ne_u16_e64 s[30:31], 0, v18
	s_cbranch_vccnz .LBB2_470
; %bb.453:                              ;   in Loop: Header=BB2_348 Depth=4
	v_mov_b32_e32 v15, 0
	v_mov_b32_e32 v14, 0
	s_and_saveexec_b64 s[70:71], s[30:31]
	s_cbranch_execz .LBB2_461
; %bb.454:                              ;   in Loop: Header=BB2_348 Depth=4
	v_cmp_ne_u16_e32 vcc, s94, v18
	v_bfrev_b32_e32 v14, 1
	s_and_saveexec_b64 s[72:73], vcc
	s_cbranch_execz .LBB2_460
; %bb.455:                              ;   in Loop: Header=BB2_348 Depth=4
	v_and_b32_e32 v14, 0x7c, v13
	v_and_b32_e32 v17, 3, v13
	v_cmp_ne_u32_e32 vcc, s95, v14
                                        ; implicit-def: $vgpr14
	s_and_saveexec_b64 s[46:47], vcc
	s_xor_b64 s[74:75], exec, s[46:47]
	s_cbranch_execz .LBB2_457
; %bb.456:                              ;   in Loop: Header=BB2_348 Depth=4
	v_ffbh_u32_e32 v23, v17
	v_min_u32_e32 v23, 32, v23
	v_mov_b32_e32 v19, v51
	v_bfe_u32 v14, v13, 2, 5
	v_subrev_u32_e32 v24, 29, v23
	v_lshlrev_b64 v[24:25], v24, v[18:19]
	v_sub_u32_e32 v19, 30, v23
	v_cmp_eq_u32_e32 vcc, 0, v14
	v_cndmask_b32_e32 v14, v14, v19, vcc
	v_bfrev_b32_e32 v19, 28
	v_bfe_i32 v21, v18, 0, 16
	v_and_b32_e32 v23, 3, v24
	v_lshl_add_u32 v14, v14, 23, v19
	v_cndmask_b32_e32 v17, v17, v23, vcc
	v_and_or_b32 v14, v21, s96, v14
	v_lshl_or_b32 v14, v17, 21, v14
                                        ; implicit-def: $vgpr17
.LBB2_457:                              ;   in Loop: Header=BB2_348 Depth=4
	s_andn2_saveexec_b64 s[74:75], s[74:75]
; %bb.458:                              ;   in Loop: Header=BB2_348 Depth=4
	v_cmp_lt_i16_e32 vcc, -1, v18
	v_mov_b32_e32 v14, 0xc7600000
	v_mov_b32_e32 v19, 0x47600000
	v_cndmask_b32_e32 v14, v14, v19, vcc
	v_cmp_eq_u32_e32 vcc, 0, v17
	v_mov_b32_e32 v17, 0x7f800001
	v_cndmask_b32_e32 v14, v17, v14, vcc
; %bb.459:                              ;   in Loop: Header=BB2_348 Depth=4
	s_or_b64 exec, exec, s[74:75]
.LBB2_460:                              ;   in Loop: Header=BB2_348 Depth=4
	s_or_b64 exec, exec, s[72:73]
.LBB2_461:                              ;   in Loop: Header=BB2_348 Depth=4
	s_or_b64 exec, exec, s[70:71]
	v_cmp_ne_u16_e32 vcc, 0, v16
	s_and_saveexec_b64 s[70:71], vcc
	s_cbranch_execz .LBB2_469
; %bb.462:                              ;   in Loop: Header=BB2_348 Depth=4
	v_cmp_ne_u16_e32 vcc, s94, v16
	v_bfrev_b32_e32 v15, 1
	s_and_saveexec_b64 s[72:73], vcc
	s_cbranch_execz .LBB2_468
; %bb.463:                              ;   in Loop: Header=BB2_348 Depth=4
	v_and_b32_e32 v15, 0x7c, v16
	v_and_b32_e32 v19, 3, v16
	v_cmp_ne_u32_e32 vcc, s95, v15
                                        ; implicit-def: $vgpr15
	s_and_saveexec_b64 s[46:47], vcc
	s_xor_b64 s[74:75], exec, s[46:47]
	s_cbranch_execz .LBB2_465
; %bb.464:                              ;   in Loop: Header=BB2_348 Depth=4
	v_ffbh_u32_e32 v23, v19
	v_min_u32_e32 v23, 32, v23
	v_and_b32_e32 v15, 0xff, v16
	v_mov_b32_e32 v17, v51
	v_subrev_u32_e32 v24, 29, v23
	v_bfe_u32 v15, v15, 2, 5
	v_lshlrev_b64 v[24:25], v24, v[16:17]
	v_sub_u32_e32 v17, 30, v23
	v_and_b32_e32 v23, 3, v24
	v_cmp_eq_u32_e32 vcc, 0, v15
	v_cndmask_b32_e32 v15, v15, v17, vcc
	v_cndmask_b32_e32 v17, v19, v23, vcc
	v_bfrev_b32_e32 v19, 28
	v_bfe_i32 v21, v16, 0, 16
	v_lshl_add_u32 v15, v15, 23, v19
	v_and_or_b32 v15, v21, s96, v15
	v_lshl_or_b32 v15, v17, 21, v15
                                        ; implicit-def: $vgpr19
.LBB2_465:                              ;   in Loop: Header=BB2_348 Depth=4
	s_andn2_saveexec_b64 s[74:75], s[74:75]
; %bb.466:                              ;   in Loop: Header=BB2_348 Depth=4
	v_cmp_lt_i16_e32 vcc, -1, v16
	v_mov_b32_e32 v15, 0xc7600000
	v_mov_b32_e32 v17, 0x47600000
	v_cndmask_b32_e32 v15, v15, v17, vcc
	v_cmp_eq_u32_e32 vcc, 0, v19
	v_mov_b32_e32 v17, 0x7f800001
	v_cndmask_b32_e32 v15, v17, v15, vcc
; %bb.467:                              ;   in Loop: Header=BB2_348 Depth=4
	s_or_b64 exec, exec, s[74:75]
.LBB2_468:                              ;   in Loop: Header=BB2_348 Depth=4
	s_or_b64 exec, exec, s[72:73]
.LBB2_469:                              ;   in Loop: Header=BB2_348 Depth=4
	s_or_b64 exec, exec, s[70:71]
	v_max_f32_e32 v15, v15, v15
	v_max_f32_e32 v14, v14, v14
	;; [unrolled: 1-line block ×3, first 2 shown]
	s_branch .LBB2_488
.LBB2_470:                              ;   in Loop: Header=BB2_348 Depth=4
                                        ; implicit-def: $vgpr14
	s_cbranch_execz .LBB2_488
; %bb.471:                              ;   in Loop: Header=BB2_348 Depth=4
	v_mov_b32_e32 v15, 0
	v_mov_b32_e32 v14, 0
	s_and_saveexec_b64 s[70:71], s[30:31]
	s_cbranch_execz .LBB2_479
; %bb.472:                              ;   in Loop: Header=BB2_348 Depth=4
	v_cmp_ne_u16_e32 vcc, s94, v18
	v_bfrev_b32_e32 v14, 1
	s_and_saveexec_b64 s[30:31], vcc
	s_cbranch_execz .LBB2_478
; %bb.473:                              ;   in Loop: Header=BB2_348 Depth=4
	v_and_b32_e32 v14, 0x7c, v13
	v_and_b32_e32 v17, 3, v13
	v_cmp_ne_u32_e32 vcc, s95, v14
                                        ; implicit-def: $vgpr14
	s_and_saveexec_b64 s[46:47], vcc
	s_xor_b64 s[72:73], exec, s[46:47]
	s_cbranch_execz .LBB2_475
; %bb.474:                              ;   in Loop: Header=BB2_348 Depth=4
	v_ffbh_u32_e32 v21, v17
	v_min_u32_e32 v21, 32, v21
	v_mov_b32_e32 v19, v51
	v_subrev_u32_e32 v23, 29, v21
	v_bfe_u32 v13, v13, 2, 5
	v_bfe_i32 v14, v18, 0, 16
	v_lshlrev_b64 v[18:19], v23, v[18:19]
	v_sub_u32_e32 v19, 30, v21
	v_and_b32_e32 v18, 3, v18
	v_cmp_eq_u32_e32 vcc, 0, v13
	v_cndmask_b32_e32 v13, v13, v19, vcc
	v_cndmask_b32_e32 v17, v17, v18, vcc
	v_bfrev_b32_e32 v18, 28
	v_lshl_add_u32 v13, v13, 23, v18
	v_and_or_b32 v13, v14, s96, v13
	v_lshl_or_b32 v14, v17, 21, v13
                                        ; implicit-def: $vgpr17
                                        ; implicit-def: $vgpr18
.LBB2_475:                              ;   in Loop: Header=BB2_348 Depth=4
	s_andn2_saveexec_b64 s[72:73], s[72:73]
; %bb.476:                              ;   in Loop: Header=BB2_348 Depth=4
	v_cmp_lt_i16_e32 vcc, -1, v18
	v_mov_b32_e32 v13, 0xc7600000
	v_mov_b32_e32 v14, 0x47600000
	v_cndmask_b32_e32 v13, v13, v14, vcc
	v_cmp_eq_u32_e32 vcc, 0, v17
	v_mov_b32_e32 v14, 0x7f800001
	v_cndmask_b32_e32 v14, v14, v13, vcc
; %bb.477:                              ;   in Loop: Header=BB2_348 Depth=4
	s_or_b64 exec, exec, s[72:73]
.LBB2_478:                              ;   in Loop: Header=BB2_348 Depth=4
	s_or_b64 exec, exec, s[30:31]
.LBB2_479:                              ;   in Loop: Header=BB2_348 Depth=4
	s_or_b64 exec, exec, s[70:71]
	v_cmp_ne_u16_e32 vcc, 0, v16
	s_and_saveexec_b64 s[30:31], vcc
	s_cbranch_execz .LBB2_487
; %bb.480:                              ;   in Loop: Header=BB2_348 Depth=4
	v_cmp_ne_u16_e32 vcc, s94, v16
	v_bfrev_b32_e32 v15, 1
	s_and_saveexec_b64 s[70:71], vcc
	s_cbranch_execz .LBB2_486
; %bb.481:                              ;   in Loop: Header=BB2_348 Depth=4
	v_and_b32_e32 v15, 0x7c, v16
	v_and_b32_e32 v13, 3, v16
	v_cmp_ne_u32_e32 vcc, s95, v15
                                        ; implicit-def: $vgpr15
	s_and_saveexec_b64 s[46:47], vcc
	s_xor_b64 s[72:73], exec, s[46:47]
	s_cbranch_execz .LBB2_483
; %bb.482:                              ;   in Loop: Header=BB2_348 Depth=4
	v_ffbh_u32_e32 v19, v13
	v_min_u32_e32 v19, 32, v19
	v_and_b32_e32 v15, 0xff, v16
	v_mov_b32_e32 v17, v51
	v_subrev_u32_e32 v21, 29, v19
	v_bfe_u32 v15, v15, 2, 5
	v_bfe_i32 v18, v16, 0, 16
	v_lshlrev_b64 v[16:17], v21, v[16:17]
	v_sub_u32_e32 v17, 30, v19
	v_and_b32_e32 v16, 3, v16
	v_cmp_eq_u32_e32 vcc, 0, v15
	v_cndmask_b32_e32 v15, v15, v17, vcc
	v_cndmask_b32_e32 v13, v13, v16, vcc
	v_bfrev_b32_e32 v16, 28
	v_lshl_add_u32 v15, v15, 23, v16
	v_and_or_b32 v15, v18, s96, v15
	v_lshl_or_b32 v15, v13, 21, v15
                                        ; implicit-def: $vgpr13
                                        ; implicit-def: $vgpr16
.LBB2_483:                              ;   in Loop: Header=BB2_348 Depth=4
	s_andn2_saveexec_b64 s[72:73], s[72:73]
; %bb.484:                              ;   in Loop: Header=BB2_348 Depth=4
	v_cmp_lt_i16_e32 vcc, -1, v16
	v_mov_b32_e32 v15, 0xc7600000
	v_mov_b32_e32 v16, 0x47600000
	v_cndmask_b32_e32 v15, v15, v16, vcc
	v_cmp_eq_u32_e32 vcc, 0, v13
	v_mov_b32_e32 v13, 0x7f800001
	v_cndmask_b32_e32 v15, v13, v15, vcc
; %bb.485:                              ;   in Loop: Header=BB2_348 Depth=4
	s_or_b64 exec, exec, s[72:73]
.LBB2_486:                              ;   in Loop: Header=BB2_348 Depth=4
	s_or_b64 exec, exec, s[70:71]
.LBB2_487:                              ;   in Loop: Header=BB2_348 Depth=4
	s_or_b64 exec, exec, s[30:31]
	v_max_f32_e32 v13, v15, v15
	v_max_f32_e32 v14, v14, v14
	v_min_f32_e32 v14, v14, v13
.LBB2_488:                              ;   in Loop: Header=BB2_348 Depth=4
	v_and_b32_sdwa v13, v14, s97 dst_sel:DWORD dst_unused:UNUSED_PAD src0_sel:BYTE_3 src1_sel:DWORD
	v_and_b32_e32 v16, 0x7f800000, v14
	v_mov_b32_e32 v17, v51
	v_and_b32_e32 v50, 0x7fffff, v14
	v_or_b32_e32 v15, 0x7b, v13
	v_cmp_ne_u64_e32 vcc, s[52:53], v[16:17]
	s_and_saveexec_b64 s[30:31], vcc
	s_xor_b64 s[70:71], exec, s[30:31]
	s_cbranch_execz .LBB2_502
; %bb.489:                              ;   in Loop: Header=BB2_348 Depth=4
	v_and_b32_e32 v16, 0x7fffffff, v14
	v_mov_b32_e32 v17, v51
	v_cmp_gt_u64_e32 vcc, s[54:55], v[16:17]
	s_and_saveexec_b64 s[30:31], vcc
	s_xor_b64 s[72:73], exec, s[30:31]
	s_cbranch_execz .LBB2_501
; %bb.490:                              ;   in Loop: Header=BB2_348 Depth=4
	v_cmp_ne_u32_e32 vcc, 0, v14
	v_mov_b32_e32 v15, 0
	s_and_saveexec_b64 s[74:75], vcc
	s_cbranch_execz .LBB2_500
; %bb.491:                              ;   in Loop: Header=BB2_348 Depth=4
	v_bfe_u32 v14, v14, 23, 8
	v_sub_u32_e32 v16, 0x71, v14
	v_cmp_gt_u32_e32 vcc, s38, v14
	v_add_u32_e32 v15, 0xffffff81, v14
	v_cndmask_b32_e32 v16, 0, v16, vcc
	v_cmp_eq_u32_e32 vcc, 0, v14
	v_mov_b32_e32 v14, 0xffffff82
	v_cndmask_b32_e32 v18, v15, v14, vcc
	v_mov_b32_e32 v14, 0x70
	v_or_b32_e32 v17, 0x800000, v50
	v_cndmask_b32_e32 v16, v16, v14, vcc
	v_cndmask_b32_e32 v50, v17, v50, vcc
	v_add_u32_e32 v14, 21, v16
	v_lshlrev_b64 v[14:15], v14, -1
	v_add_u32_e32 v17, 20, v16
	v_lshrrev_b64 v[26:27], v16, v[50:51]
	v_not_b32_e32 v15, v15
	v_not_b32_e32 v14, v14
	v_lshlrev_b64 v[24:25], v17, 1
	v_lshrrev_b32_e32 v17, 23, v26
	v_and_b32_e32 v15, 0, v15
	v_and_b32_e32 v14, v50, v14
	v_add3_u32 v18, v16, v18, v17
	v_bfe_u32 v16, v26, 21, 1
	v_add_u32_e32 v16, -1, v16
	v_cmp_eq_u64_e32 vcc, v[14:15], v[24:25]
	v_cndmask_b32_e32 v14, 0, v16, vcc
	v_add_u32_e32 v14, v14, v26
	v_and_b32_e32 v14, 0x1fffff, v14
	v_add_co_u32_e32 v14, vcc, v14, v26
	v_add_u32_e32 v17, 14, v18
	v_addc_co_u32_e32 v15, vcc, 0, v27, vcc
	v_cmp_ne_u32_e32 vcc, 0, v17
                                        ; implicit-def: $vgpr16
	s_and_saveexec_b64 s[30:31], vcc
	s_xor_b64 s[30:31], exec, s[30:31]
; %bb.492:                              ;   in Loop: Header=BB2_348 Depth=4
	v_add_u32_e32 v16, 15, v18
	v_cmp_lt_u64_e32 vcc, s[56:57], v[14:15]
	v_cndmask_b32_e32 v16, v17, v16, vcc
	v_cndmask_b32_e64 v17, 0, 1, vcc
	v_lshrrev_b64 v[14:15], v17, v[14:15]
; %bb.493:                              ;   in Loop: Header=BB2_348 Depth=4
	s_andn2_saveexec_b64 vcc, s[30:31]
; %bb.494:                              ;   in Loop: Header=BB2_348 Depth=4
	v_bfe_u32 v16, v14, 23, 1
; %bb.495:                              ;   in Loop: Header=BB2_348 Depth=4
	s_or_b64 exec, exec, vcc
	v_lshrrev_b64 v[14:15], 21, v[14:15]
	v_cmp_gt_i32_e32 vcc, 32, v16
	v_cndmask_b32_e32 v15, 0, v15, vcc
	v_cndmask_b32_e32 v14, 3, v14, vcc
	v_cmp_ne_u32_e32 vcc, 0, v16
	v_cmp_ne_u64_e64 s[30:31], 0, v[14:15]
	s_or_b64 vcc, vcc, s[30:31]
                                        ; implicit-def: $vgpr15
	s_and_saveexec_b64 s[30:31], vcc
	s_xor_b64 vcc, exec, s[30:31]
; %bb.496:                              ;   in Loop: Header=BB2_348 Depth=4
	v_min_i32_e32 v15, 31, v16
	v_lshl_or_b32 v13, v15, 2, v13
	v_and_or_b32 v15, v14, 3, v13
                                        ; implicit-def: $vgpr13
; %bb.497:                              ;   in Loop: Header=BB2_348 Depth=4
	s_andn2_saveexec_b64 vcc, vcc
; %bb.498:                              ;   in Loop: Header=BB2_348 Depth=4
	v_mov_b32_e32 v15, v13
; %bb.499:                              ;   in Loop: Header=BB2_348 Depth=4
	s_or_b64 exec, exec, vcc
.LBB2_500:                              ;   in Loop: Header=BB2_348 Depth=4
	s_or_b64 exec, exec, s[74:75]
.LBB2_501:                              ;   in Loop: Header=BB2_348 Depth=4
	s_andn2_saveexec_b64 vcc, s[72:73]
	s_or_b64 exec, exec, vcc
                                        ; implicit-def: $vgpr14
.LBB2_502:                              ;   in Loop: Header=BB2_348 Depth=4
	s_andn2_saveexec_b64 s[30:31], s[70:71]
; %bb.503:                              ;   in Loop: Header=BB2_348 Depth=4
	v_or_b32_sdwa v13, v14, s39 dst_sel:DWORD dst_unused:UNUSED_PAD src0_sel:BYTE_3 src1_sel:DWORD
	v_cmp_eq_u64_e32 vcc, 0, v[50:51]
	v_cndmask_b32_e32 v15, v13, v15, vcc
; %bb.504:                              ;   in Loop: Header=BB2_348 Depth=4
	s_or_b64 exec, exec, s[30:31]
	v_and_b32_e32 v14, 0xff, v22
	s_and_b64 vcc, exec, s[28:29]
	v_cmp_ne_u16_e64 s[28:29], 0, v22
	s_cbranch_vccnz .LBB2_522
; %bb.505:                              ;   in Loop: Header=BB2_348 Depth=4
	v_mov_b32_e32 v13, 0
	v_mov_b32_e32 v16, 0
	s_and_saveexec_b64 s[30:31], s[28:29]
	s_cbranch_execz .LBB2_513
; %bb.506:                              ;   in Loop: Header=BB2_348 Depth=4
	v_cmp_ne_u16_e32 vcc, s94, v22
	v_bfrev_b32_e32 v16, 1
	s_and_saveexec_b64 s[70:71], vcc
	s_cbranch_execz .LBB2_512
; %bb.507:                              ;   in Loop: Header=BB2_348 Depth=4
	v_and_b32_e32 v16, 0x7c, v14
	v_and_b32_e32 v17, 3, v14
	v_cmp_ne_u32_e32 vcc, s95, v16
                                        ; implicit-def: $vgpr16
	s_and_saveexec_b64 s[46:47], vcc
	s_xor_b64 s[72:73], exec, s[46:47]
	s_cbranch_execz .LBB2_509
; %bb.508:                              ;   in Loop: Header=BB2_348 Depth=4
	v_ffbh_u32_e32 v18, v17
	v_min_u32_e32 v24, 32, v18
	v_mov_b32_e32 v23, v51
	v_subrev_u32_e32 v18, 29, v24
	v_bfe_u32 v16, v14, 2, 5
	v_lshlrev_b64 v[18:19], v18, v[22:23]
	v_sub_u32_e32 v19, 30, v24
	v_and_b32_e32 v18, 3, v18
	v_cmp_eq_u32_e32 vcc, 0, v16
	v_cndmask_b32_e32 v16, v16, v19, vcc
	v_cndmask_b32_e32 v17, v17, v18, vcc
	v_bfrev_b32_e32 v18, 28
	v_bfe_i32 v21, v22, 0, 16
	v_lshl_add_u32 v16, v16, 23, v18
	v_and_or_b32 v16, v21, s96, v16
	v_lshl_or_b32 v16, v17, 21, v16
                                        ; implicit-def: $vgpr17
.LBB2_509:                              ;   in Loop: Header=BB2_348 Depth=4
	s_andn2_saveexec_b64 s[72:73], s[72:73]
; %bb.510:                              ;   in Loop: Header=BB2_348 Depth=4
	v_cmp_lt_i16_e32 vcc, -1, v22
	v_mov_b32_e32 v16, 0xc7600000
	v_mov_b32_e32 v18, 0x47600000
	v_cndmask_b32_e32 v16, v16, v18, vcc
	v_cmp_eq_u32_e32 vcc, 0, v17
	v_mov_b32_e32 v17, 0x7f800001
	v_cndmask_b32_e32 v16, v17, v16, vcc
; %bb.511:                              ;   in Loop: Header=BB2_348 Depth=4
	s_or_b64 exec, exec, s[72:73]
.LBB2_512:                              ;   in Loop: Header=BB2_348 Depth=4
	s_or_b64 exec, exec, s[70:71]
.LBB2_513:                              ;   in Loop: Header=BB2_348 Depth=4
	s_or_b64 exec, exec, s[30:31]
	v_cmp_ne_u16_e32 vcc, 0, v12
	s_and_saveexec_b64 s[30:31], vcc
	s_cbranch_execz .LBB2_521
; %bb.514:                              ;   in Loop: Header=BB2_348 Depth=4
	v_cmp_ne_u16_e32 vcc, s94, v12
	v_bfrev_b32_e32 v13, 1
	s_and_saveexec_b64 s[70:71], vcc
	s_cbranch_execz .LBB2_520
; %bb.515:                              ;   in Loop: Header=BB2_348 Depth=4
	v_and_b32_e32 v13, 0x7c, v12
	v_and_b32_e32 v17, 3, v12
	v_cmp_ne_u32_e32 vcc, s95, v13
                                        ; implicit-def: $vgpr13
	s_and_saveexec_b64 s[46:47], vcc
	s_xor_b64 s[72:73], exec, s[46:47]
	s_cbranch_execz .LBB2_517
; %bb.516:                              ;   in Loop: Header=BB2_348 Depth=4
	v_and_b32_e32 v18, 0xff, v12
	v_bfe_u32 v21, v18, 2, 5
	v_ffbh_u32_e32 v18, v17
	v_min_u32_e32 v24, 32, v18
	v_mov_b32_e32 v13, v51
	v_subrev_u32_e32 v18, 29, v24
	v_lshlrev_b64 v[18:19], v18, v[12:13]
	v_sub_u32_e32 v13, 30, v24
	v_and_b32_e32 v18, 3, v18
	v_cmp_eq_u32_e32 vcc, 0, v21
	v_cndmask_b32_e32 v13, v21, v13, vcc
	v_cndmask_b32_e32 v17, v17, v18, vcc
	v_bfrev_b32_e32 v18, 28
	v_bfe_i32 v23, v12, 0, 16
	v_lshl_add_u32 v13, v13, 23, v18
	v_and_or_b32 v13, v23, s96, v13
	v_lshl_or_b32 v13, v17, 21, v13
                                        ; implicit-def: $vgpr17
.LBB2_517:                              ;   in Loop: Header=BB2_348 Depth=4
	s_andn2_saveexec_b64 s[72:73], s[72:73]
; %bb.518:                              ;   in Loop: Header=BB2_348 Depth=4
	v_cmp_lt_i16_e32 vcc, -1, v12
	v_mov_b32_e32 v13, 0xc7600000
	v_mov_b32_e32 v18, 0x47600000
	v_cndmask_b32_e32 v13, v13, v18, vcc
	v_cmp_eq_u32_e32 vcc, 0, v17
	v_mov_b32_e32 v17, 0x7f800001
	v_cndmask_b32_e32 v13, v17, v13, vcc
; %bb.519:                              ;   in Loop: Header=BB2_348 Depth=4
	s_or_b64 exec, exec, s[72:73]
.LBB2_520:                              ;   in Loop: Header=BB2_348 Depth=4
	s_or_b64 exec, exec, s[70:71]
.LBB2_521:                              ;   in Loop: Header=BB2_348 Depth=4
	s_or_b64 exec, exec, s[30:31]
	v_max_f32_e32 v13, v13, v13
	v_max_f32_e32 v16, v16, v16
	;; [unrolled: 1-line block ×3, first 2 shown]
	s_branch .LBB2_540
.LBB2_522:                              ;   in Loop: Header=BB2_348 Depth=4
                                        ; implicit-def: $vgpr16
	s_cbranch_execz .LBB2_540
; %bb.523:                              ;   in Loop: Header=BB2_348 Depth=4
	v_mov_b32_e32 v13, 0
	v_mov_b32_e32 v16, 0
	s_and_saveexec_b64 s[30:31], s[28:29]
	s_cbranch_execz .LBB2_531
; %bb.524:                              ;   in Loop: Header=BB2_348 Depth=4
	v_cmp_ne_u16_e32 vcc, s94, v22
	v_bfrev_b32_e32 v16, 1
	s_and_saveexec_b64 s[28:29], vcc
	s_cbranch_execz .LBB2_530
; %bb.525:                              ;   in Loop: Header=BB2_348 Depth=4
	v_and_b32_e32 v16, 0x7c, v14
	v_and_b32_e32 v17, 3, v14
	v_cmp_ne_u32_e32 vcc, s95, v16
                                        ; implicit-def: $vgpr16
	s_and_saveexec_b64 s[46:47], vcc
	s_xor_b64 s[70:71], exec, s[46:47]
	s_cbranch_execz .LBB2_527
; %bb.526:                              ;   in Loop: Header=BB2_348 Depth=4
	v_ffbh_u32_e32 v18, v17
	v_min_u32_e32 v21, 32, v18
	v_mov_b32_e32 v23, v51
	v_subrev_u32_e32 v18, 29, v21
	v_bfe_u32 v14, v14, 2, 5
	v_lshlrev_b64 v[18:19], v18, v[22:23]
	v_sub_u32_e32 v19, 30, v21
	v_and_b32_e32 v18, 3, v18
	v_cmp_eq_u32_e32 vcc, 0, v14
	v_cndmask_b32_e32 v14, v14, v19, vcc
	v_cndmask_b32_e32 v17, v17, v18, vcc
	v_bfrev_b32_e32 v18, 28
	v_bfe_i32 v16, v22, 0, 16
	v_lshl_add_u32 v14, v14, 23, v18
	v_and_or_b32 v14, v16, s96, v14
	v_lshl_or_b32 v16, v17, 21, v14
                                        ; implicit-def: $vgpr17
                                        ; implicit-def: $vgpr22
.LBB2_527:                              ;   in Loop: Header=BB2_348 Depth=4
	s_andn2_saveexec_b64 s[70:71], s[70:71]
; %bb.528:                              ;   in Loop: Header=BB2_348 Depth=4
	v_cmp_lt_i16_e32 vcc, -1, v22
	v_mov_b32_e32 v14, 0xc7600000
	v_mov_b32_e32 v16, 0x47600000
	v_cndmask_b32_e32 v14, v14, v16, vcc
	v_cmp_eq_u32_e32 vcc, 0, v17
	v_mov_b32_e32 v16, 0x7f800001
	v_cndmask_b32_e32 v16, v16, v14, vcc
; %bb.529:                              ;   in Loop: Header=BB2_348 Depth=4
	s_or_b64 exec, exec, s[70:71]
.LBB2_530:                              ;   in Loop: Header=BB2_348 Depth=4
	s_or_b64 exec, exec, s[28:29]
.LBB2_531:                              ;   in Loop: Header=BB2_348 Depth=4
	s_or_b64 exec, exec, s[30:31]
	v_cmp_ne_u16_e32 vcc, 0, v12
	s_and_saveexec_b64 s[28:29], vcc
	s_cbranch_execz .LBB2_539
; %bb.532:                              ;   in Loop: Header=BB2_348 Depth=4
	v_cmp_ne_u16_e32 vcc, s94, v12
	v_bfrev_b32_e32 v13, 1
	s_and_saveexec_b64 s[30:31], vcc
	s_cbranch_execz .LBB2_538
; %bb.533:                              ;   in Loop: Header=BB2_348 Depth=4
	v_and_b32_e32 v13, 0x7c, v12
	v_and_b32_e32 v14, 3, v12
	v_cmp_ne_u32_e32 vcc, s95, v13
                                        ; implicit-def: $vgpr13
	s_and_saveexec_b64 s[46:47], vcc
	s_xor_b64 s[70:71], exec, s[46:47]
	s_cbranch_execz .LBB2_535
; %bb.534:                              ;   in Loop: Header=BB2_348 Depth=4
	v_ffbh_u32_e32 v19, v14
	v_min_u32_e32 v19, 32, v19
	v_and_b32_e32 v17, 0xff, v12
	v_mov_b32_e32 v13, v51
	v_subrev_u32_e32 v21, 29, v19
	v_bfe_u32 v17, v17, 2, 5
	v_bfe_i32 v18, v12, 0, 16
	v_lshlrev_b64 v[12:13], v21, v[12:13]
	v_sub_u32_e32 v13, 30, v19
	v_and_b32_e32 v12, 3, v12
	v_cmp_eq_u32_e32 vcc, 0, v17
	v_cndmask_b32_e32 v13, v17, v13, vcc
	v_cndmask_b32_e32 v12, v14, v12, vcc
	v_bfrev_b32_e32 v14, 28
	v_lshl_add_u32 v13, v13, 23, v14
	v_and_or_b32 v13, v18, s96, v13
	v_lshl_or_b32 v13, v12, 21, v13
                                        ; implicit-def: $vgpr14
                                        ; implicit-def: $vgpr12
.LBB2_535:                              ;   in Loop: Header=BB2_348 Depth=4
	s_andn2_saveexec_b64 s[70:71], s[70:71]
; %bb.536:                              ;   in Loop: Header=BB2_348 Depth=4
	v_cmp_lt_i16_e32 vcc, -1, v12
	v_mov_b32_e32 v12, 0xc7600000
	v_mov_b32_e32 v13, 0x47600000
	v_cndmask_b32_e32 v12, v12, v13, vcc
	v_cmp_eq_u32_e32 vcc, 0, v14
	v_mov_b32_e32 v13, 0x7f800001
	v_cndmask_b32_e32 v13, v13, v12, vcc
; %bb.537:                              ;   in Loop: Header=BB2_348 Depth=4
	s_or_b64 exec, exec, s[70:71]
.LBB2_538:                              ;   in Loop: Header=BB2_348 Depth=4
	s_or_b64 exec, exec, s[30:31]
.LBB2_539:                              ;   in Loop: Header=BB2_348 Depth=4
	s_or_b64 exec, exec, s[28:29]
	v_max_f32_e32 v12, v13, v13
	v_max_f32_e32 v13, v16, v16
	v_min_f32_e32 v16, v13, v12
.LBB2_540:                              ;   in Loop: Header=BB2_348 Depth=4
	v_and_b32_sdwa v14, v16, s97 dst_sel:DWORD dst_unused:UNUSED_PAD src0_sel:BYTE_3 src1_sel:DWORD
	v_and_b32_e32 v18, 0x7f800000, v16
	v_mov_b32_e32 v19, v51
	v_and_b32_e32 v50, 0x7fffff, v16
	v_or_b32_e32 v13, 0x7b, v14
	v_cmp_ne_u64_e32 vcc, s[52:53], v[18:19]
	s_and_saveexec_b64 s[28:29], vcc
	s_xor_b64 s[30:31], exec, s[28:29]
	s_cbranch_execz .LBB2_554
; %bb.541:                              ;   in Loop: Header=BB2_348 Depth=4
	v_and_b32_e32 v18, 0x7fffffff, v16
	v_mov_b32_e32 v19, v51
	v_cmp_gt_u64_e32 vcc, s[54:55], v[18:19]
	s_and_saveexec_b64 s[28:29], vcc
	s_xor_b64 s[70:71], exec, s[28:29]
	s_cbranch_execz .LBB2_553
; %bb.542:                              ;   in Loop: Header=BB2_348 Depth=4
	v_cmp_ne_u32_e32 vcc, 0, v16
	v_mov_b32_e32 v13, 0
	s_and_saveexec_b64 s[72:73], vcc
	s_cbranch_execz .LBB2_552
; %bb.543:                              ;   in Loop: Header=BB2_348 Depth=4
	v_bfe_u32 v12, v16, 23, 8
	v_sub_u32_e32 v16, 0x71, v12
	v_cmp_gt_u32_e32 vcc, s38, v12
	v_add_u32_e32 v13, 0xffffff81, v12
	v_cndmask_b32_e32 v16, 0, v16, vcc
	v_cmp_eq_u32_e32 vcc, 0, v12
	v_mov_b32_e32 v12, 0xffffff82
	v_cndmask_b32_e32 v18, v13, v12, vcc
	v_mov_b32_e32 v12, 0x70
	v_or_b32_e32 v17, 0x800000, v50
	v_cndmask_b32_e32 v16, v16, v12, vcc
	v_cndmask_b32_e32 v50, v17, v50, vcc
	v_add_u32_e32 v12, 21, v16
	v_lshlrev_b64 v[12:13], v12, -1
	v_add_u32_e32 v17, 20, v16
	v_lshrrev_b64 v[24:25], v16, v[50:51]
	v_not_b32_e32 v13, v13
	v_not_b32_e32 v12, v12
	v_lshlrev_b64 v[22:23], v17, 1
	v_lshrrev_b32_e32 v17, 23, v24
	v_and_b32_e32 v13, 0, v13
	v_and_b32_e32 v12, v50, v12
	v_add3_u32 v18, v16, v18, v17
	v_bfe_u32 v16, v24, 21, 1
	v_add_u32_e32 v16, -1, v16
	v_cmp_eq_u64_e32 vcc, v[12:13], v[22:23]
	v_cndmask_b32_e32 v12, 0, v16, vcc
	v_add_u32_e32 v12, v12, v24
	v_and_b32_e32 v12, 0x1fffff, v12
	v_add_co_u32_e32 v12, vcc, v12, v24
	v_add_u32_e32 v17, 14, v18
	v_addc_co_u32_e32 v13, vcc, 0, v25, vcc
	v_cmp_ne_u32_e32 vcc, 0, v17
                                        ; implicit-def: $vgpr16
	s_and_saveexec_b64 s[28:29], vcc
	s_xor_b64 s[28:29], exec, s[28:29]
; %bb.544:                              ;   in Loop: Header=BB2_348 Depth=4
	v_add_u32_e32 v16, 15, v18
	v_cmp_lt_u64_e32 vcc, s[56:57], v[12:13]
	v_cndmask_b32_e32 v16, v17, v16, vcc
	v_cndmask_b32_e64 v17, 0, 1, vcc
	v_lshrrev_b64 v[12:13], v17, v[12:13]
; %bb.545:                              ;   in Loop: Header=BB2_348 Depth=4
	s_andn2_saveexec_b64 s[28:29], s[28:29]
; %bb.546:                              ;   in Loop: Header=BB2_348 Depth=4
	v_bfe_u32 v16, v12, 23, 1
; %bb.547:                              ;   in Loop: Header=BB2_348 Depth=4
	s_or_b64 exec, exec, s[28:29]
	v_lshrrev_b64 v[12:13], 21, v[12:13]
	v_cmp_gt_i32_e32 vcc, 32, v16
	v_cndmask_b32_e32 v13, 0, v13, vcc
	v_cndmask_b32_e32 v12, 3, v12, vcc
	v_cmp_ne_u32_e32 vcc, 0, v16
	v_cmp_ne_u64_e64 s[28:29], 0, v[12:13]
	s_or_b64 s[28:29], vcc, s[28:29]
                                        ; implicit-def: $vgpr13
	s_and_saveexec_b64 vcc, s[28:29]
	s_xor_b64 s[28:29], exec, vcc
; %bb.548:                              ;   in Loop: Header=BB2_348 Depth=4
	v_min_i32_e32 v13, 31, v16
	v_lshl_or_b32 v13, v13, 2, v14
	v_and_or_b32 v13, v12, 3, v13
                                        ; implicit-def: $vgpr14
; %bb.549:                              ;   in Loop: Header=BB2_348 Depth=4
	s_andn2_saveexec_b64 s[28:29], s[28:29]
; %bb.550:                              ;   in Loop: Header=BB2_348 Depth=4
	v_mov_b32_e32 v13, v14
; %bb.551:                              ;   in Loop: Header=BB2_348 Depth=4
	s_or_b64 exec, exec, s[28:29]
.LBB2_552:                              ;   in Loop: Header=BB2_348 Depth=4
	s_or_b64 exec, exec, s[72:73]
.LBB2_553:                              ;   in Loop: Header=BB2_348 Depth=4
	s_andn2_saveexec_b64 s[28:29], s[70:71]
	s_or_b64 exec, exec, s[28:29]
                                        ; implicit-def: $vgpr16
.LBB2_554:                              ;   in Loop: Header=BB2_348 Depth=4
	s_andn2_saveexec_b64 s[28:29], s[30:31]
	s_cbranch_execz .LBB2_347
; %bb.555:                              ;   in Loop: Header=BB2_348 Depth=4
	v_or_b32_sdwa v12, v16, s39 dst_sel:DWORD dst_unused:UNUSED_PAD src0_sel:BYTE_3 src1_sel:DWORD
	v_cmp_eq_u64_e32 vcc, 0, v[50:51]
	v_cndmask_b32_e32 v13, v12, v13, vcc
	s_branch .LBB2_347
.LBB2_556:                              ;   in Loop: Header=BB2_274 Depth=3
	s_and_saveexec_b64 s[28:29], s[10:11]
	s_cbranch_execnz .LBB2_2937
.LBB2_557:                              ;   in Loop: Header=BB2_274 Depth=3
	s_or_b64 exec, exec, s[28:29]
                                        ; implicit-def: $vgpr0
	s_and_saveexec_b64 s[28:29], s[24:25]
	s_xor_b64 s[30:31], exec, s[28:29]
	s_cbranch_execz .LBB2_2955
.LBB2_558:                              ;   in Loop: Header=BB2_274 Depth=3
	v_and_b32_e32 v1, 16, v60
	v_cmp_lt_i32_e32 vcc, 0, v56
	v_cmp_ne_u32_e64 s[28:29], 0, v1
	v_and_b32_e32 v0, 16, v60
	s_and_b64 vcc, s[28:29], vcc
	s_and_saveexec_b64 s[28:29], vcc
	s_cbranch_execz .LBB2_560
; %bb.559:                              ;   in Loop: Header=BB2_274 Depth=3
	v_mov_b32_e32 v0, 1
	s_waitcnt vmcnt(0) lgkmcnt(0)
	buffer_wbinvl1_vol
.LBB2_560:                              ;   in Loop: Header=BB2_274 Depth=3
	s_or_b64 exec, exec, s[28:29]
	s_andn2_saveexec_b64 s[28:29], s[30:31]
	s_cbranch_execz .LBB2_2974
	s_branch .LBB2_2956
.LBB2_561:                              ;   in Loop: Header=BB2_274 Depth=3
	v_ashrrev_i32_e32 v0, 31, v56
	v_lshrrev_b32_e32 v0, 21, v0
	v_add_u32_e32 v0, v56, v0
	v_ashrrev_i32_e32 v1, 11, v0
	v_accvgpr_read_b32 v0, a31
	v_sub_u32_e32 v40, v1, v0
	v_cmp_lt_i32_e32 vcc, 0, v40
	s_and_saveexec_b64 s[34:35], vcc
	s_cbranch_execz .LBB2_2159
; %bb.562:                              ;   in Loop: Header=BB2_274 Depth=3
	v_accvgpr_write_b32 a60, v1
	s_trap 2
	ds_read_b128 v[4:7], v0
	ds_read_b64 v[0:1], v0
	v_accvgpr_read_b32 v8, a44
	v_accvgpr_read_b32 v3, a45
	v_accvgpr_write_b32 a59, v47
	s_waitcnt lgkmcnt(0)
	v_add_co_u32_e32 v4, vcc, v4, v8
	v_addc_co_u32_e32 v5, vcc, v5, v3, vcc
	v_add_co_u32_e32 v42, vcc, v6, v8
	v_addc_co_u32_e32 v43, vcc, v7, v3, vcc
	v_add_co_u32_e32 v58, vcc, v0, v8
	s_bitcmp1_b32 s76, 0
	v_accvgpr_write_b32 a57, v56
	v_accvgpr_write_b32 a58, v46
	;; [unrolled: 1-line block ×3, first 2 shown]
	v_addc_co_u32_e32 v59, vcc, v1, v3, vcc
	s_mov_b64 s[64:65], 0
	s_cselect_b64 s[66:67], -1, 0
	s_branch .LBB2_564
.LBB2_563:                              ;   in Loop: Header=BB2_564 Depth=4
	s_or_b64 exec, exec, s[28:29]
	v_lshlrev_b32_e32 v9, 16, v53
	v_lshlrev_b32_e32 v10, 8, v52
	v_perm_b32 v9, v20, v9, s81
	v_perm_b32 v10, v10, v37, s9
	v_or_b32_e32 v37, v9, v10
	v_and_b32_e32 v9, 0xff, v55
	v_lshlrev_b32_e32 v11, 8, v44
	v_lshlrev_b32_e32 v10, 24, v36
	;; [unrolled: 1-line block ×3, first 2 shown]
	v_perm_b32 v1, v11, v1, s9
	v_or3_b32 v36, v10, v9, v1
	v_and_b32_e32 v1, 0xff, v38
	v_lshlrev_b32_e32 v10, 8, v45
	v_lshlrev_b32_e32 v9, 24, v39
	;; [unrolled: 1-line block ×3, first 2 shown]
	v_perm_b32 v10, v10, v21, s9
	v_or3_b32 v38, v9, v1, v10
	v_lshlrev_b32_e32 v1, 8, v54
	v_lshlrev_b32_e32 v3, 16, v3
	v_perm_b32 v1, v1, v6, s9
	v_perm_b32 v3, v18, v3, s81
	v_or_b32_e32 v39, v3, v1
	v_lshlrev_b32_e32 v1, 16, v17
	v_lshlrev_b32_e32 v3, 8, v16
	v_perm_b32 v1, v26, v1, s81
	v_perm_b32 v3, v3, v31, s9
	v_or_b32_e32 v11, v1, v3
	v_and_b32_e32 v1, 0xff, v23
	v_lshlrev_b32_e32 v6, 8, v22
	v_lshlrev_b32_e32 v3, 24, v57
	v_lshlrev_b32_e32 v1, 16, v1
	v_perm_b32 v6, v6, v19, s9
	v_or3_b32 v10, v3, v1, v6
	v_and_b32_e32 v1, 0xff, v30
	v_lshlrev_b32_e32 v3, 8, v7
	v_lshlrev_b32_e32 v0, 24, v0
	;; [unrolled: 1-line block ×3, first 2 shown]
	v_perm_b32 v3, v3, v27, s9
	v_or3_b32 v12, v0, v1, v3
	v_lshlrev_b32_e32 v0, 8, v13
	v_lshlrev_b32_e32 v1, 16, v14
	v_perm_b32 v0, v0, v56, s9
	v_perm_b32 v1, v8, v1, s81
	v_or_b32_e32 v13, v1, v0
	v_accvgpr_read_b32 v0, a38
	v_add_co_u32_e32 v4, vcc, v4, v0
	v_accvgpr_read_b32 v1, a39
	v_addc_co_u32_e32 v5, vcc, v5, v1, vcc
	v_add_co_u32_e32 v42, vcc, v42, v0
	v_accvgpr_read_b32 v44, a22
	v_addc_co_u32_e32 v43, vcc, v43, v1, vcc
	v_sub_u32_e32 v40, v40, v44
	v_cmp_gt_i32_e32 vcc, 1, v40
	global_store_dwordx4 v[58:59], v[36:39], off glc slc
	global_store_dwordx4 v[58:59], v[10:13], off offset:1024 glc slc
	s_or_b64 s[64:65], vcc, s[64:65]
	v_add_co_u32_e32 v58, vcc, v58, v0
	v_addc_co_u32_e32 v59, vcc, v59, v1, vcc
	s_andn2_b64 exec, exec, s[64:65]
	s_cbranch_execz .LBB2_2158
.LBB2_564:                              ;   Parent Loop BB2_47 Depth=1
                                        ;     Parent Loop BB2_271 Depth=2
                                        ;       Parent Loop BB2_274 Depth=3
                                        ; =>      This Inner Loop Header: Depth=4
	global_load_dwordx4 v[20:23], v[4:5], off glc slc
	global_load_dwordx4 v[26:29], v[4:5], off offset:1024 glc slc
	global_load_dwordx4 v[16:19], v[42:43], off glc slc
	global_load_dwordx4 v[8:11], v[42:43], off offset:1024 glc slc
	s_and_b64 vcc, exec, s[66:67]
	s_waitcnt vmcnt(0)
	v_cmp_ne_u16_sdwa s[28:29], v20, v51 src0_sel:BYTE_0 src1_sel:DWORD
	s_cbranch_vccz .LBB2_582
; %bb.565:                              ;   in Loop: Header=BB2_564 Depth=4
	v_mov_b32_e32 v1, 0
	v_mov_b32_e32 v0, 0
	s_and_saveexec_b64 s[30:31], s[28:29]
	s_cbranch_execz .LBB2_573
; %bb.566:                              ;   in Loop: Header=BB2_564 Depth=4
	v_cmp_ne_u16_sdwa vcc, sext(v20), s94 src0_sel:BYTE_0 src1_sel:DWORD
	v_bfrev_b32_e32 v0, 1
	s_and_saveexec_b64 s[68:69], vcc
	s_cbranch_execz .LBB2_572
; %bb.567:                              ;   in Loop: Header=BB2_564 Depth=4
	v_and_b32_e32 v0, 0x7c, v20
	v_and_b32_e32 v3, 3, v20
	v_cmp_ne_u32_e32 vcc, s95, v0
                                        ; implicit-def: $vgpr0
	s_and_saveexec_b64 s[70:71], vcc
	s_xor_b64 s[70:71], exec, s[70:71]
	s_cbranch_execz .LBB2_569
; %bb.568:                              ;   in Loop: Header=BB2_564 Depth=4
	v_ffbh_u32_e32 v6, v3
	v_min_u32_e32 v12, 32, v6
	v_subrev_u32_e32 v6, 29, v12
	v_bfe_u32 v0, v20, 2, 5
	v_lshlrev_b64 v[6:7], v6, v[20:21]
	v_sub_u32_e32 v7, 30, v12
	v_cmp_eq_u32_e32 vcc, 0, v0
	v_and_b32_e32 v6, 3, v6
	v_cndmask_b32_e32 v0, v0, v7, vcc
	v_bfrev_b32_e32 v7, 28
	v_cndmask_b32_e32 v3, v3, v6, vcc
	v_lshlrev_b32_e32 v6, 24, v20
	v_lshl_add_u32 v0, v0, 23, v7
	v_and_or_b32 v0, v6, s96, v0
	v_lshl_or_b32 v0, v3, 21, v0
                                        ; implicit-def: $vgpr3
.LBB2_569:                              ;   in Loop: Header=BB2_564 Depth=4
	s_andn2_saveexec_b64 s[70:71], s[70:71]
; %bb.570:                              ;   in Loop: Header=BB2_564 Depth=4
	v_mov_b32_e32 v0, -1
	v_cmp_gt_i16_sdwa vcc, sext(v20), v0 src0_sel:BYTE_0 src1_sel:DWORD
	v_mov_b32_e32 v0, 0xc7600000
	v_mov_b32_e32 v6, 0x47600000
	v_cndmask_b32_e32 v0, v0, v6, vcc
	v_cmp_eq_u32_e32 vcc, 0, v3
	v_mov_b32_e32 v3, 0x7f800001
	v_cndmask_b32_e32 v0, v3, v0, vcc
; %bb.571:                              ;   in Loop: Header=BB2_564 Depth=4
	s_or_b64 exec, exec, s[70:71]
.LBB2_572:                              ;   in Loop: Header=BB2_564 Depth=4
	s_or_b64 exec, exec, s[68:69]
.LBB2_573:                              ;   in Loop: Header=BB2_564 Depth=4
	s_or_b64 exec, exec, s[30:31]
	v_cmp_ne_u16_sdwa vcc, sext(v16), v51 src0_sel:BYTE_0 src1_sel:DWORD
	s_and_saveexec_b64 s[30:31], vcc
	s_cbranch_execz .LBB2_581
; %bb.574:                              ;   in Loop: Header=BB2_564 Depth=4
	v_cmp_ne_u16_sdwa vcc, sext(v16), s94 src0_sel:BYTE_0 src1_sel:DWORD
	v_bfrev_b32_e32 v1, 1
	s_and_saveexec_b64 s[68:69], vcc
	s_cbranch_execz .LBB2_580
; %bb.575:                              ;   in Loop: Header=BB2_564 Depth=4
	v_and_b32_e32 v1, 0x7c, v16
	v_and_b32_e32 v3, 3, v16
	v_cmp_ne_u32_e32 vcc, s95, v1
                                        ; implicit-def: $vgpr1
	s_and_saveexec_b64 s[70:71], vcc
	s_xor_b64 s[70:71], exec, s[70:71]
	s_cbranch_execz .LBB2_577
; %bb.576:                              ;   in Loop: Header=BB2_564 Depth=4
	v_ffbh_u32_e32 v6, v3
	v_min_u32_e32 v12, 32, v6
	v_subrev_u32_e32 v6, 29, v12
	v_bfe_u32 v1, v16, 2, 5
	v_lshlrev_b64 v[6:7], v6, v[16:17]
	v_sub_u32_e32 v7, 30, v12
	v_cmp_eq_u32_e32 vcc, 0, v1
	v_and_b32_e32 v6, 3, v6
	v_cndmask_b32_e32 v1, v1, v7, vcc
	v_bfrev_b32_e32 v7, 28
	v_cndmask_b32_e32 v3, v3, v6, vcc
	v_lshlrev_b32_e32 v6, 24, v16
	v_lshl_add_u32 v1, v1, 23, v7
	v_and_or_b32 v1, v6, s96, v1
	v_lshl_or_b32 v1, v3, 21, v1
                                        ; implicit-def: $vgpr3
.LBB2_577:                              ;   in Loop: Header=BB2_564 Depth=4
	s_andn2_saveexec_b64 s[70:71], s[70:71]
; %bb.578:                              ;   in Loop: Header=BB2_564 Depth=4
	v_mov_b32_e32 v1, -1
	v_cmp_gt_i16_sdwa vcc, sext(v16), v1 src0_sel:BYTE_0 src1_sel:DWORD
	v_mov_b32_e32 v1, 0xc7600000
	v_mov_b32_e32 v6, 0x47600000
	v_cndmask_b32_e32 v1, v1, v6, vcc
	v_cmp_eq_u32_e32 vcc, 0, v3
	v_mov_b32_e32 v3, 0x7f800001
	v_cndmask_b32_e32 v1, v3, v1, vcc
; %bb.579:                              ;   in Loop: Header=BB2_564 Depth=4
	s_or_b64 exec, exec, s[70:71]
.LBB2_580:                              ;   in Loop: Header=BB2_564 Depth=4
	s_or_b64 exec, exec, s[68:69]
.LBB2_581:                              ;   in Loop: Header=BB2_564 Depth=4
	s_or_b64 exec, exec, s[30:31]
	v_max_f32_e32 v1, v1, v1
	v_max_f32_e32 v0, v0, v0
	;; [unrolled: 1-line block ×3, first 2 shown]
	s_branch .LBB2_600
.LBB2_582:                              ;   in Loop: Header=BB2_564 Depth=4
                                        ; implicit-def: $vgpr3
	s_cbranch_execz .LBB2_600
; %bb.583:                              ;   in Loop: Header=BB2_564 Depth=4
	v_mov_b32_e32 v1, 0
	v_mov_b32_e32 v0, 0
	s_and_saveexec_b64 s[30:31], s[28:29]
	s_cbranch_execz .LBB2_591
; %bb.584:                              ;   in Loop: Header=BB2_564 Depth=4
	v_cmp_ne_u16_sdwa vcc, sext(v20), s94 src0_sel:BYTE_0 src1_sel:DWORD
	v_bfrev_b32_e32 v0, 1
	s_and_saveexec_b64 s[28:29], vcc
	s_cbranch_execz .LBB2_590
; %bb.585:                              ;   in Loop: Header=BB2_564 Depth=4
	v_and_b32_e32 v0, 0x7c, v20
	v_and_b32_e32 v3, 3, v20
	v_cmp_ne_u32_e32 vcc, s95, v0
                                        ; implicit-def: $vgpr0
	s_and_saveexec_b64 s[68:69], vcc
	s_xor_b64 s[68:69], exec, s[68:69]
	s_cbranch_execz .LBB2_587
; %bb.586:                              ;   in Loop: Header=BB2_564 Depth=4
	v_ffbh_u32_e32 v6, v3
	v_min_u32_e32 v12, 32, v6
	v_subrev_u32_e32 v6, 29, v12
	v_bfe_u32 v0, v20, 2, 5
	v_lshlrev_b64 v[6:7], v6, v[20:21]
	v_sub_u32_e32 v7, 30, v12
	v_cmp_eq_u32_e32 vcc, 0, v0
	v_and_b32_e32 v6, 3, v6
	v_cndmask_b32_e32 v0, v0, v7, vcc
	v_bfrev_b32_e32 v7, 28
	v_cndmask_b32_e32 v3, v3, v6, vcc
	v_lshlrev_b32_e32 v6, 24, v20
	v_lshl_add_u32 v0, v0, 23, v7
	v_and_or_b32 v0, v6, s96, v0
	v_lshl_or_b32 v0, v3, 21, v0
                                        ; implicit-def: $vgpr3
.LBB2_587:                              ;   in Loop: Header=BB2_564 Depth=4
	s_andn2_saveexec_b64 s[68:69], s[68:69]
; %bb.588:                              ;   in Loop: Header=BB2_564 Depth=4
	v_mov_b32_e32 v0, -1
	v_cmp_gt_i16_sdwa vcc, sext(v20), v0 src0_sel:BYTE_0 src1_sel:DWORD
	v_mov_b32_e32 v0, 0xc7600000
	v_mov_b32_e32 v6, 0x47600000
	v_cndmask_b32_e32 v0, v0, v6, vcc
	v_cmp_eq_u32_e32 vcc, 0, v3
	v_mov_b32_e32 v3, 0x7f800001
	v_cndmask_b32_e32 v0, v3, v0, vcc
; %bb.589:                              ;   in Loop: Header=BB2_564 Depth=4
	s_or_b64 exec, exec, s[68:69]
.LBB2_590:                              ;   in Loop: Header=BB2_564 Depth=4
	s_or_b64 exec, exec, s[28:29]
.LBB2_591:                              ;   in Loop: Header=BB2_564 Depth=4
	s_or_b64 exec, exec, s[30:31]
	v_cmp_ne_u16_sdwa vcc, sext(v16), v51 src0_sel:BYTE_0 src1_sel:DWORD
	s_and_saveexec_b64 s[28:29], vcc
	s_cbranch_execz .LBB2_599
; %bb.592:                              ;   in Loop: Header=BB2_564 Depth=4
	v_cmp_ne_u16_sdwa vcc, sext(v16), s94 src0_sel:BYTE_0 src1_sel:DWORD
	v_bfrev_b32_e32 v1, 1
	s_and_saveexec_b64 s[30:31], vcc
	s_cbranch_execz .LBB2_598
; %bb.593:                              ;   in Loop: Header=BB2_564 Depth=4
	v_and_b32_e32 v1, 0x7c, v16
	v_and_b32_e32 v3, 3, v16
	v_cmp_ne_u32_e32 vcc, s95, v1
                                        ; implicit-def: $vgpr1
	s_and_saveexec_b64 s[68:69], vcc
	s_xor_b64 s[68:69], exec, s[68:69]
	s_cbranch_execz .LBB2_595
; %bb.594:                              ;   in Loop: Header=BB2_564 Depth=4
	v_ffbh_u32_e32 v6, v3
	v_min_u32_e32 v12, 32, v6
	v_subrev_u32_e32 v6, 29, v12
	v_bfe_u32 v1, v16, 2, 5
	v_lshlrev_b64 v[6:7], v6, v[16:17]
	v_sub_u32_e32 v7, 30, v12
	v_cmp_eq_u32_e32 vcc, 0, v1
	v_and_b32_e32 v6, 3, v6
	v_cndmask_b32_e32 v1, v1, v7, vcc
	v_bfrev_b32_e32 v7, 28
	v_cndmask_b32_e32 v3, v3, v6, vcc
	v_lshlrev_b32_e32 v6, 24, v16
	v_lshl_add_u32 v1, v1, 23, v7
	v_and_or_b32 v1, v6, s96, v1
	v_lshl_or_b32 v1, v3, 21, v1
                                        ; implicit-def: $vgpr3
.LBB2_595:                              ;   in Loop: Header=BB2_564 Depth=4
	s_andn2_saveexec_b64 s[68:69], s[68:69]
; %bb.596:                              ;   in Loop: Header=BB2_564 Depth=4
	v_mov_b32_e32 v1, -1
	v_cmp_gt_i16_sdwa vcc, sext(v16), v1 src0_sel:BYTE_0 src1_sel:DWORD
	v_mov_b32_e32 v1, 0xc7600000
	v_mov_b32_e32 v6, 0x47600000
	v_cndmask_b32_e32 v1, v1, v6, vcc
	v_cmp_eq_u32_e32 vcc, 0, v3
	v_mov_b32_e32 v3, 0x7f800001
	v_cndmask_b32_e32 v1, v3, v1, vcc
; %bb.597:                              ;   in Loop: Header=BB2_564 Depth=4
	s_or_b64 exec, exec, s[68:69]
.LBB2_598:                              ;   in Loop: Header=BB2_564 Depth=4
	s_or_b64 exec, exec, s[30:31]
.LBB2_599:                              ;   in Loop: Header=BB2_564 Depth=4
	s_or_b64 exec, exec, s[28:29]
	v_max_f32_e32 v1, v1, v1
	v_max_f32_e32 v0, v0, v0
	v_min_f32_e32 v3, v0, v1
.LBB2_600:                              ;   in Loop: Header=BB2_564 Depth=4
	v_and_b32_sdwa v0, v3, s97 dst_sel:DWORD dst_unused:UNUSED_PAD src0_sel:BYTE_3 src1_sel:DWORD
	v_and_b32_e32 v6, 0x7f800000, v3
	v_mov_b32_e32 v7, v51
	v_and_b32_e32 v50, 0x7fffff, v3
	v_or_b32_e32 v1, 0x7b, v0
	v_cmp_ne_u64_e32 vcc, s[52:53], v[6:7]
	s_and_saveexec_b64 s[28:29], vcc
	s_xor_b64 s[30:31], exec, s[28:29]
	s_cbranch_execz .LBB2_610
; %bb.601:                              ;   in Loop: Header=BB2_564 Depth=4
	v_and_b32_e32 v6, 0x7fffffff, v3
	v_mov_b32_e32 v7, v51
	v_cmp_gt_u64_e32 vcc, s[54:55], v[6:7]
	s_and_saveexec_b64 s[68:69], vcc
	s_cbranch_execz .LBB2_609
; %bb.602:                              ;   in Loop: Header=BB2_564 Depth=4
	v_cmp_ne_u32_e32 vcc, 0, v3
	v_mov_b32_e32 v1, 0
	s_and_saveexec_b64 s[70:71], vcc
	s_cbranch_execz .LBB2_608
; %bb.603:                              ;   in Loop: Header=BB2_564 Depth=4
	v_bfe_u32 v1, v3, 23, 8
	v_sub_u32_e32 v6, 0x71, v1
	v_cmp_gt_u32_e32 vcc, s38, v1
	v_add_u32_e32 v3, 0xffffff81, v1
	v_cndmask_b32_e32 v6, 0, v6, vcc
	v_cmp_eq_u32_e32 vcc, 0, v1
	v_mov_b32_e32 v1, 0xffffff82
	v_cndmask_b32_e32 v1, v3, v1, vcc
	v_mov_b32_e32 v3, 0x70
	v_cndmask_b32_e32 v3, v6, v3, vcc
	v_or_b32_e32 v7, 0x800000, v50
	v_add_u32_e32 v6, 21, v3
	v_cndmask_b32_e32 v50, v7, v50, vcc
	v_lshlrev_b64 v[6:7], v6, -1
	v_not_b32_e32 v6, v6
	v_and_b32_e32 v12, v50, v6
	v_add_u32_e32 v6, 20, v3
	v_lshrrev_b64 v[24:25], v3, v[50:51]
	v_not_b32_e32 v7, v7
	v_lshlrev_b64 v[14:15], v6, 1
	v_lshrrev_b32_e32 v6, 23, v24
	v_and_b32_e32 v13, 0, v7
	v_add3_u32 v6, v3, v1, v6
	v_bfe_u32 v1, v24, 21, 1
	v_add_u32_e32 v1, -1, v1
	v_cmp_eq_u64_e32 vcc, v[12:13], v[14:15]
	v_cndmask_b32_e32 v1, 0, v1, vcc
	v_add_u32_e32 v1, v1, v24
	v_and_b32_e32 v1, 0x1fffff, v1
	v_add_co_u32_e32 v12, vcc, v1, v24
	v_add_u32_e32 v3, 14, v6
	v_addc_co_u32_e32 v13, vcc, 0, v25, vcc
	v_cmp_ne_u32_e32 vcc, 0, v3
                                        ; implicit-def: $vgpr1
	s_and_saveexec_b64 s[28:29], vcc
	s_xor_b64 s[28:29], exec, s[28:29]
; %bb.604:                              ;   in Loop: Header=BB2_564 Depth=4
	v_add_u32_e32 v1, 15, v6
	v_cmp_lt_u64_e32 vcc, s[56:57], v[12:13]
	v_cndmask_b32_e32 v1, v3, v1, vcc
	v_cndmask_b32_e64 v3, 0, 1, vcc
	v_lshrrev_b64 v[12:13], v3, v[12:13]
; %bb.605:                              ;   in Loop: Header=BB2_564 Depth=4
	s_andn2_saveexec_b64 s[28:29], s[28:29]
; %bb.606:                              ;   in Loop: Header=BB2_564 Depth=4
	v_bfe_u32 v1, v12, 23, 1
; %bb.607:                              ;   in Loop: Header=BB2_564 Depth=4
	s_or_b64 exec, exec, s[28:29]
	v_lshrrev_b64 v[6:7], 21, v[12:13]
	v_cmp_gt_i32_e32 vcc, 32, v1
	v_cndmask_b32_e32 v7, 0, v7, vcc
	v_cndmask_b32_e32 v6, 3, v6, vcc
	v_cmp_eq_u32_e32 vcc, 0, v1
	v_min_i32_e32 v1, 31, v1
	v_cmp_eq_u64_e64 s[28:29], 0, v[6:7]
	v_lshlrev_b32_e32 v1, 2, v1
	v_and_or_b32 v1, v6, 3, v1
	s_and_b64 s[28:29], vcc, s[28:29]
	v_cndmask_b32_e64 v1, v1, 0, s[28:29]
	v_or_b32_e32 v1, v1, v0
.LBB2_608:                              ;   in Loop: Header=BB2_564 Depth=4
	s_or_b64 exec, exec, s[70:71]
.LBB2_609:                              ;   in Loop: Header=BB2_564 Depth=4
	s_or_b64 exec, exec, s[68:69]
                                        ; implicit-def: $vgpr3
.LBB2_610:                              ;   in Loop: Header=BB2_564 Depth=4
	s_andn2_saveexec_b64 s[28:29], s[30:31]
; %bb.611:                              ;   in Loop: Header=BB2_564 Depth=4
	v_or_b32_sdwa v0, v3, s39 dst_sel:DWORD dst_unused:UNUSED_PAD src0_sel:BYTE_3 src1_sel:DWORD
	v_cmp_eq_u64_e32 vcc, 0, v[50:51]
	v_cndmask_b32_e32 v1, v0, v1, vcc
; %bb.612:                              ;   in Loop: Header=BB2_564 Depth=4
	s_or_b64 exec, exec, s[28:29]
	v_lshrrev_b16_e32 v50, 8, v20
	v_lshrrev_b16_e32 v12, 8, v16
	v_cmp_ne_u16_e64 s[28:29], 0, v50
	s_and_b64 vcc, exec, s[66:67]
	s_cbranch_vccz .LBB2_630
; %bb.613:                              ;   in Loop: Header=BB2_564 Depth=4
	v_mov_b32_e32 v3, 0
	v_mov_b32_e32 v0, 0
	s_and_saveexec_b64 s[30:31], s[28:29]
	s_cbranch_execz .LBB2_621
; %bb.614:                              ;   in Loop: Header=BB2_564 Depth=4
	v_cmp_ne_u16_e32 vcc, s97, v50
	v_bfrev_b32_e32 v0, 1
	s_and_saveexec_b64 s[68:69], vcc
	s_cbranch_execz .LBB2_620
; %bb.615:                              ;   in Loop: Header=BB2_564 Depth=4
	v_and_b32_e32 v0, 0x7c, v50
	v_and_b32_e32 v6, 3, v50
	v_cmp_ne_u32_e32 vcc, s95, v0
                                        ; implicit-def: $vgpr0
	s_and_saveexec_b64 s[70:71], vcc
	s_xor_b64 s[70:71], exec, s[70:71]
	s_cbranch_execz .LBB2_617
; %bb.616:                              ;   in Loop: Header=BB2_564 Depth=4
	v_ffbh_u32_e32 v7, v6
	v_min_u32_e32 v7, 32, v7
	v_subrev_u32_e32 v13, 29, v7
	v_bfe_u32 v0, v50, 2, 5
	v_lshlrev_b64 v[14:15], v13, v[50:51]
	v_sub_u32_e32 v7, 30, v7
	v_and_b32_e32 v13, 3, v14
	v_cmp_eq_u32_e32 vcc, 0, v0
	v_cndmask_b32_e32 v0, v0, v7, vcc
	v_cndmask_b32_e32 v6, v6, v13, vcc
	v_bfrev_b32_e32 v13, 28
	v_lshlrev_b32_e32 v7, 16, v20
	v_lshl_add_u32 v0, v0, 23, v13
	v_and_or_b32 v0, v7, s96, v0
	v_lshl_or_b32 v0, v6, 21, v0
                                        ; implicit-def: $vgpr6
.LBB2_617:                              ;   in Loop: Header=BB2_564 Depth=4
	s_andn2_saveexec_b64 s[70:71], s[70:71]
; %bb.618:                              ;   in Loop: Header=BB2_564 Depth=4
	v_cmp_lt_i16_e32 vcc, -1, v20
	v_mov_b32_e32 v0, 0xc7600000
	v_mov_b32_e32 v7, 0x47600000
	v_cndmask_b32_e32 v0, v0, v7, vcc
	v_cmp_eq_u32_e32 vcc, 0, v6
	v_mov_b32_e32 v6, 0x7f800001
	v_cndmask_b32_e32 v0, v6, v0, vcc
; %bb.619:                              ;   in Loop: Header=BB2_564 Depth=4
	s_or_b64 exec, exec, s[70:71]
.LBB2_620:                              ;   in Loop: Header=BB2_564 Depth=4
	s_or_b64 exec, exec, s[68:69]
.LBB2_621:                              ;   in Loop: Header=BB2_564 Depth=4
	s_or_b64 exec, exec, s[30:31]
	v_cmp_ne_u16_e32 vcc, 0, v12
	s_and_saveexec_b64 s[30:31], vcc
	s_cbranch_execz .LBB2_629
; %bb.622:                              ;   in Loop: Header=BB2_564 Depth=4
	v_cmp_ne_u16_e32 vcc, s97, v12
	v_bfrev_b32_e32 v3, 1
	s_and_saveexec_b64 s[68:69], vcc
	s_cbranch_execz .LBB2_628
; %bb.623:                              ;   in Loop: Header=BB2_564 Depth=4
	v_and_b32_e32 v3, 0x7c, v12
	v_and_b32_e32 v6, 3, v12
	v_cmp_ne_u32_e32 vcc, s95, v3
                                        ; implicit-def: $vgpr3
	s_and_saveexec_b64 s[70:71], vcc
	s_xor_b64 s[70:71], exec, s[70:71]
	s_cbranch_execz .LBB2_625
; %bb.624:                              ;   in Loop: Header=BB2_564 Depth=4
	v_ffbh_u32_e32 v7, v6
	v_min_u32_e32 v7, 32, v7
	v_mov_b32_e32 v13, v51
	v_subrev_u32_e32 v14, 29, v7
	v_bfe_u32 v3, v12, 2, 5
	v_lshlrev_b64 v[14:15], v14, v[12:13]
	v_sub_u32_e32 v7, 30, v7
	v_and_b32_e32 v13, 3, v14
	v_cmp_eq_u32_e32 vcc, 0, v3
	v_cndmask_b32_e32 v3, v3, v7, vcc
	v_cndmask_b32_e32 v6, v6, v13, vcc
	v_bfrev_b32_e32 v13, 28
	v_lshlrev_b32_e32 v7, 16, v16
	v_lshl_add_u32 v3, v3, 23, v13
	v_and_or_b32 v3, v7, s96, v3
	v_lshl_or_b32 v3, v6, 21, v3
                                        ; implicit-def: $vgpr6
.LBB2_625:                              ;   in Loop: Header=BB2_564 Depth=4
	s_andn2_saveexec_b64 s[70:71], s[70:71]
; %bb.626:                              ;   in Loop: Header=BB2_564 Depth=4
	v_cmp_lt_i16_e32 vcc, -1, v16
	v_mov_b32_e32 v3, 0xc7600000
	v_mov_b32_e32 v7, 0x47600000
	v_cndmask_b32_e32 v3, v3, v7, vcc
	v_cmp_eq_u32_e32 vcc, 0, v6
	v_mov_b32_e32 v6, 0x7f800001
	v_cndmask_b32_e32 v3, v6, v3, vcc
; %bb.627:                              ;   in Loop: Header=BB2_564 Depth=4
	s_or_b64 exec, exec, s[70:71]
.LBB2_628:                              ;   in Loop: Header=BB2_564 Depth=4
	s_or_b64 exec, exec, s[68:69]
.LBB2_629:                              ;   in Loop: Header=BB2_564 Depth=4
	s_or_b64 exec, exec, s[30:31]
	v_max_f32_e32 v3, v3, v3
	v_max_f32_e32 v0, v0, v0
	;; [unrolled: 1-line block ×3, first 2 shown]
	s_branch .LBB2_648
.LBB2_630:                              ;   in Loop: Header=BB2_564 Depth=4
                                        ; implicit-def: $vgpr3
	s_cbranch_execz .LBB2_648
; %bb.631:                              ;   in Loop: Header=BB2_564 Depth=4
	v_mov_b32_e32 v3, 0
	v_mov_b32_e32 v0, 0
	s_and_saveexec_b64 s[30:31], s[28:29]
	s_cbranch_execz .LBB2_639
; %bb.632:                              ;   in Loop: Header=BB2_564 Depth=4
	v_cmp_ne_u16_e32 vcc, s97, v50
	v_bfrev_b32_e32 v0, 1
	s_and_saveexec_b64 s[28:29], vcc
	s_cbranch_execz .LBB2_638
; %bb.633:                              ;   in Loop: Header=BB2_564 Depth=4
	v_and_b32_e32 v0, 0x7c, v50
	v_and_b32_e32 v6, 3, v50
	v_cmp_ne_u32_e32 vcc, s95, v0
                                        ; implicit-def: $vgpr0
	s_and_saveexec_b64 s[68:69], vcc
	s_xor_b64 s[68:69], exec, s[68:69]
	s_cbranch_execz .LBB2_635
; %bb.634:                              ;   in Loop: Header=BB2_564 Depth=4
	v_ffbh_u32_e32 v7, v6
	v_min_u32_e32 v7, 32, v7
	v_subrev_u32_e32 v13, 29, v7
	v_bfe_u32 v0, v50, 2, 5
	v_lshlrev_b64 v[14:15], v13, v[50:51]
	v_sub_u32_e32 v7, 30, v7
	v_and_b32_e32 v13, 3, v14
	v_cmp_eq_u32_e32 vcc, 0, v0
	v_cndmask_b32_e32 v0, v0, v7, vcc
	v_cndmask_b32_e32 v6, v6, v13, vcc
	v_bfrev_b32_e32 v13, 28
	v_lshlrev_b32_e32 v7, 16, v20
	v_lshl_add_u32 v0, v0, 23, v13
	v_and_or_b32 v0, v7, s96, v0
	v_lshl_or_b32 v0, v6, 21, v0
                                        ; implicit-def: $vgpr6
.LBB2_635:                              ;   in Loop: Header=BB2_564 Depth=4
	s_andn2_saveexec_b64 s[68:69], s[68:69]
; %bb.636:                              ;   in Loop: Header=BB2_564 Depth=4
	v_cmp_lt_i16_e32 vcc, -1, v20
	v_mov_b32_e32 v0, 0xc7600000
	v_mov_b32_e32 v7, 0x47600000
	v_cndmask_b32_e32 v0, v0, v7, vcc
	v_cmp_eq_u32_e32 vcc, 0, v6
	v_mov_b32_e32 v6, 0x7f800001
	v_cndmask_b32_e32 v0, v6, v0, vcc
; %bb.637:                              ;   in Loop: Header=BB2_564 Depth=4
	s_or_b64 exec, exec, s[68:69]
.LBB2_638:                              ;   in Loop: Header=BB2_564 Depth=4
	s_or_b64 exec, exec, s[28:29]
.LBB2_639:                              ;   in Loop: Header=BB2_564 Depth=4
	s_or_b64 exec, exec, s[30:31]
	v_cmp_ne_u16_e32 vcc, 0, v12
	s_and_saveexec_b64 s[28:29], vcc
	s_cbranch_execz .LBB2_647
; %bb.640:                              ;   in Loop: Header=BB2_564 Depth=4
	v_cmp_ne_u16_e32 vcc, s97, v12
	v_bfrev_b32_e32 v3, 1
	s_and_saveexec_b64 s[30:31], vcc
	s_cbranch_execz .LBB2_646
; %bb.641:                              ;   in Loop: Header=BB2_564 Depth=4
	v_and_b32_e32 v3, 0x7c, v12
	v_and_b32_e32 v6, 3, v12
	v_cmp_ne_u32_e32 vcc, s95, v3
                                        ; implicit-def: $vgpr3
	s_and_saveexec_b64 s[68:69], vcc
	s_xor_b64 s[68:69], exec, s[68:69]
	s_cbranch_execz .LBB2_643
; %bb.642:                              ;   in Loop: Header=BB2_564 Depth=4
	v_ffbh_u32_e32 v7, v6
	v_min_u32_e32 v7, 32, v7
	v_mov_b32_e32 v13, v51
	v_subrev_u32_e32 v14, 29, v7
	v_bfe_u32 v3, v12, 2, 5
	v_lshlrev_b64 v[12:13], v14, v[12:13]
	v_sub_u32_e32 v7, 30, v7
	v_and_b32_e32 v12, 3, v12
	v_cmp_eq_u32_e32 vcc, 0, v3
	v_cndmask_b32_e32 v3, v3, v7, vcc
	v_cndmask_b32_e32 v6, v6, v12, vcc
	v_bfrev_b32_e32 v12, 28
	v_lshlrev_b32_e32 v7, 16, v16
	v_lshl_add_u32 v3, v3, 23, v12
	v_and_or_b32 v3, v7, s96, v3
	v_lshl_or_b32 v3, v6, 21, v3
                                        ; implicit-def: $vgpr6
.LBB2_643:                              ;   in Loop: Header=BB2_564 Depth=4
	s_andn2_saveexec_b64 s[68:69], s[68:69]
; %bb.644:                              ;   in Loop: Header=BB2_564 Depth=4
	v_cmp_lt_i16_e32 vcc, -1, v16
	v_mov_b32_e32 v3, 0xc7600000
	v_mov_b32_e32 v7, 0x47600000
	v_cndmask_b32_e32 v3, v3, v7, vcc
	v_cmp_eq_u32_e32 vcc, 0, v6
	v_mov_b32_e32 v6, 0x7f800001
	v_cndmask_b32_e32 v3, v6, v3, vcc
; %bb.645:                              ;   in Loop: Header=BB2_564 Depth=4
	s_or_b64 exec, exec, s[68:69]
.LBB2_646:                              ;   in Loop: Header=BB2_564 Depth=4
	s_or_b64 exec, exec, s[30:31]
.LBB2_647:                              ;   in Loop: Header=BB2_564 Depth=4
	s_or_b64 exec, exec, s[28:29]
	v_max_f32_e32 v3, v3, v3
	v_max_f32_e32 v0, v0, v0
	v_min_f32_e32 v3, v0, v3
.LBB2_648:                              ;   in Loop: Header=BB2_564 Depth=4
	v_and_b32_sdwa v0, v3, s97 dst_sel:DWORD dst_unused:UNUSED_PAD src0_sel:BYTE_3 src1_sel:DWORD
	v_and_b32_e32 v6, 0x7f800000, v3
	v_mov_b32_e32 v7, v51
	v_and_b32_e32 v50, 0x7fffff, v3
	v_or_b32_e32 v44, 0x7b, v0
	v_cmp_ne_u64_e32 vcc, s[52:53], v[6:7]
	s_and_saveexec_b64 s[28:29], vcc
	s_xor_b64 s[30:31], exec, s[28:29]
	s_cbranch_execz .LBB2_658
; %bb.649:                              ;   in Loop: Header=BB2_564 Depth=4
	v_and_b32_e32 v6, 0x7fffffff, v3
	v_mov_b32_e32 v7, v51
	v_cmp_gt_u64_e32 vcc, s[54:55], v[6:7]
	s_and_saveexec_b64 s[68:69], vcc
	s_cbranch_execz .LBB2_657
; %bb.650:                              ;   in Loop: Header=BB2_564 Depth=4
	v_cmp_ne_u32_e32 vcc, 0, v3
	v_mov_b32_e32 v44, 0
	s_and_saveexec_b64 s[70:71], vcc
	s_cbranch_execz .LBB2_656
; %bb.651:                              ;   in Loop: Header=BB2_564 Depth=4
	v_bfe_u32 v3, v3, 23, 8
	v_sub_u32_e32 v7, 0x71, v3
	v_cmp_gt_u32_e32 vcc, s38, v3
	v_add_u32_e32 v6, 0xffffff81, v3
	v_cndmask_b32_e32 v7, 0, v7, vcc
	v_cmp_eq_u32_e32 vcc, 0, v3
	v_mov_b32_e32 v3, 0xffffff82
	v_cndmask_b32_e32 v3, v6, v3, vcc
	v_mov_b32_e32 v6, 0x70
	v_cndmask_b32_e32 v30, v7, v6, vcc
	v_add_u32_e32 v6, 21, v30
	v_or_b32_e32 v12, 0x800000, v50
	v_lshlrev_b64 v[6:7], v6, -1
	v_cndmask_b32_e32 v50, v12, v50, vcc
	v_not_b32_e32 v6, v6
	v_and_b32_e32 v12, v50, v6
	v_add_u32_e32 v6, 20, v30
	v_lshrrev_b64 v[24:25], v30, v[50:51]
	v_not_b32_e32 v7, v7
	v_lshlrev_b64 v[14:15], v6, 1
	v_lshrrev_b32_e32 v6, 23, v24
	v_and_b32_e32 v13, 0, v7
	v_add3_u32 v7, v30, v3, v6
	v_bfe_u32 v3, v24, 21, 1
	v_add_u32_e32 v3, -1, v3
	v_cmp_eq_u64_e32 vcc, v[12:13], v[14:15]
	v_cndmask_b32_e32 v3, 0, v3, vcc
	v_add_u32_e32 v3, v3, v24
	v_and_b32_e32 v3, 0x1fffff, v3
	v_add_co_u32_e32 v12, vcc, v3, v24
	v_add_u32_e32 v6, 14, v7
	v_addc_co_u32_e32 v13, vcc, 0, v25, vcc
	v_cmp_ne_u32_e32 vcc, 0, v6
                                        ; implicit-def: $vgpr3
	s_and_saveexec_b64 s[28:29], vcc
	s_xor_b64 s[28:29], exec, s[28:29]
; %bb.652:                              ;   in Loop: Header=BB2_564 Depth=4
	v_add_u32_e32 v3, 15, v7
	v_cmp_lt_u64_e32 vcc, s[56:57], v[12:13]
	v_cndmask_b32_e32 v3, v6, v3, vcc
	v_cndmask_b32_e64 v6, 0, 1, vcc
	v_lshrrev_b64 v[12:13], v6, v[12:13]
; %bb.653:                              ;   in Loop: Header=BB2_564 Depth=4
	s_andn2_saveexec_b64 s[28:29], s[28:29]
; %bb.654:                              ;   in Loop: Header=BB2_564 Depth=4
	v_bfe_u32 v3, v12, 23, 1
; %bb.655:                              ;   in Loop: Header=BB2_564 Depth=4
	s_or_b64 exec, exec, s[28:29]
	v_lshrrev_b64 v[6:7], 21, v[12:13]
	v_cmp_gt_i32_e32 vcc, 32, v3
	v_cndmask_b32_e32 v7, 0, v7, vcc
	v_cndmask_b32_e32 v6, 3, v6, vcc
	v_cmp_eq_u32_e32 vcc, 0, v3
	v_min_i32_e32 v3, 31, v3
	v_cmp_eq_u64_e64 s[28:29], 0, v[6:7]
	v_lshlrev_b32_e32 v3, 2, v3
	v_and_or_b32 v3, v6, 3, v3
	s_and_b64 s[28:29], vcc, s[28:29]
	v_cndmask_b32_e64 v3, v3, 0, s[28:29]
	v_or_b32_e32 v44, v3, v0
.LBB2_656:                              ;   in Loop: Header=BB2_564 Depth=4
	s_or_b64 exec, exec, s[70:71]
.LBB2_657:                              ;   in Loop: Header=BB2_564 Depth=4
	s_or_b64 exec, exec, s[68:69]
                                        ; implicit-def: $vgpr3
.LBB2_658:                              ;   in Loop: Header=BB2_564 Depth=4
	s_andn2_saveexec_b64 s[28:29], s[30:31]
; %bb.659:                              ;   in Loop: Header=BB2_564 Depth=4
	v_or_b32_sdwa v0, v3, s39 dst_sel:DWORD dst_unused:UNUSED_PAD src0_sel:BYTE_3 src1_sel:DWORD
	v_cmp_eq_u64_e32 vcc, 0, v[50:51]
	v_cndmask_b32_e32 v44, v0, v44, vcc
; %bb.660:                              ;   in Loop: Header=BB2_564 Depth=4
	s_or_b64 exec, exec, s[28:29]
	v_lshrrev_b32_e32 v14, 16, v20
	v_lshrrev_b32_e32 v12, 16, v16
	v_cmp_ne_u16_sdwa s[28:29], v14, v51 src0_sel:BYTE_0 src1_sel:DWORD
	s_and_b64 vcc, exec, s[66:67]
	s_cbranch_vccz .LBB2_678
; %bb.661:                              ;   in Loop: Header=BB2_564 Depth=4
	v_mov_b32_e32 v3, 0
	v_mov_b32_e32 v0, 0
	s_and_saveexec_b64 s[30:31], s[28:29]
	s_cbranch_execz .LBB2_669
; %bb.662:                              ;   in Loop: Header=BB2_564 Depth=4
	v_cmp_ne_u16_sdwa vcc, v14, s97 src0_sel:BYTE_0 src1_sel:DWORD
	v_bfrev_b32_e32 v0, 1
	s_and_saveexec_b64 s[68:69], vcc
	s_cbranch_execz .LBB2_668
; %bb.663:                              ;   in Loop: Header=BB2_564 Depth=4
	v_and_b32_e32 v0, 0x7c0000, v20
	v_bfe_u32 v6, v20, 16, 2
	v_cmp_ne_u32_e32 vcc, s36, v0
                                        ; implicit-def: $vgpr0
	s_and_saveexec_b64 s[70:71], vcc
	s_xor_b64 s[70:71], exec, s[70:71]
	s_cbranch_execz .LBB2_665
; %bb.664:                              ;   in Loop: Header=BB2_564 Depth=4
	v_ffbh_u32_e32 v7, v6
	v_min_u32_e32 v7, 32, v7
	v_subrev_u32_e32 v13, 29, v7
	v_bfe_u32 v0, v20, 18, 5
	v_lshlrev_b64 v[24:25], v13, v[14:15]
	v_sub_u32_e32 v7, 30, v7
	v_and_b32_e32 v13, 3, v24
	v_cmp_eq_u32_e32 vcc, 0, v0
	v_cndmask_b32_e32 v0, v0, v7, vcc
	v_cndmask_b32_e32 v6, v6, v13, vcc
	v_bfrev_b32_e32 v13, 28
	v_lshlrev_b32_e32 v7, 24, v14
	v_lshl_add_u32 v0, v0, 23, v13
	v_and_or_b32 v0, v7, s96, v0
	v_lshl_or_b32 v0, v6, 21, v0
                                        ; implicit-def: $vgpr6
.LBB2_665:                              ;   in Loop: Header=BB2_564 Depth=4
	s_andn2_saveexec_b64 s[70:71], s[70:71]
; %bb.666:                              ;   in Loop: Header=BB2_564 Depth=4
	v_mov_b32_e32 v0, -1
	v_cmp_gt_i16_sdwa vcc, sext(v14), v0 src0_sel:BYTE_0 src1_sel:DWORD
	v_mov_b32_e32 v0, 0xc7600000
	v_mov_b32_e32 v7, 0x47600000
	v_cndmask_b32_e32 v0, v0, v7, vcc
	v_cmp_eq_u32_e32 vcc, 0, v6
	v_mov_b32_e32 v6, 0x7f800001
	v_cndmask_b32_e32 v0, v6, v0, vcc
; %bb.667:                              ;   in Loop: Header=BB2_564 Depth=4
	s_or_b64 exec, exec, s[70:71]
.LBB2_668:                              ;   in Loop: Header=BB2_564 Depth=4
	s_or_b64 exec, exec, s[68:69]
.LBB2_669:                              ;   in Loop: Header=BB2_564 Depth=4
	s_or_b64 exec, exec, s[30:31]
	v_cmp_ne_u16_sdwa vcc, v12, v51 src0_sel:BYTE_0 src1_sel:DWORD
	s_and_saveexec_b64 s[30:31], vcc
	s_cbranch_execz .LBB2_677
; %bb.670:                              ;   in Loop: Header=BB2_564 Depth=4
	v_cmp_ne_u16_sdwa vcc, v12, s97 src0_sel:BYTE_0 src1_sel:DWORD
	v_bfrev_b32_e32 v3, 1
	s_and_saveexec_b64 s[68:69], vcc
	s_cbranch_execz .LBB2_676
; %bb.671:                              ;   in Loop: Header=BB2_564 Depth=4
	v_and_b32_e32 v3, 0x7c0000, v16
	v_bfe_u32 v6, v16, 16, 2
	v_cmp_ne_u32_e32 vcc, s36, v3
                                        ; implicit-def: $vgpr3
	s_and_saveexec_b64 s[70:71], vcc
	s_xor_b64 s[70:71], exec, s[70:71]
	s_cbranch_execz .LBB2_673
; %bb.672:                              ;   in Loop: Header=BB2_564 Depth=4
	v_ffbh_u32_e32 v7, v6
	v_min_u32_e32 v7, 32, v7
	v_subrev_u32_e32 v13, 29, v7
	v_bfe_u32 v3, v16, 18, 5
	v_lshlrev_b64 v[24:25], v13, v[12:13]
	v_sub_u32_e32 v7, 30, v7
	v_and_b32_e32 v13, 3, v24
	v_cmp_eq_u32_e32 vcc, 0, v3
	v_cndmask_b32_e32 v3, v3, v7, vcc
	v_cndmask_b32_e32 v6, v6, v13, vcc
	v_bfrev_b32_e32 v13, 28
	v_lshlrev_b32_e32 v7, 24, v12
	v_lshl_add_u32 v3, v3, 23, v13
	v_and_or_b32 v3, v7, s96, v3
	v_lshl_or_b32 v3, v6, 21, v3
                                        ; implicit-def: $vgpr6
.LBB2_673:                              ;   in Loop: Header=BB2_564 Depth=4
	s_andn2_saveexec_b64 s[70:71], s[70:71]
; %bb.674:                              ;   in Loop: Header=BB2_564 Depth=4
	v_mov_b32_e32 v3, -1
	v_cmp_gt_i16_sdwa vcc, sext(v12), v3 src0_sel:BYTE_0 src1_sel:DWORD
	v_mov_b32_e32 v3, 0xc7600000
	v_mov_b32_e32 v7, 0x47600000
	v_cndmask_b32_e32 v3, v3, v7, vcc
	v_cmp_eq_u32_e32 vcc, 0, v6
	v_mov_b32_e32 v6, 0x7f800001
	v_cndmask_b32_e32 v3, v6, v3, vcc
; %bb.675:                              ;   in Loop: Header=BB2_564 Depth=4
	s_or_b64 exec, exec, s[70:71]
.LBB2_676:                              ;   in Loop: Header=BB2_564 Depth=4
	s_or_b64 exec, exec, s[68:69]
.LBB2_677:                              ;   in Loop: Header=BB2_564 Depth=4
	s_or_b64 exec, exec, s[30:31]
	v_max_f32_e32 v3, v3, v3
	v_max_f32_e32 v0, v0, v0
	;; [unrolled: 1-line block ×3, first 2 shown]
	s_branch .LBB2_696
.LBB2_678:                              ;   in Loop: Header=BB2_564 Depth=4
                                        ; implicit-def: $vgpr3
	s_cbranch_execz .LBB2_696
; %bb.679:                              ;   in Loop: Header=BB2_564 Depth=4
	v_mov_b32_e32 v3, 0
	v_mov_b32_e32 v0, 0
	s_and_saveexec_b64 s[30:31], s[28:29]
	s_cbranch_execz .LBB2_687
; %bb.680:                              ;   in Loop: Header=BB2_564 Depth=4
	v_cmp_ne_u16_sdwa vcc, v14, s97 src0_sel:BYTE_0 src1_sel:DWORD
	v_bfrev_b32_e32 v0, 1
	s_and_saveexec_b64 s[28:29], vcc
	s_cbranch_execz .LBB2_686
; %bb.681:                              ;   in Loop: Header=BB2_564 Depth=4
	v_and_b32_e32 v0, 0x7c0000, v20
	v_bfe_u32 v6, v20, 16, 2
	v_cmp_ne_u32_e32 vcc, s36, v0
                                        ; implicit-def: $vgpr0
	s_and_saveexec_b64 s[68:69], vcc
	s_xor_b64 s[68:69], exec, s[68:69]
	s_cbranch_execz .LBB2_683
; %bb.682:                              ;   in Loop: Header=BB2_564 Depth=4
	v_ffbh_u32_e32 v7, v6
	v_min_u32_e32 v7, 32, v7
	v_subrev_u32_e32 v13, 29, v7
	v_bfe_u32 v0, v20, 18, 5
	v_lshlrev_b64 v[24:25], v13, v[14:15]
	v_sub_u32_e32 v7, 30, v7
	v_and_b32_e32 v13, 3, v24
	v_cmp_eq_u32_e32 vcc, 0, v0
	v_cndmask_b32_e32 v0, v0, v7, vcc
	v_cndmask_b32_e32 v6, v6, v13, vcc
	v_bfrev_b32_e32 v13, 28
	v_lshlrev_b32_e32 v7, 24, v14
	v_lshl_add_u32 v0, v0, 23, v13
	v_and_or_b32 v0, v7, s96, v0
	v_lshl_or_b32 v0, v6, 21, v0
                                        ; implicit-def: $vgpr6
                                        ; implicit-def: $vgpr14
.LBB2_683:                              ;   in Loop: Header=BB2_564 Depth=4
	s_andn2_saveexec_b64 s[68:69], s[68:69]
; %bb.684:                              ;   in Loop: Header=BB2_564 Depth=4
	v_mov_b32_e32 v0, -1
	v_cmp_gt_i16_sdwa vcc, sext(v14), v0 src0_sel:BYTE_0 src1_sel:DWORD
	v_mov_b32_e32 v0, 0xc7600000
	v_mov_b32_e32 v7, 0x47600000
	v_cndmask_b32_e32 v0, v0, v7, vcc
	v_cmp_eq_u32_e32 vcc, 0, v6
	v_mov_b32_e32 v6, 0x7f800001
	v_cndmask_b32_e32 v0, v6, v0, vcc
; %bb.685:                              ;   in Loop: Header=BB2_564 Depth=4
	s_or_b64 exec, exec, s[68:69]
.LBB2_686:                              ;   in Loop: Header=BB2_564 Depth=4
	s_or_b64 exec, exec, s[28:29]
.LBB2_687:                              ;   in Loop: Header=BB2_564 Depth=4
	s_or_b64 exec, exec, s[30:31]
	v_cmp_ne_u16_sdwa vcc, v12, v51 src0_sel:BYTE_0 src1_sel:DWORD
	s_and_saveexec_b64 s[28:29], vcc
	s_cbranch_execz .LBB2_695
; %bb.688:                              ;   in Loop: Header=BB2_564 Depth=4
	v_cmp_ne_u16_sdwa vcc, v12, s97 src0_sel:BYTE_0 src1_sel:DWORD
	v_bfrev_b32_e32 v3, 1
	s_and_saveexec_b64 s[30:31], vcc
	s_cbranch_execz .LBB2_694
; %bb.689:                              ;   in Loop: Header=BB2_564 Depth=4
	v_and_b32_e32 v3, 0x7c0000, v16
	v_bfe_u32 v6, v16, 16, 2
	v_cmp_ne_u32_e32 vcc, s36, v3
                                        ; implicit-def: $vgpr3
	s_and_saveexec_b64 s[68:69], vcc
	s_xor_b64 s[68:69], exec, s[68:69]
	s_cbranch_execz .LBB2_691
; %bb.690:                              ;   in Loop: Header=BB2_564 Depth=4
	v_ffbh_u32_e32 v7, v6
	v_bfe_u32 v3, v16, 18, 5
	v_min_u32_e32 v7, 32, v7
	v_subrev_u32_e32 v13, 29, v7
	v_sub_u32_e32 v7, 30, v7
	v_cmp_eq_u32_e32 vcc, 0, v3
	v_lshlrev_b64 v[14:15], v13, v[12:13]
	v_cndmask_b32_e32 v3, v3, v7, vcc
	v_lshlrev_b32_e32 v7, 24, v12
	v_bfrev_b32_e32 v12, 28
	v_and_b32_e32 v13, 3, v14
	v_lshl_add_u32 v3, v3, 23, v12
	v_cndmask_b32_e32 v6, v6, v13, vcc
	v_and_or_b32 v3, v7, s96, v3
	v_lshl_or_b32 v3, v6, 21, v3
                                        ; implicit-def: $vgpr6
                                        ; implicit-def: $vgpr12
.LBB2_691:                              ;   in Loop: Header=BB2_564 Depth=4
	s_andn2_saveexec_b64 s[68:69], s[68:69]
; %bb.692:                              ;   in Loop: Header=BB2_564 Depth=4
	v_mov_b32_e32 v3, -1
	v_cmp_gt_i16_sdwa vcc, sext(v12), v3 src0_sel:BYTE_0 src1_sel:DWORD
	v_mov_b32_e32 v3, 0xc7600000
	v_mov_b32_e32 v7, 0x47600000
	v_cndmask_b32_e32 v3, v3, v7, vcc
	v_cmp_eq_u32_e32 vcc, 0, v6
	v_mov_b32_e32 v6, 0x7f800001
	v_cndmask_b32_e32 v3, v6, v3, vcc
; %bb.693:                              ;   in Loop: Header=BB2_564 Depth=4
	s_or_b64 exec, exec, s[68:69]
.LBB2_694:                              ;   in Loop: Header=BB2_564 Depth=4
	s_or_b64 exec, exec, s[30:31]
.LBB2_695:                              ;   in Loop: Header=BB2_564 Depth=4
	s_or_b64 exec, exec, s[28:29]
	v_max_f32_e32 v3, v3, v3
	v_max_f32_e32 v0, v0, v0
	v_min_f32_e32 v3, v0, v3
.LBB2_696:                              ;   in Loop: Header=BB2_564 Depth=4
	v_and_b32_sdwa v0, v3, s97 dst_sel:DWORD dst_unused:UNUSED_PAD src0_sel:BYTE_3 src1_sel:DWORD
	v_and_b32_e32 v6, 0x7f800000, v3
	v_mov_b32_e32 v7, v51
	v_and_b32_e32 v50, 0x7fffff, v3
	v_or_b32_e32 v55, 0x7b, v0
	v_cmp_ne_u64_e32 vcc, s[52:53], v[6:7]
	s_and_saveexec_b64 s[28:29], vcc
	s_xor_b64 s[30:31], exec, s[28:29]
	s_cbranch_execz .LBB2_706
; %bb.697:                              ;   in Loop: Header=BB2_564 Depth=4
	v_and_b32_e32 v6, 0x7fffffff, v3
	v_mov_b32_e32 v7, v51
	v_cmp_gt_u64_e32 vcc, s[54:55], v[6:7]
	s_and_saveexec_b64 s[68:69], vcc
	s_cbranch_execz .LBB2_705
; %bb.698:                              ;   in Loop: Header=BB2_564 Depth=4
	v_cmp_ne_u32_e32 vcc, 0, v3
	v_mov_b32_e32 v55, 0
	s_and_saveexec_b64 s[70:71], vcc
	s_cbranch_execz .LBB2_704
; %bb.699:                              ;   in Loop: Header=BB2_564 Depth=4
	v_bfe_u32 v3, v3, 23, 8
	v_sub_u32_e32 v7, 0x71, v3
	v_cmp_gt_u32_e32 vcc, s38, v3
	v_add_u32_e32 v6, 0xffffff81, v3
	v_cndmask_b32_e32 v7, 0, v7, vcc
	v_cmp_eq_u32_e32 vcc, 0, v3
	v_mov_b32_e32 v3, 0xffffff82
	v_cndmask_b32_e32 v3, v6, v3, vcc
	v_mov_b32_e32 v6, 0x70
	v_cndmask_b32_e32 v30, v7, v6, vcc
	v_add_u32_e32 v6, 21, v30
	v_or_b32_e32 v12, 0x800000, v50
	v_lshlrev_b64 v[6:7], v6, -1
	v_cndmask_b32_e32 v50, v12, v50, vcc
	v_not_b32_e32 v6, v6
	v_and_b32_e32 v12, v50, v6
	v_add_u32_e32 v6, 20, v30
	v_lshrrev_b64 v[24:25], v30, v[50:51]
	v_not_b32_e32 v7, v7
	v_lshlrev_b64 v[14:15], v6, 1
	v_lshrrev_b32_e32 v6, 23, v24
	v_and_b32_e32 v13, 0, v7
	v_add3_u32 v7, v30, v3, v6
	v_bfe_u32 v3, v24, 21, 1
	v_add_u32_e32 v3, -1, v3
	v_cmp_eq_u64_e32 vcc, v[12:13], v[14:15]
	v_cndmask_b32_e32 v3, 0, v3, vcc
	v_add_u32_e32 v3, v3, v24
	v_and_b32_e32 v3, 0x1fffff, v3
	v_add_co_u32_e32 v12, vcc, v3, v24
	v_add_u32_e32 v6, 14, v7
	v_addc_co_u32_e32 v13, vcc, 0, v25, vcc
	v_cmp_ne_u32_e32 vcc, 0, v6
                                        ; implicit-def: $vgpr3
	s_and_saveexec_b64 s[28:29], vcc
	s_xor_b64 s[28:29], exec, s[28:29]
; %bb.700:                              ;   in Loop: Header=BB2_564 Depth=4
	v_add_u32_e32 v3, 15, v7
	v_cmp_lt_u64_e32 vcc, s[56:57], v[12:13]
	v_cndmask_b32_e32 v3, v6, v3, vcc
	v_cndmask_b32_e64 v6, 0, 1, vcc
	v_lshrrev_b64 v[12:13], v6, v[12:13]
; %bb.701:                              ;   in Loop: Header=BB2_564 Depth=4
	s_andn2_saveexec_b64 s[28:29], s[28:29]
; %bb.702:                              ;   in Loop: Header=BB2_564 Depth=4
	v_bfe_u32 v3, v12, 23, 1
; %bb.703:                              ;   in Loop: Header=BB2_564 Depth=4
	s_or_b64 exec, exec, s[28:29]
	v_lshrrev_b64 v[6:7], 21, v[12:13]
	v_cmp_gt_i32_e32 vcc, 32, v3
	v_cndmask_b32_e32 v7, 0, v7, vcc
	v_cndmask_b32_e32 v6, 3, v6, vcc
	v_cmp_eq_u32_e32 vcc, 0, v3
	v_min_i32_e32 v3, 31, v3
	v_cmp_eq_u64_e64 s[28:29], 0, v[6:7]
	v_lshlrev_b32_e32 v3, 2, v3
	v_and_or_b32 v3, v6, 3, v3
	s_and_b64 s[28:29], vcc, s[28:29]
	v_cndmask_b32_e64 v3, v3, 0, s[28:29]
	v_or_b32_e32 v55, v3, v0
.LBB2_704:                              ;   in Loop: Header=BB2_564 Depth=4
	s_or_b64 exec, exec, s[70:71]
.LBB2_705:                              ;   in Loop: Header=BB2_564 Depth=4
	s_or_b64 exec, exec, s[68:69]
                                        ; implicit-def: $vgpr3
.LBB2_706:                              ;   in Loop: Header=BB2_564 Depth=4
	s_andn2_saveexec_b64 s[28:29], s[30:31]
; %bb.707:                              ;   in Loop: Header=BB2_564 Depth=4
	v_or_b32_sdwa v0, v3, s39 dst_sel:DWORD dst_unused:UNUSED_PAD src0_sel:BYTE_3 src1_sel:DWORD
	v_cmp_eq_u64_e32 vcc, 0, v[50:51]
	v_cndmask_b32_e32 v55, v0, v55, vcc
; %bb.708:                              ;   in Loop: Header=BB2_564 Depth=4
	s_or_b64 exec, exec, s[28:29]
	v_lshrrev_b32_e32 v14, 24, v20
	v_lshrrev_b32_e32 v12, 24, v16
	v_cmp_lt_u32_e64 s[28:29], s43, v20
	s_and_b64 vcc, exec, s[66:67]
	s_cbranch_vccz .LBB2_726
; %bb.709:                              ;   in Loop: Header=BB2_564 Depth=4
	v_mov_b32_e32 v3, 0
	v_mov_b32_e32 v0, 0
	s_and_saveexec_b64 s[30:31], s[28:29]
	s_cbranch_execz .LBB2_717
; %bb.710:                              ;   in Loop: Header=BB2_564 Depth=4
	v_cmp_ne_u32_e32 vcc, s97, v14
	v_bfrev_b32_e32 v0, 1
	s_and_saveexec_b64 s[68:69], vcc
	s_cbranch_execz .LBB2_716
; %bb.711:                              ;   in Loop: Header=BB2_564 Depth=4
	v_and_b32_e32 v0, 0x7c000000, v20
	v_bfe_u32 v6, v20, 24, 2
	v_cmp_ne_u32_e32 vcc, s37, v0
                                        ; implicit-def: $vgpr0
	s_and_saveexec_b64 s[70:71], vcc
	s_xor_b64 s[70:71], exec, s[70:71]
	s_cbranch_execz .LBB2_713
; %bb.712:                              ;   in Loop: Header=BB2_564 Depth=4
	v_ffbh_u32_e32 v7, v6
	v_bfe_u32 v0, v20, 26, 5
	v_min_u32_e32 v7, 32, v7
	v_subrev_u32_e32 v13, 29, v7
	v_sub_u32_e32 v7, 30, v7
	v_cmp_eq_u32_e32 vcc, 0, v0
	v_lshlrev_b64 v[24:25], v13, v[14:15]
	v_cndmask_b32_e32 v0, v0, v7, vcc
	v_bfrev_b32_e32 v7, 28
	v_and_b32_e32 v13, 3, v24
	v_lshl_add_u32 v0, v0, 23, v7
	v_cndmask_b32_e32 v6, v6, v13, vcc
	v_and_or_b32 v0, v20, s96, v0
	v_lshl_or_b32 v0, v6, 21, v0
                                        ; implicit-def: $vgpr6
.LBB2_713:                              ;   in Loop: Header=BB2_564 Depth=4
	s_andn2_saveexec_b64 s[70:71], s[70:71]
; %bb.714:                              ;   in Loop: Header=BB2_564 Depth=4
	v_cmp_lt_i32_e32 vcc, -1, v20
	v_mov_b32_e32 v0, 0xc7600000
	v_mov_b32_e32 v7, 0x47600000
	v_cndmask_b32_e32 v0, v0, v7, vcc
	v_cmp_eq_u32_e32 vcc, 0, v6
	v_mov_b32_e32 v6, 0x7f800001
	v_cndmask_b32_e32 v0, v6, v0, vcc
; %bb.715:                              ;   in Loop: Header=BB2_564 Depth=4
	s_or_b64 exec, exec, s[70:71]
.LBB2_716:                              ;   in Loop: Header=BB2_564 Depth=4
	s_or_b64 exec, exec, s[68:69]
.LBB2_717:                              ;   in Loop: Header=BB2_564 Depth=4
	s_or_b64 exec, exec, s[30:31]
	v_cmp_lt_u32_e32 vcc, s43, v16
	s_and_saveexec_b64 s[30:31], vcc
	s_cbranch_execz .LBB2_725
; %bb.718:                              ;   in Loop: Header=BB2_564 Depth=4
	v_cmp_ne_u32_e32 vcc, s97, v12
	v_bfrev_b32_e32 v3, 1
	s_and_saveexec_b64 s[68:69], vcc
	s_cbranch_execz .LBB2_724
; %bb.719:                              ;   in Loop: Header=BB2_564 Depth=4
	v_and_b32_e32 v3, 0x7c000000, v16
	v_bfe_u32 v6, v16, 24, 2
	v_cmp_ne_u32_e32 vcc, s37, v3
                                        ; implicit-def: $vgpr3
	s_and_saveexec_b64 s[70:71], vcc
	s_xor_b64 s[70:71], exec, s[70:71]
	s_cbranch_execz .LBB2_721
; %bb.720:                              ;   in Loop: Header=BB2_564 Depth=4
	v_ffbh_u32_e32 v7, v6
	v_bfe_u32 v3, v16, 26, 5
	v_min_u32_e32 v7, 32, v7
	v_subrev_u32_e32 v13, 29, v7
	v_sub_u32_e32 v7, 30, v7
	v_cmp_eq_u32_e32 vcc, 0, v3
	v_lshlrev_b64 v[24:25], v13, v[12:13]
	v_cndmask_b32_e32 v3, v3, v7, vcc
	v_bfrev_b32_e32 v7, 28
	v_and_b32_e32 v13, 3, v24
	v_lshl_add_u32 v3, v3, 23, v7
	v_cndmask_b32_e32 v6, v6, v13, vcc
	v_and_or_b32 v3, v16, s96, v3
	v_lshl_or_b32 v3, v6, 21, v3
                                        ; implicit-def: $vgpr6
.LBB2_721:                              ;   in Loop: Header=BB2_564 Depth=4
	s_andn2_saveexec_b64 s[70:71], s[70:71]
; %bb.722:                              ;   in Loop: Header=BB2_564 Depth=4
	v_cmp_lt_i32_e32 vcc, -1, v16
	v_mov_b32_e32 v3, 0xc7600000
	v_mov_b32_e32 v7, 0x47600000
	v_cndmask_b32_e32 v3, v3, v7, vcc
	v_cmp_eq_u32_e32 vcc, 0, v6
	v_mov_b32_e32 v6, 0x7f800001
	v_cndmask_b32_e32 v3, v6, v3, vcc
; %bb.723:                              ;   in Loop: Header=BB2_564 Depth=4
	s_or_b64 exec, exec, s[70:71]
.LBB2_724:                              ;   in Loop: Header=BB2_564 Depth=4
	s_or_b64 exec, exec, s[68:69]
.LBB2_725:                              ;   in Loop: Header=BB2_564 Depth=4
	s_or_b64 exec, exec, s[30:31]
	v_max_f32_e32 v3, v3, v3
	v_max_f32_e32 v0, v0, v0
	;; [unrolled: 1-line block ×3, first 2 shown]
	s_branch .LBB2_744
.LBB2_726:                              ;   in Loop: Header=BB2_564 Depth=4
                                        ; implicit-def: $vgpr3
	s_cbranch_execz .LBB2_744
; %bb.727:                              ;   in Loop: Header=BB2_564 Depth=4
	v_mov_b32_e32 v3, 0
	v_mov_b32_e32 v0, 0
	s_and_saveexec_b64 s[30:31], s[28:29]
	s_cbranch_execz .LBB2_735
; %bb.728:                              ;   in Loop: Header=BB2_564 Depth=4
	v_cmp_ne_u32_e32 vcc, s97, v14
	v_bfrev_b32_e32 v0, 1
	s_and_saveexec_b64 s[28:29], vcc
	s_cbranch_execz .LBB2_734
; %bb.729:                              ;   in Loop: Header=BB2_564 Depth=4
	v_and_b32_e32 v0, 0x7c000000, v20
	v_bfe_u32 v6, v20, 24, 2
	v_cmp_ne_u32_e32 vcc, s37, v0
                                        ; implicit-def: $vgpr0
	s_and_saveexec_b64 s[68:69], vcc
	s_xor_b64 s[68:69], exec, s[68:69]
	s_cbranch_execz .LBB2_731
; %bb.730:                              ;   in Loop: Header=BB2_564 Depth=4
	v_ffbh_u32_e32 v7, v6
	v_bfe_u32 v0, v20, 26, 5
	v_min_u32_e32 v7, 32, v7
	v_subrev_u32_e32 v13, 29, v7
	v_sub_u32_e32 v7, 30, v7
	v_cmp_eq_u32_e32 vcc, 0, v0
	v_lshlrev_b64 v[14:15], v13, v[14:15]
	v_cndmask_b32_e32 v0, v0, v7, vcc
	v_bfrev_b32_e32 v7, 28
	v_and_b32_e32 v13, 3, v14
	v_lshl_add_u32 v0, v0, 23, v7
	v_cndmask_b32_e32 v6, v6, v13, vcc
	v_and_or_b32 v0, v20, s96, v0
	v_lshl_or_b32 v0, v6, 21, v0
                                        ; implicit-def: $vgpr6
.LBB2_731:                              ;   in Loop: Header=BB2_564 Depth=4
	s_andn2_saveexec_b64 s[68:69], s[68:69]
; %bb.732:                              ;   in Loop: Header=BB2_564 Depth=4
	v_cmp_lt_i32_e32 vcc, -1, v20
	v_mov_b32_e32 v0, 0xc7600000
	v_mov_b32_e32 v7, 0x47600000
	v_cndmask_b32_e32 v0, v0, v7, vcc
	v_cmp_eq_u32_e32 vcc, 0, v6
	v_mov_b32_e32 v6, 0x7f800001
	v_cndmask_b32_e32 v0, v6, v0, vcc
; %bb.733:                              ;   in Loop: Header=BB2_564 Depth=4
	s_or_b64 exec, exec, s[68:69]
.LBB2_734:                              ;   in Loop: Header=BB2_564 Depth=4
	s_or_b64 exec, exec, s[28:29]
.LBB2_735:                              ;   in Loop: Header=BB2_564 Depth=4
	s_or_b64 exec, exec, s[30:31]
	v_cmp_lt_u32_e32 vcc, s43, v16
	s_and_saveexec_b64 s[28:29], vcc
	s_cbranch_execz .LBB2_743
; %bb.736:                              ;   in Loop: Header=BB2_564 Depth=4
	v_cmp_ne_u32_e32 vcc, s97, v12
	v_bfrev_b32_e32 v3, 1
	s_and_saveexec_b64 s[30:31], vcc
	s_cbranch_execz .LBB2_742
; %bb.737:                              ;   in Loop: Header=BB2_564 Depth=4
	v_and_b32_e32 v3, 0x7c000000, v16
	v_bfe_u32 v6, v16, 24, 2
	v_cmp_ne_u32_e32 vcc, s37, v3
                                        ; implicit-def: $vgpr3
	s_and_saveexec_b64 s[68:69], vcc
	s_xor_b64 s[68:69], exec, s[68:69]
	s_cbranch_execz .LBB2_739
; %bb.738:                              ;   in Loop: Header=BB2_564 Depth=4
	v_ffbh_u32_e32 v7, v6
	v_bfe_u32 v3, v16, 26, 5
	v_min_u32_e32 v7, 32, v7
	v_subrev_u32_e32 v13, 29, v7
	v_sub_u32_e32 v7, 30, v7
	v_cmp_eq_u32_e32 vcc, 0, v3
	v_lshlrev_b64 v[12:13], v13, v[12:13]
	v_cndmask_b32_e32 v3, v3, v7, vcc
	v_bfrev_b32_e32 v7, 28
	v_and_b32_e32 v12, 3, v12
	v_lshl_add_u32 v3, v3, 23, v7
	v_cndmask_b32_e32 v6, v6, v12, vcc
	v_and_or_b32 v3, v16, s96, v3
	v_lshl_or_b32 v3, v6, 21, v3
                                        ; implicit-def: $vgpr6
.LBB2_739:                              ;   in Loop: Header=BB2_564 Depth=4
	s_andn2_saveexec_b64 s[68:69], s[68:69]
; %bb.740:                              ;   in Loop: Header=BB2_564 Depth=4
	v_cmp_lt_i32_e32 vcc, -1, v16
	v_mov_b32_e32 v3, 0xc7600000
	v_mov_b32_e32 v7, 0x47600000
	v_cndmask_b32_e32 v3, v3, v7, vcc
	v_cmp_eq_u32_e32 vcc, 0, v6
	v_mov_b32_e32 v6, 0x7f800001
	v_cndmask_b32_e32 v3, v6, v3, vcc
; %bb.741:                              ;   in Loop: Header=BB2_564 Depth=4
	s_or_b64 exec, exec, s[68:69]
.LBB2_742:                              ;   in Loop: Header=BB2_564 Depth=4
	s_or_b64 exec, exec, s[30:31]
.LBB2_743:                              ;   in Loop: Header=BB2_564 Depth=4
	s_or_b64 exec, exec, s[28:29]
	v_max_f32_e32 v3, v3, v3
	v_max_f32_e32 v0, v0, v0
	v_min_f32_e32 v3, v0, v3
.LBB2_744:                              ;   in Loop: Header=BB2_564 Depth=4
	v_and_b32_sdwa v0, v3, s97 dst_sel:DWORD dst_unused:UNUSED_PAD src0_sel:BYTE_3 src1_sel:DWORD
	v_and_b32_e32 v6, 0x7f800000, v3
	v_mov_b32_e32 v7, v51
	v_and_b32_e32 v50, 0x7fffff, v3
	v_or_b32_e32 v36, 0x7b, v0
	v_cmp_ne_u64_e32 vcc, s[52:53], v[6:7]
	s_and_saveexec_b64 s[28:29], vcc
	s_xor_b64 s[30:31], exec, s[28:29]
	s_cbranch_execz .LBB2_754
; %bb.745:                              ;   in Loop: Header=BB2_564 Depth=4
	v_and_b32_e32 v6, 0x7fffffff, v3
	v_mov_b32_e32 v7, v51
	v_cmp_gt_u64_e32 vcc, s[54:55], v[6:7]
	s_and_saveexec_b64 s[68:69], vcc
	s_cbranch_execz .LBB2_753
; %bb.746:                              ;   in Loop: Header=BB2_564 Depth=4
	v_cmp_ne_u32_e32 vcc, 0, v3
	v_mov_b32_e32 v36, 0
	s_and_saveexec_b64 s[70:71], vcc
	s_cbranch_execz .LBB2_752
; %bb.747:                              ;   in Loop: Header=BB2_564 Depth=4
	v_bfe_u32 v3, v3, 23, 8
	v_sub_u32_e32 v7, 0x71, v3
	v_cmp_gt_u32_e32 vcc, s38, v3
	v_add_u32_e32 v6, 0xffffff81, v3
	v_cndmask_b32_e32 v7, 0, v7, vcc
	v_cmp_eq_u32_e32 vcc, 0, v3
	v_mov_b32_e32 v3, 0xffffff82
	v_cndmask_b32_e32 v3, v6, v3, vcc
	v_mov_b32_e32 v6, 0x70
	v_cndmask_b32_e32 v30, v7, v6, vcc
	v_add_u32_e32 v6, 21, v30
	v_or_b32_e32 v12, 0x800000, v50
	v_lshlrev_b64 v[6:7], v6, -1
	v_cndmask_b32_e32 v50, v12, v50, vcc
	v_not_b32_e32 v6, v6
	v_and_b32_e32 v12, v50, v6
	v_add_u32_e32 v6, 20, v30
	v_lshrrev_b64 v[24:25], v30, v[50:51]
	v_not_b32_e32 v7, v7
	v_lshlrev_b64 v[14:15], v6, 1
	v_lshrrev_b32_e32 v6, 23, v24
	v_and_b32_e32 v13, 0, v7
	v_add3_u32 v7, v30, v3, v6
	v_bfe_u32 v3, v24, 21, 1
	v_add_u32_e32 v3, -1, v3
	v_cmp_eq_u64_e32 vcc, v[12:13], v[14:15]
	v_cndmask_b32_e32 v3, 0, v3, vcc
	v_add_u32_e32 v3, v3, v24
	v_and_b32_e32 v3, 0x1fffff, v3
	v_add_co_u32_e32 v12, vcc, v3, v24
	v_add_u32_e32 v6, 14, v7
	v_addc_co_u32_e32 v13, vcc, 0, v25, vcc
	v_cmp_ne_u32_e32 vcc, 0, v6
                                        ; implicit-def: $vgpr3
	s_and_saveexec_b64 s[28:29], vcc
	s_xor_b64 s[28:29], exec, s[28:29]
; %bb.748:                              ;   in Loop: Header=BB2_564 Depth=4
	v_add_u32_e32 v3, 15, v7
	v_cmp_lt_u64_e32 vcc, s[56:57], v[12:13]
	v_cndmask_b32_e32 v3, v6, v3, vcc
	v_cndmask_b32_e64 v6, 0, 1, vcc
	v_lshrrev_b64 v[12:13], v6, v[12:13]
; %bb.749:                              ;   in Loop: Header=BB2_564 Depth=4
	s_andn2_saveexec_b64 s[28:29], s[28:29]
; %bb.750:                              ;   in Loop: Header=BB2_564 Depth=4
	v_bfe_u32 v3, v12, 23, 1
; %bb.751:                              ;   in Loop: Header=BB2_564 Depth=4
	s_or_b64 exec, exec, s[28:29]
	v_lshrrev_b64 v[6:7], 21, v[12:13]
	v_cmp_gt_i32_e32 vcc, 32, v3
	v_cndmask_b32_e32 v7, 0, v7, vcc
	v_cndmask_b32_e32 v6, 3, v6, vcc
	v_cmp_eq_u32_e32 vcc, 0, v3
	v_min_i32_e32 v3, 31, v3
	v_cmp_eq_u64_e64 s[28:29], 0, v[6:7]
	v_lshlrev_b32_e32 v3, 2, v3
	v_and_or_b32 v3, v6, 3, v3
	s_and_b64 s[28:29], vcc, s[28:29]
	v_cndmask_b32_e64 v3, v3, 0, s[28:29]
	v_or_b32_e32 v36, v3, v0
.LBB2_752:                              ;   in Loop: Header=BB2_564 Depth=4
	s_or_b64 exec, exec, s[70:71]
.LBB2_753:                              ;   in Loop: Header=BB2_564 Depth=4
	s_or_b64 exec, exec, s[68:69]
                                        ; implicit-def: $vgpr3
.LBB2_754:                              ;   in Loop: Header=BB2_564 Depth=4
	s_andn2_saveexec_b64 s[28:29], s[30:31]
; %bb.755:                              ;   in Loop: Header=BB2_564 Depth=4
	v_or_b32_sdwa v0, v3, s39 dst_sel:DWORD dst_unused:UNUSED_PAD src0_sel:BYTE_3 src1_sel:DWORD
	v_cmp_eq_u64_e32 vcc, 0, v[50:51]
	v_cndmask_b32_e32 v36, v0, v36, vcc
; %bb.756:                              ;   in Loop: Header=BB2_564 Depth=4
	s_or_b64 exec, exec, s[28:29]
	v_mov_b32_e32 v50, v21
	v_mov_b32_e32 v52, v17
	;; [unrolled: 1-line block ×3, first 2 shown]
	v_cmp_ne_u16_sdwa s[28:29], v21, v51 src0_sel:BYTE_0 src1_sel:DWORD
	s_and_b64 vcc, exec, s[66:67]
	s_cbranch_vccz .LBB2_774
; %bb.757:                              ;   in Loop: Header=BB2_564 Depth=4
	v_mov_b32_e32 v3, 0
	v_mov_b32_e32 v0, 0
	s_and_saveexec_b64 s[30:31], s[28:29]
	s_cbranch_execz .LBB2_765
; %bb.758:                              ;   in Loop: Header=BB2_564 Depth=4
	v_cmp_ne_u16_sdwa vcc, v21, s97 src0_sel:BYTE_0 src1_sel:DWORD
	v_bfrev_b32_e32 v0, 1
	s_and_saveexec_b64 s[68:69], vcc
	s_cbranch_execz .LBB2_764
; %bb.759:                              ;   in Loop: Header=BB2_564 Depth=4
	v_and_b32_e32 v0, 0x7c, v21
	v_and_b32_e32 v6, 3, v21
	v_cmp_ne_u32_e32 vcc, s95, v0
                                        ; implicit-def: $vgpr0
	s_and_saveexec_b64 s[70:71], vcc
	s_xor_b64 s[70:71], exec, s[70:71]
	s_cbranch_execz .LBB2_761
; %bb.760:                              ;   in Loop: Header=BB2_564 Depth=4
	v_ffbh_u32_e32 v7, v6
	v_min_u32_e32 v7, 32, v7
	v_subrev_u32_e32 v12, 29, v7
	v_bfe_u32 v0, v21, 2, 5
	v_lshlrev_b64 v[12:13], v12, v[50:51]
	v_sub_u32_e32 v7, 30, v7
	v_and_b32_e32 v12, 3, v12
	v_cmp_eq_u32_e32 vcc, 0, v0
	v_cndmask_b32_e32 v0, v0, v7, vcc
	v_cndmask_b32_e32 v6, v6, v12, vcc
	v_bfrev_b32_e32 v12, 28
	v_lshlrev_b32_e32 v7, 24, v21
	v_lshl_add_u32 v0, v0, 23, v12
	v_and_or_b32 v0, v7, s96, v0
	v_lshl_or_b32 v0, v6, 21, v0
                                        ; implicit-def: $vgpr6
.LBB2_761:                              ;   in Loop: Header=BB2_564 Depth=4
	s_andn2_saveexec_b64 s[70:71], s[70:71]
; %bb.762:                              ;   in Loop: Header=BB2_564 Depth=4
	v_mov_b32_e32 v0, -1
	v_cmp_gt_i16_sdwa vcc, sext(v21), v0 src0_sel:BYTE_0 src1_sel:DWORD
	v_mov_b32_e32 v0, 0xc7600000
	v_mov_b32_e32 v7, 0x47600000
	v_cndmask_b32_e32 v0, v0, v7, vcc
	v_cmp_eq_u32_e32 vcc, 0, v6
	v_mov_b32_e32 v6, 0x7f800001
	v_cndmask_b32_e32 v0, v6, v0, vcc
; %bb.763:                              ;   in Loop: Header=BB2_564 Depth=4
	s_or_b64 exec, exec, s[70:71]
.LBB2_764:                              ;   in Loop: Header=BB2_564 Depth=4
	s_or_b64 exec, exec, s[68:69]
.LBB2_765:                              ;   in Loop: Header=BB2_564 Depth=4
	s_or_b64 exec, exec, s[30:31]
	v_cmp_ne_u16_sdwa vcc, v17, v51 src0_sel:BYTE_0 src1_sel:DWORD
	s_and_saveexec_b64 s[30:31], vcc
	s_cbranch_execz .LBB2_773
; %bb.766:                              ;   in Loop: Header=BB2_564 Depth=4
	v_cmp_ne_u16_sdwa vcc, v17, s97 src0_sel:BYTE_0 src1_sel:DWORD
	v_bfrev_b32_e32 v3, 1
	s_and_saveexec_b64 s[68:69], vcc
	s_cbranch_execz .LBB2_772
; %bb.767:                              ;   in Loop: Header=BB2_564 Depth=4
	v_and_b32_e32 v3, 0x7c, v17
	v_and_b32_e32 v6, 3, v17
	v_cmp_ne_u32_e32 vcc, s95, v3
                                        ; implicit-def: $vgpr3
	s_and_saveexec_b64 s[70:71], vcc
	s_xor_b64 s[70:71], exec, s[70:71]
	s_cbranch_execz .LBB2_769
; %bb.768:                              ;   in Loop: Header=BB2_564 Depth=4
	v_ffbh_u32_e32 v7, v6
	v_min_u32_e32 v7, 32, v7
	v_subrev_u32_e32 v12, 29, v7
	v_bfe_u32 v3, v17, 2, 5
	v_lshlrev_b64 v[12:13], v12, v[52:53]
	v_sub_u32_e32 v7, 30, v7
	v_and_b32_e32 v12, 3, v12
	v_cmp_eq_u32_e32 vcc, 0, v3
	v_cndmask_b32_e32 v3, v3, v7, vcc
	v_cndmask_b32_e32 v6, v6, v12, vcc
	v_bfrev_b32_e32 v12, 28
	v_lshlrev_b32_e32 v7, 24, v17
	v_lshl_add_u32 v3, v3, 23, v12
	v_and_or_b32 v3, v7, s96, v3
	v_lshl_or_b32 v3, v6, 21, v3
                                        ; implicit-def: $vgpr6
.LBB2_769:                              ;   in Loop: Header=BB2_564 Depth=4
	s_andn2_saveexec_b64 s[70:71], s[70:71]
; %bb.770:                              ;   in Loop: Header=BB2_564 Depth=4
	v_mov_b32_e32 v3, -1
	v_cmp_gt_i16_sdwa vcc, sext(v17), v3 src0_sel:BYTE_0 src1_sel:DWORD
	v_mov_b32_e32 v3, 0xc7600000
	v_mov_b32_e32 v7, 0x47600000
	v_cndmask_b32_e32 v3, v3, v7, vcc
	v_cmp_eq_u32_e32 vcc, 0, v6
	v_mov_b32_e32 v6, 0x7f800001
	v_cndmask_b32_e32 v3, v6, v3, vcc
; %bb.771:                              ;   in Loop: Header=BB2_564 Depth=4
	s_or_b64 exec, exec, s[70:71]
.LBB2_772:                              ;   in Loop: Header=BB2_564 Depth=4
	s_or_b64 exec, exec, s[68:69]
.LBB2_773:                              ;   in Loop: Header=BB2_564 Depth=4
	s_or_b64 exec, exec, s[30:31]
	v_max_f32_e32 v3, v3, v3
	v_max_f32_e32 v0, v0, v0
	v_max_f32_e32 v3, v0, v3
	s_branch .LBB2_792
.LBB2_774:                              ;   in Loop: Header=BB2_564 Depth=4
                                        ; implicit-def: $vgpr3
	s_cbranch_execz .LBB2_792
; %bb.775:                              ;   in Loop: Header=BB2_564 Depth=4
	v_mov_b32_e32 v3, 0
	v_mov_b32_e32 v0, 0
	s_and_saveexec_b64 s[30:31], s[28:29]
	s_cbranch_execz .LBB2_783
; %bb.776:                              ;   in Loop: Header=BB2_564 Depth=4
	v_cmp_ne_u16_sdwa vcc, v21, s97 src0_sel:BYTE_0 src1_sel:DWORD
	v_bfrev_b32_e32 v0, 1
	s_and_saveexec_b64 s[28:29], vcc
	s_cbranch_execz .LBB2_782
; %bb.777:                              ;   in Loop: Header=BB2_564 Depth=4
	v_and_b32_e32 v0, 0x7c, v21
	v_and_b32_e32 v6, 3, v21
	v_cmp_ne_u32_e32 vcc, s95, v0
                                        ; implicit-def: $vgpr0
	s_and_saveexec_b64 s[68:69], vcc
	s_xor_b64 s[68:69], exec, s[68:69]
	s_cbranch_execz .LBB2_779
; %bb.778:                              ;   in Loop: Header=BB2_564 Depth=4
	v_ffbh_u32_e32 v7, v6
	v_min_u32_e32 v7, 32, v7
	v_subrev_u32_e32 v12, 29, v7
	v_bfe_u32 v0, v21, 2, 5
	v_lshlrev_b64 v[12:13], v12, v[50:51]
	v_sub_u32_e32 v7, 30, v7
	v_and_b32_e32 v12, 3, v12
	v_cmp_eq_u32_e32 vcc, 0, v0
	v_cndmask_b32_e32 v0, v0, v7, vcc
	v_cndmask_b32_e32 v6, v6, v12, vcc
	v_bfrev_b32_e32 v12, 28
	v_lshlrev_b32_e32 v7, 24, v21
	v_lshl_add_u32 v0, v0, 23, v12
	v_and_or_b32 v0, v7, s96, v0
	v_lshl_or_b32 v0, v6, 21, v0
                                        ; implicit-def: $vgpr6
.LBB2_779:                              ;   in Loop: Header=BB2_564 Depth=4
	s_andn2_saveexec_b64 s[68:69], s[68:69]
; %bb.780:                              ;   in Loop: Header=BB2_564 Depth=4
	v_mov_b32_e32 v0, -1
	v_cmp_gt_i16_sdwa vcc, sext(v21), v0 src0_sel:BYTE_0 src1_sel:DWORD
	v_mov_b32_e32 v0, 0xc7600000
	v_mov_b32_e32 v7, 0x47600000
	v_cndmask_b32_e32 v0, v0, v7, vcc
	v_cmp_eq_u32_e32 vcc, 0, v6
	v_mov_b32_e32 v6, 0x7f800001
	v_cndmask_b32_e32 v0, v6, v0, vcc
; %bb.781:                              ;   in Loop: Header=BB2_564 Depth=4
	s_or_b64 exec, exec, s[68:69]
.LBB2_782:                              ;   in Loop: Header=BB2_564 Depth=4
	s_or_b64 exec, exec, s[28:29]
.LBB2_783:                              ;   in Loop: Header=BB2_564 Depth=4
	s_or_b64 exec, exec, s[30:31]
	v_cmp_ne_u16_sdwa vcc, v17, v51 src0_sel:BYTE_0 src1_sel:DWORD
	s_and_saveexec_b64 s[28:29], vcc
	s_cbranch_execz .LBB2_791
; %bb.784:                              ;   in Loop: Header=BB2_564 Depth=4
	v_cmp_ne_u16_sdwa vcc, v17, s97 src0_sel:BYTE_0 src1_sel:DWORD
	v_bfrev_b32_e32 v3, 1
	s_and_saveexec_b64 s[30:31], vcc
	s_cbranch_execz .LBB2_790
; %bb.785:                              ;   in Loop: Header=BB2_564 Depth=4
	v_and_b32_e32 v3, 0x7c, v17
	v_and_b32_e32 v6, 3, v17
	v_cmp_ne_u32_e32 vcc, s95, v3
                                        ; implicit-def: $vgpr3
	s_and_saveexec_b64 s[68:69], vcc
	s_xor_b64 s[68:69], exec, s[68:69]
	s_cbranch_execz .LBB2_787
; %bb.786:                              ;   in Loop: Header=BB2_564 Depth=4
	v_ffbh_u32_e32 v7, v6
	v_min_u32_e32 v7, 32, v7
	v_subrev_u32_e32 v12, 29, v7
	v_bfe_u32 v3, v17, 2, 5
	v_lshlrev_b64 v[12:13], v12, v[52:53]
	v_sub_u32_e32 v7, 30, v7
	v_and_b32_e32 v12, 3, v12
	v_cmp_eq_u32_e32 vcc, 0, v3
	v_cndmask_b32_e32 v3, v3, v7, vcc
	v_cndmask_b32_e32 v6, v6, v12, vcc
	v_bfrev_b32_e32 v12, 28
	v_lshlrev_b32_e32 v7, 24, v17
	v_lshl_add_u32 v3, v3, 23, v12
	v_and_or_b32 v3, v7, s96, v3
	v_lshl_or_b32 v3, v6, 21, v3
                                        ; implicit-def: $vgpr6
.LBB2_787:                              ;   in Loop: Header=BB2_564 Depth=4
	s_andn2_saveexec_b64 s[68:69], s[68:69]
; %bb.788:                              ;   in Loop: Header=BB2_564 Depth=4
	v_mov_b32_e32 v3, -1
	v_cmp_gt_i16_sdwa vcc, sext(v17), v3 src0_sel:BYTE_0 src1_sel:DWORD
	v_mov_b32_e32 v3, 0xc7600000
	v_mov_b32_e32 v7, 0x47600000
	v_cndmask_b32_e32 v3, v3, v7, vcc
	v_cmp_eq_u32_e32 vcc, 0, v6
	v_mov_b32_e32 v6, 0x7f800001
	v_cndmask_b32_e32 v3, v6, v3, vcc
; %bb.789:                              ;   in Loop: Header=BB2_564 Depth=4
	s_or_b64 exec, exec, s[68:69]
.LBB2_790:                              ;   in Loop: Header=BB2_564 Depth=4
	s_or_b64 exec, exec, s[30:31]
.LBB2_791:                              ;   in Loop: Header=BB2_564 Depth=4
	s_or_b64 exec, exec, s[28:29]
	v_max_f32_e32 v3, v3, v3
	v_max_f32_e32 v0, v0, v0
	v_min_f32_e32 v3, v0, v3
.LBB2_792:                              ;   in Loop: Header=BB2_564 Depth=4
	v_and_b32_sdwa v0, v3, s97 dst_sel:DWORD dst_unused:UNUSED_PAD src0_sel:BYTE_3 src1_sel:DWORD
	v_and_b32_e32 v6, 0x7f800000, v3
	v_mov_b32_e32 v7, v51
	v_and_b32_e32 v12, 0x7fffff, v3
	v_mov_b32_e32 v13, v51
	v_or_b32_e32 v37, 0x7b, v0
	v_cmp_ne_u64_e32 vcc, s[52:53], v[6:7]
	s_and_saveexec_b64 s[28:29], vcc
	s_xor_b64 s[30:31], exec, s[28:29]
	s_cbranch_execz .LBB2_802
; %bb.793:                              ;   in Loop: Header=BB2_564 Depth=4
	v_and_b32_e32 v6, 0x7fffffff, v3
	v_mov_b32_e32 v7, v51
	v_cmp_gt_u64_e32 vcc, s[54:55], v[6:7]
	s_and_saveexec_b64 s[68:69], vcc
	s_cbranch_execz .LBB2_801
; %bb.794:                              ;   in Loop: Header=BB2_564 Depth=4
	v_cmp_ne_u32_e32 vcc, 0, v3
	v_mov_b32_e32 v37, 0
	s_and_saveexec_b64 s[70:71], vcc
	s_cbranch_execz .LBB2_800
; %bb.795:                              ;   in Loop: Header=BB2_564 Depth=4
	v_bfe_u32 v3, v3, 23, 8
	v_sub_u32_e32 v7, 0x71, v3
	v_cmp_gt_u32_e32 vcc, s38, v3
	v_add_u32_e32 v6, 0xffffff81, v3
	v_cndmask_b32_e32 v7, 0, v7, vcc
	v_cmp_eq_u32_e32 vcc, 0, v3
	v_mov_b32_e32 v3, 0xffffff82
	v_cndmask_b32_e32 v3, v6, v3, vcc
	v_mov_b32_e32 v6, 0x70
	v_cndmask_b32_e32 v30, v7, v6, vcc
	v_add_u32_e32 v6, 21, v30
	v_or_b32_e32 v14, 0x800000, v12
	v_lshlrev_b64 v[6:7], v6, -1
	v_cndmask_b32_e32 v12, v14, v12, vcc
	v_not_b32_e32 v6, v6
	v_and_b32_e32 v14, v12, v6
	v_add_u32_e32 v6, 20, v30
	v_lshrrev_b64 v[12:13], v30, v[12:13]
	v_not_b32_e32 v7, v7
	v_lshlrev_b64 v[24:25], v6, 1
	v_lshrrev_b32_e32 v6, 23, v12
	v_and_b32_e32 v15, 0, v7
	v_add3_u32 v7, v30, v3, v6
	v_bfe_u32 v3, v12, 21, 1
	v_add_u32_e32 v3, -1, v3
	v_cmp_eq_u64_e32 vcc, v[14:15], v[24:25]
	v_cndmask_b32_e32 v3, 0, v3, vcc
	v_add_u32_e32 v3, v3, v12
	v_and_b32_e32 v3, 0x1fffff, v3
	v_add_co_u32_e32 v12, vcc, v3, v12
	v_add_u32_e32 v6, 14, v7
	v_addc_co_u32_e32 v13, vcc, 0, v13, vcc
	v_cmp_ne_u32_e32 vcc, 0, v6
                                        ; implicit-def: $vgpr3
	s_and_saveexec_b64 s[28:29], vcc
	s_xor_b64 s[28:29], exec, s[28:29]
; %bb.796:                              ;   in Loop: Header=BB2_564 Depth=4
	v_add_u32_e32 v3, 15, v7
	v_cmp_lt_u64_e32 vcc, s[56:57], v[12:13]
	v_cndmask_b32_e32 v3, v6, v3, vcc
	v_cndmask_b32_e64 v6, 0, 1, vcc
	v_lshrrev_b64 v[12:13], v6, v[12:13]
; %bb.797:                              ;   in Loop: Header=BB2_564 Depth=4
	s_andn2_saveexec_b64 s[28:29], s[28:29]
; %bb.798:                              ;   in Loop: Header=BB2_564 Depth=4
	v_bfe_u32 v3, v12, 23, 1
; %bb.799:                              ;   in Loop: Header=BB2_564 Depth=4
	s_or_b64 exec, exec, s[28:29]
	v_lshrrev_b64 v[6:7], 21, v[12:13]
	v_cmp_gt_i32_e32 vcc, 32, v3
	v_cndmask_b32_e32 v7, 0, v7, vcc
	v_cndmask_b32_e32 v6, 3, v6, vcc
	v_cmp_eq_u32_e32 vcc, 0, v3
	v_min_i32_e32 v3, 31, v3
	v_cmp_eq_u64_e64 s[28:29], 0, v[6:7]
	v_lshlrev_b32_e32 v3, 2, v3
	v_and_or_b32 v3, v6, 3, v3
	s_and_b64 s[28:29], vcc, s[28:29]
	v_cndmask_b32_e64 v3, v3, 0, s[28:29]
	v_or_b32_e32 v37, v3, v0
.LBB2_800:                              ;   in Loop: Header=BB2_564 Depth=4
	s_or_b64 exec, exec, s[70:71]
.LBB2_801:                              ;   in Loop: Header=BB2_564 Depth=4
	s_or_b64 exec, exec, s[68:69]
                                        ; implicit-def: $vgpr3
                                        ; implicit-def: $vgpr12_vgpr13
.LBB2_802:                              ;   in Loop: Header=BB2_564 Depth=4
	s_andn2_saveexec_b64 s[28:29], s[30:31]
; %bb.803:                              ;   in Loop: Header=BB2_564 Depth=4
	v_or_b32_sdwa v0, v3, s39 dst_sel:DWORD dst_unused:UNUSED_PAD src0_sel:BYTE_3 src1_sel:DWORD
	v_cmp_eq_u64_e32 vcc, 0, v[12:13]
	v_cndmask_b32_e32 v37, v0, v37, vcc
; %bb.804:                              ;   in Loop: Header=BB2_564 Depth=4
	s_or_b64 exec, exec, s[28:29]
	v_lshrrev_b16_e32 v14, 8, v50
	v_lshrrev_b16_e32 v12, 8, v52
	v_cmp_ne_u16_e64 s[28:29], 0, v14
	s_and_b64 vcc, exec, s[66:67]
	s_cbranch_vccz .LBB2_822
; %bb.805:                              ;   in Loop: Header=BB2_564 Depth=4
	v_mov_b32_e32 v3, 0
	v_mov_b32_e32 v0, 0
	s_and_saveexec_b64 s[30:31], s[28:29]
	s_cbranch_execz .LBB2_813
; %bb.806:                              ;   in Loop: Header=BB2_564 Depth=4
	v_cmp_ne_u16_e32 vcc, s97, v14
	v_bfrev_b32_e32 v0, 1
	s_and_saveexec_b64 s[68:69], vcc
	s_cbranch_execz .LBB2_812
; %bb.807:                              ;   in Loop: Header=BB2_564 Depth=4
	v_and_b32_e32 v0, 0x7c, v14
	v_and_b32_e32 v6, 3, v14
	v_cmp_ne_u32_e32 vcc, s95, v0
                                        ; implicit-def: $vgpr0
	s_and_saveexec_b64 s[70:71], vcc
	s_xor_b64 s[70:71], exec, s[70:71]
	s_cbranch_execz .LBB2_809
; %bb.808:                              ;   in Loop: Header=BB2_564 Depth=4
	v_ffbh_u32_e32 v7, v6
	v_min_u32_e32 v7, 32, v7
	v_mov_b32_e32 v15, v51
	v_subrev_u32_e32 v13, 29, v7
	v_bfe_u32 v0, v14, 2, 5
	v_lshlrev_b64 v[24:25], v13, v[14:15]
	v_sub_u32_e32 v7, 30, v7
	v_and_b32_e32 v13, 3, v24
	v_cmp_eq_u32_e32 vcc, 0, v0
	v_cndmask_b32_e32 v0, v0, v7, vcc
	v_cndmask_b32_e32 v6, v6, v13, vcc
	v_bfrev_b32_e32 v13, 28
	v_lshlrev_b32_e32 v7, 16, v50
	v_lshl_add_u32 v0, v0, 23, v13
	v_and_or_b32 v0, v7, s96, v0
	v_lshl_or_b32 v0, v6, 21, v0
                                        ; implicit-def: $vgpr6
.LBB2_809:                              ;   in Loop: Header=BB2_564 Depth=4
	s_andn2_saveexec_b64 s[70:71], s[70:71]
; %bb.810:                              ;   in Loop: Header=BB2_564 Depth=4
	v_cmp_lt_i16_e32 vcc, -1, v50
	v_mov_b32_e32 v0, 0xc7600000
	v_mov_b32_e32 v7, 0x47600000
	v_cndmask_b32_e32 v0, v0, v7, vcc
	v_cmp_eq_u32_e32 vcc, 0, v6
	v_mov_b32_e32 v6, 0x7f800001
	v_cndmask_b32_e32 v0, v6, v0, vcc
; %bb.811:                              ;   in Loop: Header=BB2_564 Depth=4
	s_or_b64 exec, exec, s[70:71]
.LBB2_812:                              ;   in Loop: Header=BB2_564 Depth=4
	s_or_b64 exec, exec, s[68:69]
.LBB2_813:                              ;   in Loop: Header=BB2_564 Depth=4
	s_or_b64 exec, exec, s[30:31]
	v_cmp_ne_u16_e32 vcc, 0, v12
	s_and_saveexec_b64 s[30:31], vcc
	s_cbranch_execz .LBB2_821
; %bb.814:                              ;   in Loop: Header=BB2_564 Depth=4
	v_cmp_ne_u16_e32 vcc, s97, v12
	v_bfrev_b32_e32 v3, 1
	s_and_saveexec_b64 s[68:69], vcc
	s_cbranch_execz .LBB2_820
; %bb.815:                              ;   in Loop: Header=BB2_564 Depth=4
	v_and_b32_e32 v3, 0x7c, v12
	v_and_b32_e32 v6, 3, v12
	v_cmp_ne_u32_e32 vcc, s95, v3
                                        ; implicit-def: $vgpr3
	s_and_saveexec_b64 s[70:71], vcc
	s_xor_b64 s[70:71], exec, s[70:71]
	s_cbranch_execz .LBB2_817
; %bb.816:                              ;   in Loop: Header=BB2_564 Depth=4
	v_ffbh_u32_e32 v7, v6
	v_min_u32_e32 v7, 32, v7
	v_mov_b32_e32 v13, v51
	v_subrev_u32_e32 v15, 29, v7
	v_bfe_u32 v3, v12, 2, 5
	v_lshlrev_b64 v[24:25], v15, v[12:13]
	v_sub_u32_e32 v7, 30, v7
	v_and_b32_e32 v13, 3, v24
	v_cmp_eq_u32_e32 vcc, 0, v3
	v_cndmask_b32_e32 v3, v3, v7, vcc
	v_cndmask_b32_e32 v6, v6, v13, vcc
	v_bfrev_b32_e32 v13, 28
	v_lshlrev_b32_e32 v7, 16, v52
	v_lshl_add_u32 v3, v3, 23, v13
	v_and_or_b32 v3, v7, s96, v3
	v_lshl_or_b32 v3, v6, 21, v3
                                        ; implicit-def: $vgpr6
.LBB2_817:                              ;   in Loop: Header=BB2_564 Depth=4
	s_andn2_saveexec_b64 s[70:71], s[70:71]
; %bb.818:                              ;   in Loop: Header=BB2_564 Depth=4
	v_cmp_lt_i16_e32 vcc, -1, v52
	v_mov_b32_e32 v3, 0xc7600000
	v_mov_b32_e32 v7, 0x47600000
	v_cndmask_b32_e32 v3, v3, v7, vcc
	v_cmp_eq_u32_e32 vcc, 0, v6
	v_mov_b32_e32 v6, 0x7f800001
	v_cndmask_b32_e32 v3, v6, v3, vcc
; %bb.819:                              ;   in Loop: Header=BB2_564 Depth=4
	s_or_b64 exec, exec, s[70:71]
.LBB2_820:                              ;   in Loop: Header=BB2_564 Depth=4
	s_or_b64 exec, exec, s[68:69]
.LBB2_821:                              ;   in Loop: Header=BB2_564 Depth=4
	s_or_b64 exec, exec, s[30:31]
	v_max_f32_e32 v3, v3, v3
	v_max_f32_e32 v0, v0, v0
	;; [unrolled: 1-line block ×3, first 2 shown]
	s_branch .LBB2_840
.LBB2_822:                              ;   in Loop: Header=BB2_564 Depth=4
                                        ; implicit-def: $vgpr3
	s_cbranch_execz .LBB2_840
; %bb.823:                              ;   in Loop: Header=BB2_564 Depth=4
	v_mov_b32_e32 v3, 0
	v_mov_b32_e32 v0, 0
	s_and_saveexec_b64 s[30:31], s[28:29]
	s_cbranch_execz .LBB2_831
; %bb.824:                              ;   in Loop: Header=BB2_564 Depth=4
	v_cmp_ne_u16_e32 vcc, s97, v14
	v_bfrev_b32_e32 v0, 1
	s_and_saveexec_b64 s[28:29], vcc
	s_cbranch_execz .LBB2_830
; %bb.825:                              ;   in Loop: Header=BB2_564 Depth=4
	v_and_b32_e32 v0, 0x7c, v14
	v_and_b32_e32 v6, 3, v14
	v_cmp_ne_u32_e32 vcc, s95, v0
                                        ; implicit-def: $vgpr0
	s_and_saveexec_b64 s[68:69], vcc
	s_xor_b64 s[68:69], exec, s[68:69]
	s_cbranch_execz .LBB2_827
; %bb.826:                              ;   in Loop: Header=BB2_564 Depth=4
	v_ffbh_u32_e32 v7, v6
	v_min_u32_e32 v7, 32, v7
	v_mov_b32_e32 v15, v51
	v_subrev_u32_e32 v13, 29, v7
	v_bfe_u32 v0, v14, 2, 5
	v_lshlrev_b64 v[14:15], v13, v[14:15]
	v_sub_u32_e32 v7, 30, v7
	v_and_b32_e32 v13, 3, v14
	v_cmp_eq_u32_e32 vcc, 0, v0
	v_cndmask_b32_e32 v0, v0, v7, vcc
	v_cndmask_b32_e32 v6, v6, v13, vcc
	v_bfrev_b32_e32 v13, 28
	v_lshlrev_b32_e32 v7, 16, v50
	v_lshl_add_u32 v0, v0, 23, v13
	v_and_or_b32 v0, v7, s96, v0
	v_lshl_or_b32 v0, v6, 21, v0
                                        ; implicit-def: $vgpr6
.LBB2_827:                              ;   in Loop: Header=BB2_564 Depth=4
	s_andn2_saveexec_b64 s[68:69], s[68:69]
; %bb.828:                              ;   in Loop: Header=BB2_564 Depth=4
	v_cmp_lt_i16_e32 vcc, -1, v50
	v_mov_b32_e32 v0, 0xc7600000
	v_mov_b32_e32 v7, 0x47600000
	v_cndmask_b32_e32 v0, v0, v7, vcc
	v_cmp_eq_u32_e32 vcc, 0, v6
	v_mov_b32_e32 v6, 0x7f800001
	v_cndmask_b32_e32 v0, v6, v0, vcc
; %bb.829:                              ;   in Loop: Header=BB2_564 Depth=4
	s_or_b64 exec, exec, s[68:69]
.LBB2_830:                              ;   in Loop: Header=BB2_564 Depth=4
	s_or_b64 exec, exec, s[28:29]
.LBB2_831:                              ;   in Loop: Header=BB2_564 Depth=4
	s_or_b64 exec, exec, s[30:31]
	v_cmp_ne_u16_e32 vcc, 0, v12
	s_and_saveexec_b64 s[28:29], vcc
	s_cbranch_execz .LBB2_839
; %bb.832:                              ;   in Loop: Header=BB2_564 Depth=4
	v_cmp_ne_u16_e32 vcc, s97, v12
	v_bfrev_b32_e32 v3, 1
	s_and_saveexec_b64 s[30:31], vcc
	s_cbranch_execz .LBB2_838
; %bb.833:                              ;   in Loop: Header=BB2_564 Depth=4
	v_and_b32_e32 v3, 0x7c, v12
	v_and_b32_e32 v6, 3, v12
	v_cmp_ne_u32_e32 vcc, s95, v3
                                        ; implicit-def: $vgpr3
	s_and_saveexec_b64 s[68:69], vcc
	s_xor_b64 s[68:69], exec, s[68:69]
	s_cbranch_execz .LBB2_835
; %bb.834:                              ;   in Loop: Header=BB2_564 Depth=4
	v_ffbh_u32_e32 v7, v6
	v_min_u32_e32 v7, 32, v7
	v_mov_b32_e32 v13, v51
	v_subrev_u32_e32 v14, 29, v7
	v_bfe_u32 v3, v12, 2, 5
	v_lshlrev_b64 v[12:13], v14, v[12:13]
	v_sub_u32_e32 v7, 30, v7
	v_and_b32_e32 v12, 3, v12
	v_cmp_eq_u32_e32 vcc, 0, v3
	v_cndmask_b32_e32 v3, v3, v7, vcc
	v_cndmask_b32_e32 v6, v6, v12, vcc
	v_bfrev_b32_e32 v12, 28
	v_lshlrev_b32_e32 v7, 16, v52
	v_lshl_add_u32 v3, v3, 23, v12
	v_and_or_b32 v3, v7, s96, v3
	v_lshl_or_b32 v3, v6, 21, v3
                                        ; implicit-def: $vgpr6
                                        ; implicit-def: $vgpr52_vgpr53
.LBB2_835:                              ;   in Loop: Header=BB2_564 Depth=4
	s_andn2_saveexec_b64 s[68:69], s[68:69]
; %bb.836:                              ;   in Loop: Header=BB2_564 Depth=4
	v_cmp_lt_i16_e32 vcc, -1, v52
	v_mov_b32_e32 v3, 0xc7600000
	v_mov_b32_e32 v7, 0x47600000
	v_cndmask_b32_e32 v3, v3, v7, vcc
	v_cmp_eq_u32_e32 vcc, 0, v6
	v_mov_b32_e32 v6, 0x7f800001
	v_cndmask_b32_e32 v3, v6, v3, vcc
; %bb.837:                              ;   in Loop: Header=BB2_564 Depth=4
	s_or_b64 exec, exec, s[68:69]
.LBB2_838:                              ;   in Loop: Header=BB2_564 Depth=4
	s_or_b64 exec, exec, s[30:31]
.LBB2_839:                              ;   in Loop: Header=BB2_564 Depth=4
	s_or_b64 exec, exec, s[28:29]
	v_max_f32_e32 v3, v3, v3
	v_max_f32_e32 v0, v0, v0
	v_min_f32_e32 v3, v0, v3
.LBB2_840:                              ;   in Loop: Header=BB2_564 Depth=4
	v_and_b32_sdwa v0, v3, s97 dst_sel:DWORD dst_unused:UNUSED_PAD src0_sel:BYTE_3 src1_sel:DWORD
	v_and_b32_e32 v6, 0x7f800000, v3
	v_mov_b32_e32 v7, v51
	v_and_b32_e32 v50, 0x7fffff, v3
	v_or_b32_e32 v52, 0x7b, v0
	v_cmp_ne_u64_e32 vcc, s[52:53], v[6:7]
	s_and_saveexec_b64 s[28:29], vcc
	s_xor_b64 s[30:31], exec, s[28:29]
	s_cbranch_execz .LBB2_850
; %bb.841:                              ;   in Loop: Header=BB2_564 Depth=4
	v_and_b32_e32 v6, 0x7fffffff, v3
	v_mov_b32_e32 v7, v51
	v_cmp_gt_u64_e32 vcc, s[54:55], v[6:7]
	s_and_saveexec_b64 s[68:69], vcc
	s_cbranch_execz .LBB2_849
; %bb.842:                              ;   in Loop: Header=BB2_564 Depth=4
	v_cmp_ne_u32_e32 vcc, 0, v3
	v_mov_b32_e32 v52, 0
	s_and_saveexec_b64 s[70:71], vcc
	s_cbranch_execz .LBB2_848
; %bb.843:                              ;   in Loop: Header=BB2_564 Depth=4
	v_bfe_u32 v3, v3, 23, 8
	v_sub_u32_e32 v7, 0x71, v3
	v_cmp_gt_u32_e32 vcc, s38, v3
	v_add_u32_e32 v6, 0xffffff81, v3
	v_cndmask_b32_e32 v7, 0, v7, vcc
	v_cmp_eq_u32_e32 vcc, 0, v3
	v_mov_b32_e32 v3, 0xffffff82
	v_cndmask_b32_e32 v3, v6, v3, vcc
	v_mov_b32_e32 v6, 0x70
	v_cndmask_b32_e32 v30, v7, v6, vcc
	v_add_u32_e32 v6, 21, v30
	v_or_b32_e32 v12, 0x800000, v50
	v_lshlrev_b64 v[6:7], v6, -1
	v_cndmask_b32_e32 v50, v12, v50, vcc
	v_not_b32_e32 v6, v6
	v_and_b32_e32 v12, v50, v6
	v_add_u32_e32 v6, 20, v30
	v_lshrrev_b64 v[24:25], v30, v[50:51]
	v_not_b32_e32 v7, v7
	v_lshlrev_b64 v[14:15], v6, 1
	v_lshrrev_b32_e32 v6, 23, v24
	v_and_b32_e32 v13, 0, v7
	v_add3_u32 v7, v30, v3, v6
	v_bfe_u32 v3, v24, 21, 1
	v_add_u32_e32 v3, -1, v3
	v_cmp_eq_u64_e32 vcc, v[12:13], v[14:15]
	v_cndmask_b32_e32 v3, 0, v3, vcc
	v_add_u32_e32 v3, v3, v24
	v_and_b32_e32 v3, 0x1fffff, v3
	v_add_co_u32_e32 v12, vcc, v3, v24
	v_add_u32_e32 v6, 14, v7
	v_addc_co_u32_e32 v13, vcc, 0, v25, vcc
	v_cmp_ne_u32_e32 vcc, 0, v6
                                        ; implicit-def: $vgpr3
	s_and_saveexec_b64 s[28:29], vcc
	s_xor_b64 s[28:29], exec, s[28:29]
; %bb.844:                              ;   in Loop: Header=BB2_564 Depth=4
	v_add_u32_e32 v3, 15, v7
	v_cmp_lt_u64_e32 vcc, s[56:57], v[12:13]
	v_cndmask_b32_e32 v3, v6, v3, vcc
	v_cndmask_b32_e64 v6, 0, 1, vcc
	v_lshrrev_b64 v[12:13], v6, v[12:13]
; %bb.845:                              ;   in Loop: Header=BB2_564 Depth=4
	s_andn2_saveexec_b64 s[28:29], s[28:29]
; %bb.846:                              ;   in Loop: Header=BB2_564 Depth=4
	v_bfe_u32 v3, v12, 23, 1
; %bb.847:                              ;   in Loop: Header=BB2_564 Depth=4
	s_or_b64 exec, exec, s[28:29]
	v_lshrrev_b64 v[6:7], 21, v[12:13]
	v_cmp_gt_i32_e32 vcc, 32, v3
	v_cndmask_b32_e32 v7, 0, v7, vcc
	v_cndmask_b32_e32 v6, 3, v6, vcc
	v_cmp_eq_u32_e32 vcc, 0, v3
	v_min_i32_e32 v3, 31, v3
	v_cmp_eq_u64_e64 s[28:29], 0, v[6:7]
	v_lshlrev_b32_e32 v3, 2, v3
	v_and_or_b32 v3, v6, 3, v3
	s_and_b64 s[28:29], vcc, s[28:29]
	v_cndmask_b32_e64 v3, v3, 0, s[28:29]
	v_or_b32_e32 v52, v3, v0
.LBB2_848:                              ;   in Loop: Header=BB2_564 Depth=4
	s_or_b64 exec, exec, s[70:71]
.LBB2_849:                              ;   in Loop: Header=BB2_564 Depth=4
	s_or_b64 exec, exec, s[68:69]
                                        ; implicit-def: $vgpr3
.LBB2_850:                              ;   in Loop: Header=BB2_564 Depth=4
	s_andn2_saveexec_b64 s[28:29], s[30:31]
; %bb.851:                              ;   in Loop: Header=BB2_564 Depth=4
	v_or_b32_sdwa v0, v3, s39 dst_sel:DWORD dst_unused:UNUSED_PAD src0_sel:BYTE_3 src1_sel:DWORD
	v_cmp_eq_u64_e32 vcc, 0, v[50:51]
	v_cndmask_b32_e32 v52, v0, v52, vcc
; %bb.852:                              ;   in Loop: Header=BB2_564 Depth=4
	s_or_b64 exec, exec, s[28:29]
	v_lshrrev_b32_e32 v14, 16, v21
	v_lshrrev_b32_e32 v12, 16, v17
	v_cmp_ne_u16_sdwa s[28:29], v14, v51 src0_sel:BYTE_0 src1_sel:DWORD
	s_and_b64 vcc, exec, s[66:67]
	s_cbranch_vccz .LBB2_870
; %bb.853:                              ;   in Loop: Header=BB2_564 Depth=4
	v_mov_b32_e32 v3, 0
	v_mov_b32_e32 v0, 0
	s_and_saveexec_b64 s[30:31], s[28:29]
	s_cbranch_execz .LBB2_861
; %bb.854:                              ;   in Loop: Header=BB2_564 Depth=4
	v_cmp_ne_u16_sdwa vcc, v14, s97 src0_sel:BYTE_0 src1_sel:DWORD
	v_bfrev_b32_e32 v0, 1
	s_and_saveexec_b64 s[68:69], vcc
	s_cbranch_execz .LBB2_860
; %bb.855:                              ;   in Loop: Header=BB2_564 Depth=4
	v_and_b32_e32 v0, 0x7c0000, v21
	v_bfe_u32 v6, v21, 16, 2
	v_cmp_ne_u32_e32 vcc, s36, v0
                                        ; implicit-def: $vgpr0
	s_and_saveexec_b64 s[70:71], vcc
	s_xor_b64 s[70:71], exec, s[70:71]
	s_cbranch_execz .LBB2_857
; %bb.856:                              ;   in Loop: Header=BB2_564 Depth=4
	v_ffbh_u32_e32 v7, v6
	v_min_u32_e32 v7, 32, v7
	v_subrev_u32_e32 v13, 29, v7
	v_bfe_u32 v0, v21, 18, 5
	v_lshlrev_b64 v[24:25], v13, v[14:15]
	v_sub_u32_e32 v7, 30, v7
	v_and_b32_e32 v13, 3, v24
	v_cmp_eq_u32_e32 vcc, 0, v0
	v_cndmask_b32_e32 v0, v0, v7, vcc
	v_cndmask_b32_e32 v6, v6, v13, vcc
	v_bfrev_b32_e32 v13, 28
	v_lshlrev_b32_e32 v7, 24, v14
	v_lshl_add_u32 v0, v0, 23, v13
	v_and_or_b32 v0, v7, s96, v0
	v_lshl_or_b32 v0, v6, 21, v0
                                        ; implicit-def: $vgpr6
.LBB2_857:                              ;   in Loop: Header=BB2_564 Depth=4
	s_andn2_saveexec_b64 s[70:71], s[70:71]
; %bb.858:                              ;   in Loop: Header=BB2_564 Depth=4
	v_mov_b32_e32 v0, -1
	v_cmp_gt_i16_sdwa vcc, sext(v14), v0 src0_sel:BYTE_0 src1_sel:DWORD
	v_mov_b32_e32 v0, 0xc7600000
	v_mov_b32_e32 v7, 0x47600000
	v_cndmask_b32_e32 v0, v0, v7, vcc
	v_cmp_eq_u32_e32 vcc, 0, v6
	v_mov_b32_e32 v6, 0x7f800001
	v_cndmask_b32_e32 v0, v6, v0, vcc
; %bb.859:                              ;   in Loop: Header=BB2_564 Depth=4
	s_or_b64 exec, exec, s[70:71]
.LBB2_860:                              ;   in Loop: Header=BB2_564 Depth=4
	s_or_b64 exec, exec, s[68:69]
.LBB2_861:                              ;   in Loop: Header=BB2_564 Depth=4
	s_or_b64 exec, exec, s[30:31]
	v_cmp_ne_u16_sdwa vcc, v12, v51 src0_sel:BYTE_0 src1_sel:DWORD
	s_and_saveexec_b64 s[30:31], vcc
	s_cbranch_execz .LBB2_869
; %bb.862:                              ;   in Loop: Header=BB2_564 Depth=4
	v_cmp_ne_u16_sdwa vcc, v12, s97 src0_sel:BYTE_0 src1_sel:DWORD
	v_bfrev_b32_e32 v3, 1
	s_and_saveexec_b64 s[68:69], vcc
	s_cbranch_execz .LBB2_868
; %bb.863:                              ;   in Loop: Header=BB2_564 Depth=4
	v_and_b32_e32 v3, 0x7c0000, v17
	v_bfe_u32 v6, v17, 16, 2
	v_cmp_ne_u32_e32 vcc, s36, v3
                                        ; implicit-def: $vgpr3
	s_and_saveexec_b64 s[70:71], vcc
	s_xor_b64 s[70:71], exec, s[70:71]
	s_cbranch_execz .LBB2_865
; %bb.864:                              ;   in Loop: Header=BB2_564 Depth=4
	v_ffbh_u32_e32 v7, v6
	v_min_u32_e32 v7, 32, v7
	v_subrev_u32_e32 v13, 29, v7
	v_bfe_u32 v3, v17, 18, 5
	v_lshlrev_b64 v[24:25], v13, v[12:13]
	v_sub_u32_e32 v7, 30, v7
	v_and_b32_e32 v13, 3, v24
	v_cmp_eq_u32_e32 vcc, 0, v3
	v_cndmask_b32_e32 v3, v3, v7, vcc
	v_cndmask_b32_e32 v6, v6, v13, vcc
	v_bfrev_b32_e32 v13, 28
	v_lshlrev_b32_e32 v7, 24, v12
	v_lshl_add_u32 v3, v3, 23, v13
	v_and_or_b32 v3, v7, s96, v3
	v_lshl_or_b32 v3, v6, 21, v3
                                        ; implicit-def: $vgpr6
.LBB2_865:                              ;   in Loop: Header=BB2_564 Depth=4
	s_andn2_saveexec_b64 s[70:71], s[70:71]
; %bb.866:                              ;   in Loop: Header=BB2_564 Depth=4
	v_mov_b32_e32 v3, -1
	v_cmp_gt_i16_sdwa vcc, sext(v12), v3 src0_sel:BYTE_0 src1_sel:DWORD
	v_mov_b32_e32 v3, 0xc7600000
	v_mov_b32_e32 v7, 0x47600000
	v_cndmask_b32_e32 v3, v3, v7, vcc
	v_cmp_eq_u32_e32 vcc, 0, v6
	v_mov_b32_e32 v6, 0x7f800001
	v_cndmask_b32_e32 v3, v6, v3, vcc
; %bb.867:                              ;   in Loop: Header=BB2_564 Depth=4
	s_or_b64 exec, exec, s[70:71]
.LBB2_868:                              ;   in Loop: Header=BB2_564 Depth=4
	s_or_b64 exec, exec, s[68:69]
.LBB2_869:                              ;   in Loop: Header=BB2_564 Depth=4
	s_or_b64 exec, exec, s[30:31]
	v_max_f32_e32 v3, v3, v3
	v_max_f32_e32 v0, v0, v0
	v_max_f32_e32 v3, v0, v3
	s_branch .LBB2_888
.LBB2_870:                              ;   in Loop: Header=BB2_564 Depth=4
                                        ; implicit-def: $vgpr3
	s_cbranch_execz .LBB2_888
; %bb.871:                              ;   in Loop: Header=BB2_564 Depth=4
	v_mov_b32_e32 v3, 0
	v_mov_b32_e32 v0, 0
	s_and_saveexec_b64 s[30:31], s[28:29]
	s_cbranch_execz .LBB2_879
; %bb.872:                              ;   in Loop: Header=BB2_564 Depth=4
	v_cmp_ne_u16_sdwa vcc, v14, s97 src0_sel:BYTE_0 src1_sel:DWORD
	v_bfrev_b32_e32 v0, 1
	s_and_saveexec_b64 s[28:29], vcc
	s_cbranch_execz .LBB2_878
; %bb.873:                              ;   in Loop: Header=BB2_564 Depth=4
	v_and_b32_e32 v0, 0x7c0000, v21
	v_bfe_u32 v6, v21, 16, 2
	v_cmp_ne_u32_e32 vcc, s36, v0
                                        ; implicit-def: $vgpr0
	s_and_saveexec_b64 s[68:69], vcc
	s_xor_b64 s[68:69], exec, s[68:69]
	s_cbranch_execz .LBB2_875
; %bb.874:                              ;   in Loop: Header=BB2_564 Depth=4
	v_ffbh_u32_e32 v7, v6
	v_min_u32_e32 v7, 32, v7
	v_subrev_u32_e32 v13, 29, v7
	v_bfe_u32 v0, v21, 18, 5
	v_lshlrev_b64 v[24:25], v13, v[14:15]
	v_sub_u32_e32 v7, 30, v7
	v_and_b32_e32 v13, 3, v24
	v_cmp_eq_u32_e32 vcc, 0, v0
	v_cndmask_b32_e32 v0, v0, v7, vcc
	v_cndmask_b32_e32 v6, v6, v13, vcc
	v_bfrev_b32_e32 v13, 28
	v_lshlrev_b32_e32 v7, 24, v14
	v_lshl_add_u32 v0, v0, 23, v13
	v_and_or_b32 v0, v7, s96, v0
	v_lshl_or_b32 v0, v6, 21, v0
                                        ; implicit-def: $vgpr6
                                        ; implicit-def: $vgpr14
.LBB2_875:                              ;   in Loop: Header=BB2_564 Depth=4
	s_andn2_saveexec_b64 s[68:69], s[68:69]
; %bb.876:                              ;   in Loop: Header=BB2_564 Depth=4
	v_mov_b32_e32 v0, -1
	v_cmp_gt_i16_sdwa vcc, sext(v14), v0 src0_sel:BYTE_0 src1_sel:DWORD
	v_mov_b32_e32 v0, 0xc7600000
	v_mov_b32_e32 v7, 0x47600000
	v_cndmask_b32_e32 v0, v0, v7, vcc
	v_cmp_eq_u32_e32 vcc, 0, v6
	v_mov_b32_e32 v6, 0x7f800001
	v_cndmask_b32_e32 v0, v6, v0, vcc
; %bb.877:                              ;   in Loop: Header=BB2_564 Depth=4
	s_or_b64 exec, exec, s[68:69]
.LBB2_878:                              ;   in Loop: Header=BB2_564 Depth=4
	s_or_b64 exec, exec, s[28:29]
.LBB2_879:                              ;   in Loop: Header=BB2_564 Depth=4
	s_or_b64 exec, exec, s[30:31]
	v_cmp_ne_u16_sdwa vcc, v12, v51 src0_sel:BYTE_0 src1_sel:DWORD
	s_and_saveexec_b64 s[28:29], vcc
	s_cbranch_execz .LBB2_887
; %bb.880:                              ;   in Loop: Header=BB2_564 Depth=4
	v_cmp_ne_u16_sdwa vcc, v12, s97 src0_sel:BYTE_0 src1_sel:DWORD
	v_bfrev_b32_e32 v3, 1
	s_and_saveexec_b64 s[30:31], vcc
	s_cbranch_execz .LBB2_886
; %bb.881:                              ;   in Loop: Header=BB2_564 Depth=4
	v_and_b32_e32 v3, 0x7c0000, v17
	v_bfe_u32 v6, v17, 16, 2
	v_cmp_ne_u32_e32 vcc, s36, v3
                                        ; implicit-def: $vgpr3
	s_and_saveexec_b64 s[68:69], vcc
	s_xor_b64 s[68:69], exec, s[68:69]
	s_cbranch_execz .LBB2_883
; %bb.882:                              ;   in Loop: Header=BB2_564 Depth=4
	v_ffbh_u32_e32 v7, v6
	v_bfe_u32 v3, v17, 18, 5
	v_min_u32_e32 v7, 32, v7
	v_subrev_u32_e32 v13, 29, v7
	v_sub_u32_e32 v7, 30, v7
	v_cmp_eq_u32_e32 vcc, 0, v3
	v_lshlrev_b64 v[14:15], v13, v[12:13]
	v_cndmask_b32_e32 v3, v3, v7, vcc
	v_lshlrev_b32_e32 v7, 24, v12
	v_bfrev_b32_e32 v12, 28
	v_and_b32_e32 v13, 3, v14
	v_lshl_add_u32 v3, v3, 23, v12
	v_cndmask_b32_e32 v6, v6, v13, vcc
	v_and_or_b32 v3, v7, s96, v3
	v_lshl_or_b32 v3, v6, 21, v3
                                        ; implicit-def: $vgpr6
                                        ; implicit-def: $vgpr12
.LBB2_883:                              ;   in Loop: Header=BB2_564 Depth=4
	s_andn2_saveexec_b64 s[68:69], s[68:69]
; %bb.884:                              ;   in Loop: Header=BB2_564 Depth=4
	v_mov_b32_e32 v3, -1
	v_cmp_gt_i16_sdwa vcc, sext(v12), v3 src0_sel:BYTE_0 src1_sel:DWORD
	v_mov_b32_e32 v3, 0xc7600000
	v_mov_b32_e32 v7, 0x47600000
	v_cndmask_b32_e32 v3, v3, v7, vcc
	v_cmp_eq_u32_e32 vcc, 0, v6
	v_mov_b32_e32 v6, 0x7f800001
	v_cndmask_b32_e32 v3, v6, v3, vcc
; %bb.885:                              ;   in Loop: Header=BB2_564 Depth=4
	s_or_b64 exec, exec, s[68:69]
.LBB2_886:                              ;   in Loop: Header=BB2_564 Depth=4
	s_or_b64 exec, exec, s[30:31]
.LBB2_887:                              ;   in Loop: Header=BB2_564 Depth=4
	s_or_b64 exec, exec, s[28:29]
	v_max_f32_e32 v3, v3, v3
	v_max_f32_e32 v0, v0, v0
	v_min_f32_e32 v3, v0, v3
.LBB2_888:                              ;   in Loop: Header=BB2_564 Depth=4
	v_and_b32_sdwa v0, v3, s97 dst_sel:DWORD dst_unused:UNUSED_PAD src0_sel:BYTE_3 src1_sel:DWORD
	v_and_b32_e32 v6, 0x7f800000, v3
	v_mov_b32_e32 v7, v51
	v_and_b32_e32 v50, 0x7fffff, v3
	v_or_b32_e32 v53, 0x7b, v0
	v_cmp_ne_u64_e32 vcc, s[52:53], v[6:7]
	s_and_saveexec_b64 s[28:29], vcc
	s_xor_b64 s[30:31], exec, s[28:29]
	s_cbranch_execz .LBB2_898
; %bb.889:                              ;   in Loop: Header=BB2_564 Depth=4
	v_and_b32_e32 v6, 0x7fffffff, v3
	v_mov_b32_e32 v7, v51
	v_cmp_gt_u64_e32 vcc, s[54:55], v[6:7]
	s_and_saveexec_b64 s[68:69], vcc
	s_cbranch_execz .LBB2_897
; %bb.890:                              ;   in Loop: Header=BB2_564 Depth=4
	v_cmp_ne_u32_e32 vcc, 0, v3
	v_mov_b32_e32 v53, 0
	s_and_saveexec_b64 s[70:71], vcc
	s_cbranch_execz .LBB2_896
; %bb.891:                              ;   in Loop: Header=BB2_564 Depth=4
	v_bfe_u32 v3, v3, 23, 8
	v_sub_u32_e32 v7, 0x71, v3
	v_cmp_gt_u32_e32 vcc, s38, v3
	v_add_u32_e32 v6, 0xffffff81, v3
	v_cndmask_b32_e32 v7, 0, v7, vcc
	v_cmp_eq_u32_e32 vcc, 0, v3
	v_mov_b32_e32 v3, 0xffffff82
	v_cndmask_b32_e32 v3, v6, v3, vcc
	v_mov_b32_e32 v6, 0x70
	v_cndmask_b32_e32 v30, v7, v6, vcc
	v_add_u32_e32 v6, 21, v30
	v_or_b32_e32 v12, 0x800000, v50
	v_lshlrev_b64 v[6:7], v6, -1
	v_cndmask_b32_e32 v50, v12, v50, vcc
	v_not_b32_e32 v6, v6
	v_and_b32_e32 v12, v50, v6
	v_add_u32_e32 v6, 20, v30
	v_lshrrev_b64 v[24:25], v30, v[50:51]
	v_not_b32_e32 v7, v7
	v_lshlrev_b64 v[14:15], v6, 1
	v_lshrrev_b32_e32 v6, 23, v24
	v_and_b32_e32 v13, 0, v7
	v_add3_u32 v7, v30, v3, v6
	v_bfe_u32 v3, v24, 21, 1
	v_add_u32_e32 v3, -1, v3
	v_cmp_eq_u64_e32 vcc, v[12:13], v[14:15]
	v_cndmask_b32_e32 v3, 0, v3, vcc
	v_add_u32_e32 v3, v3, v24
	v_and_b32_e32 v3, 0x1fffff, v3
	v_add_co_u32_e32 v12, vcc, v3, v24
	v_add_u32_e32 v6, 14, v7
	v_addc_co_u32_e32 v13, vcc, 0, v25, vcc
	v_cmp_ne_u32_e32 vcc, 0, v6
                                        ; implicit-def: $vgpr3
	s_and_saveexec_b64 s[28:29], vcc
	s_xor_b64 s[28:29], exec, s[28:29]
; %bb.892:                              ;   in Loop: Header=BB2_564 Depth=4
	v_add_u32_e32 v3, 15, v7
	v_cmp_lt_u64_e32 vcc, s[56:57], v[12:13]
	v_cndmask_b32_e32 v3, v6, v3, vcc
	v_cndmask_b32_e64 v6, 0, 1, vcc
	v_lshrrev_b64 v[12:13], v6, v[12:13]
; %bb.893:                              ;   in Loop: Header=BB2_564 Depth=4
	s_andn2_saveexec_b64 s[28:29], s[28:29]
; %bb.894:                              ;   in Loop: Header=BB2_564 Depth=4
	v_bfe_u32 v3, v12, 23, 1
; %bb.895:                              ;   in Loop: Header=BB2_564 Depth=4
	s_or_b64 exec, exec, s[28:29]
	v_lshrrev_b64 v[6:7], 21, v[12:13]
	v_cmp_gt_i32_e32 vcc, 32, v3
	v_cndmask_b32_e32 v7, 0, v7, vcc
	v_cndmask_b32_e32 v6, 3, v6, vcc
	v_cmp_eq_u32_e32 vcc, 0, v3
	v_min_i32_e32 v3, 31, v3
	v_cmp_eq_u64_e64 s[28:29], 0, v[6:7]
	v_lshlrev_b32_e32 v3, 2, v3
	v_and_or_b32 v3, v6, 3, v3
	s_and_b64 s[28:29], vcc, s[28:29]
	v_cndmask_b32_e64 v3, v3, 0, s[28:29]
	v_or_b32_e32 v53, v3, v0
.LBB2_896:                              ;   in Loop: Header=BB2_564 Depth=4
	s_or_b64 exec, exec, s[70:71]
.LBB2_897:                              ;   in Loop: Header=BB2_564 Depth=4
	s_or_b64 exec, exec, s[68:69]
                                        ; implicit-def: $vgpr3
.LBB2_898:                              ;   in Loop: Header=BB2_564 Depth=4
	s_andn2_saveexec_b64 s[28:29], s[30:31]
; %bb.899:                              ;   in Loop: Header=BB2_564 Depth=4
	v_or_b32_sdwa v0, v3, s39 dst_sel:DWORD dst_unused:UNUSED_PAD src0_sel:BYTE_3 src1_sel:DWORD
	v_cmp_eq_u64_e32 vcc, 0, v[50:51]
	v_cndmask_b32_e32 v53, v0, v53, vcc
; %bb.900:                              ;   in Loop: Header=BB2_564 Depth=4
	s_or_b64 exec, exec, s[28:29]
	v_lshrrev_b32_e32 v14, 24, v21
	v_lshrrev_b32_e32 v12, 24, v17
	v_cmp_lt_u64_e64 s[28:29], s[42:43], v[20:21]
	s_and_b64 vcc, exec, s[66:67]
	s_cbranch_vccz .LBB2_918
; %bb.901:                              ;   in Loop: Header=BB2_564 Depth=4
	v_mov_b32_e32 v3, 0
	v_mov_b32_e32 v0, 0
	s_and_saveexec_b64 s[30:31], s[28:29]
	s_cbranch_execz .LBB2_909
; %bb.902:                              ;   in Loop: Header=BB2_564 Depth=4
	v_cmp_ne_u32_e32 vcc, s97, v14
	v_bfrev_b32_e32 v0, 1
	s_and_saveexec_b64 s[68:69], vcc
	s_cbranch_execz .LBB2_908
; %bb.903:                              ;   in Loop: Header=BB2_564 Depth=4
	v_and_b32_e32 v0, 0x7c000000, v21
	v_bfe_u32 v6, v21, 24, 2
	v_cmp_ne_u32_e32 vcc, s37, v0
                                        ; implicit-def: $vgpr0
	s_and_saveexec_b64 s[70:71], vcc
	s_xor_b64 s[70:71], exec, s[70:71]
	s_cbranch_execz .LBB2_905
; %bb.904:                              ;   in Loop: Header=BB2_564 Depth=4
	v_ffbh_u32_e32 v7, v6
	v_bfe_u32 v0, v21, 26, 5
	v_min_u32_e32 v7, 32, v7
	v_subrev_u32_e32 v13, 29, v7
	v_sub_u32_e32 v7, 30, v7
	v_cmp_eq_u32_e32 vcc, 0, v0
	v_lshlrev_b64 v[24:25], v13, v[14:15]
	v_cndmask_b32_e32 v0, v0, v7, vcc
	v_bfrev_b32_e32 v7, 28
	v_and_b32_e32 v13, 3, v24
	v_lshl_add_u32 v0, v0, 23, v7
	v_cndmask_b32_e32 v6, v6, v13, vcc
	v_and_or_b32 v0, v21, s96, v0
	v_lshl_or_b32 v0, v6, 21, v0
                                        ; implicit-def: $vgpr6
.LBB2_905:                              ;   in Loop: Header=BB2_564 Depth=4
	s_andn2_saveexec_b64 s[70:71], s[70:71]
; %bb.906:                              ;   in Loop: Header=BB2_564 Depth=4
	v_cmp_lt_i64_e32 vcc, -1, v[20:21]
	v_mov_b32_e32 v0, 0xc7600000
	v_mov_b32_e32 v7, 0x47600000
	v_cndmask_b32_e32 v0, v0, v7, vcc
	v_cmp_eq_u32_e32 vcc, 0, v6
	v_mov_b32_e32 v6, 0x7f800001
	v_cndmask_b32_e32 v0, v6, v0, vcc
; %bb.907:                              ;   in Loop: Header=BB2_564 Depth=4
	s_or_b64 exec, exec, s[70:71]
.LBB2_908:                              ;   in Loop: Header=BB2_564 Depth=4
	s_or_b64 exec, exec, s[68:69]
.LBB2_909:                              ;   in Loop: Header=BB2_564 Depth=4
	s_or_b64 exec, exec, s[30:31]
	v_cmp_lt_u64_e32 vcc, s[42:43], v[16:17]
	s_and_saveexec_b64 s[30:31], vcc
	s_cbranch_execz .LBB2_917
; %bb.910:                              ;   in Loop: Header=BB2_564 Depth=4
	v_cmp_ne_u32_e32 vcc, s97, v12
	v_bfrev_b32_e32 v3, 1
	s_and_saveexec_b64 s[68:69], vcc
	s_cbranch_execz .LBB2_916
; %bb.911:                              ;   in Loop: Header=BB2_564 Depth=4
	v_and_b32_e32 v3, 0x7c000000, v17
	v_bfe_u32 v6, v17, 24, 2
	v_cmp_ne_u32_e32 vcc, s37, v3
                                        ; implicit-def: $vgpr3
	s_and_saveexec_b64 s[70:71], vcc
	s_xor_b64 s[70:71], exec, s[70:71]
	s_cbranch_execz .LBB2_913
; %bb.912:                              ;   in Loop: Header=BB2_564 Depth=4
	v_ffbh_u32_e32 v7, v6
	v_bfe_u32 v3, v17, 26, 5
	v_min_u32_e32 v7, 32, v7
	v_subrev_u32_e32 v13, 29, v7
	v_sub_u32_e32 v7, 30, v7
	v_cmp_eq_u32_e32 vcc, 0, v3
	v_lshlrev_b64 v[24:25], v13, v[12:13]
	v_cndmask_b32_e32 v3, v3, v7, vcc
	v_bfrev_b32_e32 v7, 28
	v_and_b32_e32 v13, 3, v24
	v_lshl_add_u32 v3, v3, 23, v7
	v_cndmask_b32_e32 v6, v6, v13, vcc
	v_and_or_b32 v3, v17, s96, v3
	v_lshl_or_b32 v3, v6, 21, v3
                                        ; implicit-def: $vgpr6
.LBB2_913:                              ;   in Loop: Header=BB2_564 Depth=4
	s_andn2_saveexec_b64 s[70:71], s[70:71]
; %bb.914:                              ;   in Loop: Header=BB2_564 Depth=4
	v_cmp_lt_i64_e32 vcc, -1, v[16:17]
	v_mov_b32_e32 v3, 0xc7600000
	v_mov_b32_e32 v7, 0x47600000
	v_cndmask_b32_e32 v3, v3, v7, vcc
	v_cmp_eq_u32_e32 vcc, 0, v6
	v_mov_b32_e32 v6, 0x7f800001
	v_cndmask_b32_e32 v3, v6, v3, vcc
; %bb.915:                              ;   in Loop: Header=BB2_564 Depth=4
	s_or_b64 exec, exec, s[70:71]
.LBB2_916:                              ;   in Loop: Header=BB2_564 Depth=4
	s_or_b64 exec, exec, s[68:69]
.LBB2_917:                              ;   in Loop: Header=BB2_564 Depth=4
	s_or_b64 exec, exec, s[30:31]
	v_max_f32_e32 v3, v3, v3
	v_max_f32_e32 v0, v0, v0
	v_max_f32_e32 v3, v0, v3
	s_branch .LBB2_936
.LBB2_918:                              ;   in Loop: Header=BB2_564 Depth=4
                                        ; implicit-def: $vgpr3
	s_cbranch_execz .LBB2_936
; %bb.919:                              ;   in Loop: Header=BB2_564 Depth=4
	v_mov_b32_e32 v3, 0
	v_mov_b32_e32 v0, 0
	s_and_saveexec_b64 s[30:31], s[28:29]
	s_cbranch_execz .LBB2_927
; %bb.920:                              ;   in Loop: Header=BB2_564 Depth=4
	v_cmp_ne_u32_e32 vcc, s97, v14
	v_bfrev_b32_e32 v0, 1
	s_and_saveexec_b64 s[28:29], vcc
	s_cbranch_execz .LBB2_926
; %bb.921:                              ;   in Loop: Header=BB2_564 Depth=4
	v_and_b32_e32 v0, 0x7c000000, v21
	v_bfe_u32 v6, v21, 24, 2
	v_cmp_ne_u32_e32 vcc, s37, v0
                                        ; implicit-def: $vgpr0
	s_and_saveexec_b64 s[68:69], vcc
	s_xor_b64 s[68:69], exec, s[68:69]
	s_cbranch_execz .LBB2_923
; %bb.922:                              ;   in Loop: Header=BB2_564 Depth=4
	v_ffbh_u32_e32 v7, v6
	v_bfe_u32 v0, v21, 26, 5
	v_min_u32_e32 v7, 32, v7
	v_subrev_u32_e32 v13, 29, v7
	v_sub_u32_e32 v7, 30, v7
	v_cmp_eq_u32_e32 vcc, 0, v0
	v_lshlrev_b64 v[14:15], v13, v[14:15]
	v_cndmask_b32_e32 v0, v0, v7, vcc
	v_bfrev_b32_e32 v7, 28
	v_and_b32_e32 v13, 3, v14
	v_lshl_add_u32 v0, v0, 23, v7
	v_cndmask_b32_e32 v6, v6, v13, vcc
	v_and_or_b32 v0, v21, s96, v0
	v_lshl_or_b32 v0, v6, 21, v0
                                        ; implicit-def: $vgpr6
.LBB2_923:                              ;   in Loop: Header=BB2_564 Depth=4
	s_andn2_saveexec_b64 s[68:69], s[68:69]
; %bb.924:                              ;   in Loop: Header=BB2_564 Depth=4
	v_cmp_lt_i64_e32 vcc, -1, v[20:21]
	v_mov_b32_e32 v0, 0xc7600000
	v_mov_b32_e32 v7, 0x47600000
	v_cndmask_b32_e32 v0, v0, v7, vcc
	v_cmp_eq_u32_e32 vcc, 0, v6
	v_mov_b32_e32 v6, 0x7f800001
	v_cndmask_b32_e32 v0, v6, v0, vcc
; %bb.925:                              ;   in Loop: Header=BB2_564 Depth=4
	s_or_b64 exec, exec, s[68:69]
.LBB2_926:                              ;   in Loop: Header=BB2_564 Depth=4
	s_or_b64 exec, exec, s[28:29]
.LBB2_927:                              ;   in Loop: Header=BB2_564 Depth=4
	s_or_b64 exec, exec, s[30:31]
	v_cmp_lt_u64_e32 vcc, s[42:43], v[16:17]
	s_and_saveexec_b64 s[28:29], vcc
	s_cbranch_execz .LBB2_935
; %bb.928:                              ;   in Loop: Header=BB2_564 Depth=4
	v_cmp_ne_u32_e32 vcc, s97, v12
	v_bfrev_b32_e32 v3, 1
	s_and_saveexec_b64 s[30:31], vcc
	s_cbranch_execz .LBB2_934
; %bb.929:                              ;   in Loop: Header=BB2_564 Depth=4
	v_and_b32_e32 v3, 0x7c000000, v17
	v_bfe_u32 v6, v17, 24, 2
	v_cmp_ne_u32_e32 vcc, s37, v3
                                        ; implicit-def: $vgpr3
	s_and_saveexec_b64 s[68:69], vcc
	s_xor_b64 s[68:69], exec, s[68:69]
	s_cbranch_execz .LBB2_931
; %bb.930:                              ;   in Loop: Header=BB2_564 Depth=4
	v_ffbh_u32_e32 v7, v6
	v_bfe_u32 v3, v17, 26, 5
	v_min_u32_e32 v7, 32, v7
	v_subrev_u32_e32 v13, 29, v7
	v_sub_u32_e32 v7, 30, v7
	v_cmp_eq_u32_e32 vcc, 0, v3
	v_lshlrev_b64 v[12:13], v13, v[12:13]
	v_cndmask_b32_e32 v3, v3, v7, vcc
	v_bfrev_b32_e32 v7, 28
	v_and_b32_e32 v12, 3, v12
	v_lshl_add_u32 v3, v3, 23, v7
	v_cndmask_b32_e32 v6, v6, v12, vcc
	v_and_or_b32 v3, v17, s96, v3
	v_lshl_or_b32 v3, v6, 21, v3
                                        ; implicit-def: $vgpr6
.LBB2_931:                              ;   in Loop: Header=BB2_564 Depth=4
	s_andn2_saveexec_b64 s[68:69], s[68:69]
; %bb.932:                              ;   in Loop: Header=BB2_564 Depth=4
	v_cmp_lt_i64_e32 vcc, -1, v[16:17]
	v_mov_b32_e32 v3, 0xc7600000
	v_mov_b32_e32 v7, 0x47600000
	v_cndmask_b32_e32 v3, v3, v7, vcc
	v_cmp_eq_u32_e32 vcc, 0, v6
	v_mov_b32_e32 v6, 0x7f800001
	v_cndmask_b32_e32 v3, v6, v3, vcc
; %bb.933:                              ;   in Loop: Header=BB2_564 Depth=4
	s_or_b64 exec, exec, s[68:69]
.LBB2_934:                              ;   in Loop: Header=BB2_564 Depth=4
	s_or_b64 exec, exec, s[30:31]
.LBB2_935:                              ;   in Loop: Header=BB2_564 Depth=4
	s_or_b64 exec, exec, s[28:29]
	v_max_f32_e32 v3, v3, v3
	v_max_f32_e32 v0, v0, v0
	v_min_f32_e32 v3, v0, v3
.LBB2_936:                              ;   in Loop: Header=BB2_564 Depth=4
	v_and_b32_sdwa v0, v3, s97 dst_sel:DWORD dst_unused:UNUSED_PAD src0_sel:BYTE_3 src1_sel:DWORD
	v_and_b32_e32 v6, 0x7f800000, v3
	v_mov_b32_e32 v7, v51
	v_and_b32_e32 v50, 0x7fffff, v3
	v_or_b32_e32 v20, 0x7b, v0
	v_cmp_ne_u64_e32 vcc, s[52:53], v[6:7]
	s_and_saveexec_b64 s[28:29], vcc
	s_xor_b64 s[30:31], exec, s[28:29]
	s_cbranch_execz .LBB2_964
; %bb.937:                              ;   in Loop: Header=BB2_564 Depth=4
	v_and_b32_e32 v6, 0x7fffffff, v3
	v_mov_b32_e32 v7, v51
	v_cmp_gt_u64_e32 vcc, s[54:55], v[6:7]
	s_and_saveexec_b64 s[68:69], vcc
	s_cbranch_execz .LBB2_945
; %bb.938:                              ;   in Loop: Header=BB2_564 Depth=4
	v_cmp_ne_u32_e32 vcc, 0, v3
	v_mov_b32_e32 v20, 0
	s_and_saveexec_b64 s[70:71], vcc
	s_cbranch_execz .LBB2_944
; %bb.939:                              ;   in Loop: Header=BB2_564 Depth=4
	v_bfe_u32 v3, v3, 23, 8
	v_sub_u32_e32 v7, 0x71, v3
	v_cmp_gt_u32_e32 vcc, s38, v3
	v_add_u32_e32 v6, 0xffffff81, v3
	v_cndmask_b32_e32 v7, 0, v7, vcc
	v_cmp_eq_u32_e32 vcc, 0, v3
	v_mov_b32_e32 v3, 0xffffff82
	v_cndmask_b32_e32 v3, v6, v3, vcc
	v_mov_b32_e32 v6, 0x70
	v_cndmask_b32_e32 v20, v7, v6, vcc
	v_add_u32_e32 v6, 21, v20
	v_or_b32_e32 v12, 0x800000, v50
	v_lshlrev_b64 v[6:7], v6, -1
	v_cndmask_b32_e32 v50, v12, v50, vcc
	v_not_b32_e32 v6, v6
	v_and_b32_e32 v12, v50, v6
	v_add_u32_e32 v6, 20, v20
	v_lshrrev_b64 v[16:17], v20, v[50:51]
	v_not_b32_e32 v7, v7
	v_lshlrev_b64 v[14:15], v6, 1
	v_lshrrev_b32_e32 v6, 23, v16
	v_and_b32_e32 v13, 0, v7
	v_add3_u32 v7, v20, v3, v6
	v_bfe_u32 v3, v16, 21, 1
	v_add_u32_e32 v3, -1, v3
	v_cmp_eq_u64_e32 vcc, v[12:13], v[14:15]
	v_cndmask_b32_e32 v3, 0, v3, vcc
	v_add_u32_e32 v3, v3, v16
	v_and_b32_e32 v3, 0x1fffff, v3
	v_add_co_u32_e32 v12, vcc, v3, v16
	v_add_u32_e32 v6, 14, v7
	v_addc_co_u32_e32 v13, vcc, 0, v17, vcc
	v_cmp_ne_u32_e32 vcc, 0, v6
                                        ; implicit-def: $vgpr3
	s_and_saveexec_b64 s[28:29], vcc
	s_xor_b64 s[28:29], exec, s[28:29]
; %bb.940:                              ;   in Loop: Header=BB2_564 Depth=4
	v_add_u32_e32 v3, 15, v7
	v_cmp_lt_u64_e32 vcc, s[56:57], v[12:13]
	v_cndmask_b32_e32 v3, v6, v3, vcc
	v_cndmask_b32_e64 v6, 0, 1, vcc
	v_lshrrev_b64 v[12:13], v6, v[12:13]
; %bb.941:                              ;   in Loop: Header=BB2_564 Depth=4
	s_andn2_saveexec_b64 s[28:29], s[28:29]
; %bb.942:                              ;   in Loop: Header=BB2_564 Depth=4
	v_bfe_u32 v3, v12, 23, 1
; %bb.943:                              ;   in Loop: Header=BB2_564 Depth=4
	s_or_b64 exec, exec, s[28:29]
	v_lshrrev_b64 v[6:7], 21, v[12:13]
	v_cmp_gt_i32_e32 vcc, 32, v3
	v_cndmask_b32_e32 v7, 0, v7, vcc
	v_cndmask_b32_e32 v6, 3, v6, vcc
	v_cmp_eq_u32_e32 vcc, 0, v3
	v_min_i32_e32 v3, 31, v3
	v_lshlrev_b32_e32 v3, 2, v3
	v_cmp_eq_u64_e64 s[28:29], 0, v[6:7]
	v_and_b32_e32 v3, 0xfc, v3
	v_and_or_b32 v3, v6, 3, v3
	s_and_b64 s[28:29], vcc, s[28:29]
	v_cndmask_b32_e64 v3, v3, 0, s[28:29]
	v_or_b32_e32 v20, v3, v0
.LBB2_944:                              ;   in Loop: Header=BB2_564 Depth=4
	s_or_b64 exec, exec, s[70:71]
.LBB2_945:                              ;   in Loop: Header=BB2_564 Depth=4
	s_or_b64 exec, exec, s[68:69]
                                        ; implicit-def: $vgpr3
	s_andn2_saveexec_b64 s[28:29], s[30:31]
	s_cbranch_execnz .LBB2_965
.LBB2_946:                              ;   in Loop: Header=BB2_564 Depth=4
	s_or_b64 exec, exec, s[28:29]
	v_cmp_ne_u16_sdwa s[28:29], v22, v51 src0_sel:BYTE_0 src1_sel:DWORD
	s_and_b64 vcc, exec, s[66:67]
	s_cbranch_vccz .LBB2_966
.LBB2_947:                              ;   in Loop: Header=BB2_564 Depth=4
	v_mov_b32_e32 v3, 0
	v_mov_b32_e32 v0, 0
	s_and_saveexec_b64 s[30:31], s[28:29]
	s_cbranch_execz .LBB2_955
; %bb.948:                              ;   in Loop: Header=BB2_564 Depth=4
	v_cmp_ne_u16_sdwa vcc, sext(v22), s94 src0_sel:BYTE_0 src1_sel:DWORD
	v_bfrev_b32_e32 v0, 1
	s_and_saveexec_b64 s[68:69], vcc
	s_cbranch_execz .LBB2_954
; %bb.949:                              ;   in Loop: Header=BB2_564 Depth=4
	v_and_b32_e32 v0, 0x7c, v22
	v_and_b32_e32 v6, 3, v22
	v_cmp_ne_u32_e32 vcc, s95, v0
                                        ; implicit-def: $vgpr0
	s_and_saveexec_b64 s[70:71], vcc
	s_xor_b64 s[70:71], exec, s[70:71]
	s_cbranch_execz .LBB2_951
; %bb.950:                              ;   in Loop: Header=BB2_564 Depth=4
	v_ffbh_u32_e32 v7, v6
	v_min_u32_e32 v7, 32, v7
	v_subrev_u32_e32 v12, 29, v7
	v_bfe_u32 v0, v22, 2, 5
	v_lshlrev_b64 v[12:13], v12, v[22:23]
	v_sub_u32_e32 v7, 30, v7
	v_and_b32_e32 v12, 3, v12
	v_cmp_eq_u32_e32 vcc, 0, v0
	v_cndmask_b32_e32 v0, v0, v7, vcc
	v_cndmask_b32_e32 v6, v6, v12, vcc
	v_bfrev_b32_e32 v12, 28
	v_lshlrev_b32_e32 v7, 24, v22
	v_lshl_add_u32 v0, v0, 23, v12
	v_and_or_b32 v0, v7, s96, v0
	v_lshl_or_b32 v0, v6, 21, v0
                                        ; implicit-def: $vgpr6
.LBB2_951:                              ;   in Loop: Header=BB2_564 Depth=4
	s_andn2_saveexec_b64 s[70:71], s[70:71]
; %bb.952:                              ;   in Loop: Header=BB2_564 Depth=4
	v_mov_b32_e32 v0, -1
	v_cmp_gt_i16_sdwa vcc, sext(v22), v0 src0_sel:BYTE_0 src1_sel:DWORD
	v_mov_b32_e32 v0, 0xc7600000
	v_mov_b32_e32 v7, 0x47600000
	v_cndmask_b32_e32 v0, v0, v7, vcc
	v_cmp_eq_u32_e32 vcc, 0, v6
	v_mov_b32_e32 v6, 0x7f800001
	v_cndmask_b32_e32 v0, v6, v0, vcc
; %bb.953:                              ;   in Loop: Header=BB2_564 Depth=4
	s_or_b64 exec, exec, s[70:71]
.LBB2_954:                              ;   in Loop: Header=BB2_564 Depth=4
	s_or_b64 exec, exec, s[68:69]
.LBB2_955:                              ;   in Loop: Header=BB2_564 Depth=4
	s_or_b64 exec, exec, s[30:31]
	v_cmp_ne_u16_sdwa vcc, sext(v18), v51 src0_sel:BYTE_0 src1_sel:DWORD
	s_and_saveexec_b64 s[30:31], vcc
	s_cbranch_execz .LBB2_963
; %bb.956:                              ;   in Loop: Header=BB2_564 Depth=4
	v_cmp_ne_u16_sdwa vcc, sext(v18), s94 src0_sel:BYTE_0 src1_sel:DWORD
	v_bfrev_b32_e32 v3, 1
	s_and_saveexec_b64 s[68:69], vcc
	s_cbranch_execz .LBB2_962
; %bb.957:                              ;   in Loop: Header=BB2_564 Depth=4
	v_and_b32_e32 v3, 0x7c, v18
	v_and_b32_e32 v6, 3, v18
	v_cmp_ne_u32_e32 vcc, s95, v3
                                        ; implicit-def: $vgpr3
	s_and_saveexec_b64 s[70:71], vcc
	s_xor_b64 s[70:71], exec, s[70:71]
	s_cbranch_execz .LBB2_959
; %bb.958:                              ;   in Loop: Header=BB2_564 Depth=4
	v_ffbh_u32_e32 v7, v6
	v_min_u32_e32 v7, 32, v7
	v_subrev_u32_e32 v12, 29, v7
	v_bfe_u32 v3, v18, 2, 5
	v_lshlrev_b64 v[12:13], v12, v[18:19]
	v_sub_u32_e32 v7, 30, v7
	v_and_b32_e32 v12, 3, v12
	v_cmp_eq_u32_e32 vcc, 0, v3
	v_cndmask_b32_e32 v3, v3, v7, vcc
	v_cndmask_b32_e32 v6, v6, v12, vcc
	v_bfrev_b32_e32 v12, 28
	v_lshlrev_b32_e32 v7, 24, v18
	v_lshl_add_u32 v3, v3, 23, v12
	v_and_or_b32 v3, v7, s96, v3
	v_lshl_or_b32 v3, v6, 21, v3
                                        ; implicit-def: $vgpr6
.LBB2_959:                              ;   in Loop: Header=BB2_564 Depth=4
	s_andn2_saveexec_b64 s[70:71], s[70:71]
; %bb.960:                              ;   in Loop: Header=BB2_564 Depth=4
	v_mov_b32_e32 v3, -1
	v_cmp_gt_i16_sdwa vcc, sext(v18), v3 src0_sel:BYTE_0 src1_sel:DWORD
	v_mov_b32_e32 v3, 0xc7600000
	v_mov_b32_e32 v7, 0x47600000
	v_cndmask_b32_e32 v3, v3, v7, vcc
	v_cmp_eq_u32_e32 vcc, 0, v6
	v_mov_b32_e32 v6, 0x7f800001
	v_cndmask_b32_e32 v3, v6, v3, vcc
; %bb.961:                              ;   in Loop: Header=BB2_564 Depth=4
	s_or_b64 exec, exec, s[70:71]
.LBB2_962:                              ;   in Loop: Header=BB2_564 Depth=4
	s_or_b64 exec, exec, s[68:69]
.LBB2_963:                              ;   in Loop: Header=BB2_564 Depth=4
	s_or_b64 exec, exec, s[30:31]
	v_max_f32_e32 v3, v3, v3
	v_max_f32_e32 v0, v0, v0
	;; [unrolled: 1-line block ×3, first 2 shown]
	s_branch .LBB2_984
.LBB2_964:                              ;   in Loop: Header=BB2_564 Depth=4
	s_andn2_saveexec_b64 s[28:29], s[30:31]
	s_cbranch_execz .LBB2_946
.LBB2_965:                              ;   in Loop: Header=BB2_564 Depth=4
	v_or_b32_sdwa v0, v3, s39 dst_sel:DWORD dst_unused:UNUSED_PAD src0_sel:BYTE_3 src1_sel:DWORD
	v_cmp_eq_u64_e32 vcc, 0, v[50:51]
	v_cndmask_b32_e32 v20, v0, v20, vcc
	s_or_b64 exec, exec, s[28:29]
	v_cmp_ne_u16_sdwa s[28:29], v22, v51 src0_sel:BYTE_0 src1_sel:DWORD
	s_and_b64 vcc, exec, s[66:67]
	s_cbranch_vccnz .LBB2_947
.LBB2_966:                              ;   in Loop: Header=BB2_564 Depth=4
                                        ; implicit-def: $vgpr3
	s_cbranch_execz .LBB2_984
; %bb.967:                              ;   in Loop: Header=BB2_564 Depth=4
	v_mov_b32_e32 v3, 0
	v_mov_b32_e32 v0, 0
	s_and_saveexec_b64 s[30:31], s[28:29]
	s_cbranch_execz .LBB2_975
; %bb.968:                              ;   in Loop: Header=BB2_564 Depth=4
	v_cmp_ne_u16_sdwa vcc, sext(v22), s94 src0_sel:BYTE_0 src1_sel:DWORD
	v_bfrev_b32_e32 v0, 1
	s_and_saveexec_b64 s[28:29], vcc
	s_cbranch_execz .LBB2_974
; %bb.969:                              ;   in Loop: Header=BB2_564 Depth=4
	v_and_b32_e32 v0, 0x7c, v22
	v_and_b32_e32 v6, 3, v22
	v_cmp_ne_u32_e32 vcc, s95, v0
                                        ; implicit-def: $vgpr0
	s_and_saveexec_b64 s[68:69], vcc
	s_xor_b64 s[68:69], exec, s[68:69]
	s_cbranch_execz .LBB2_971
; %bb.970:                              ;   in Loop: Header=BB2_564 Depth=4
	v_ffbh_u32_e32 v7, v6
	v_min_u32_e32 v7, 32, v7
	v_subrev_u32_e32 v12, 29, v7
	v_bfe_u32 v0, v22, 2, 5
	v_lshlrev_b64 v[12:13], v12, v[22:23]
	v_sub_u32_e32 v7, 30, v7
	v_and_b32_e32 v12, 3, v12
	v_cmp_eq_u32_e32 vcc, 0, v0
	v_cndmask_b32_e32 v0, v0, v7, vcc
	v_cndmask_b32_e32 v6, v6, v12, vcc
	v_bfrev_b32_e32 v12, 28
	v_lshlrev_b32_e32 v7, 24, v22
	v_lshl_add_u32 v0, v0, 23, v12
	v_and_or_b32 v0, v7, s96, v0
	v_lshl_or_b32 v0, v6, 21, v0
                                        ; implicit-def: $vgpr6
.LBB2_971:                              ;   in Loop: Header=BB2_564 Depth=4
	s_andn2_saveexec_b64 s[68:69], s[68:69]
; %bb.972:                              ;   in Loop: Header=BB2_564 Depth=4
	v_mov_b32_e32 v0, -1
	v_cmp_gt_i16_sdwa vcc, sext(v22), v0 src0_sel:BYTE_0 src1_sel:DWORD
	v_mov_b32_e32 v0, 0xc7600000
	v_mov_b32_e32 v7, 0x47600000
	v_cndmask_b32_e32 v0, v0, v7, vcc
	v_cmp_eq_u32_e32 vcc, 0, v6
	v_mov_b32_e32 v6, 0x7f800001
	v_cndmask_b32_e32 v0, v6, v0, vcc
; %bb.973:                              ;   in Loop: Header=BB2_564 Depth=4
	s_or_b64 exec, exec, s[68:69]
.LBB2_974:                              ;   in Loop: Header=BB2_564 Depth=4
	s_or_b64 exec, exec, s[28:29]
.LBB2_975:                              ;   in Loop: Header=BB2_564 Depth=4
	s_or_b64 exec, exec, s[30:31]
	v_cmp_ne_u16_sdwa vcc, sext(v18), v51 src0_sel:BYTE_0 src1_sel:DWORD
	s_and_saveexec_b64 s[28:29], vcc
	s_cbranch_execz .LBB2_983
; %bb.976:                              ;   in Loop: Header=BB2_564 Depth=4
	v_cmp_ne_u16_sdwa vcc, sext(v18), s94 src0_sel:BYTE_0 src1_sel:DWORD
	v_bfrev_b32_e32 v3, 1
	s_and_saveexec_b64 s[30:31], vcc
	s_cbranch_execz .LBB2_982
; %bb.977:                              ;   in Loop: Header=BB2_564 Depth=4
	v_and_b32_e32 v3, 0x7c, v18
	v_and_b32_e32 v6, 3, v18
	v_cmp_ne_u32_e32 vcc, s95, v3
                                        ; implicit-def: $vgpr3
	s_and_saveexec_b64 s[68:69], vcc
	s_xor_b64 s[68:69], exec, s[68:69]
	s_cbranch_execz .LBB2_979
; %bb.978:                              ;   in Loop: Header=BB2_564 Depth=4
	v_ffbh_u32_e32 v7, v6
	v_min_u32_e32 v7, 32, v7
	v_subrev_u32_e32 v12, 29, v7
	v_bfe_u32 v3, v18, 2, 5
	v_lshlrev_b64 v[12:13], v12, v[18:19]
	v_sub_u32_e32 v7, 30, v7
	v_and_b32_e32 v12, 3, v12
	v_cmp_eq_u32_e32 vcc, 0, v3
	v_cndmask_b32_e32 v3, v3, v7, vcc
	v_cndmask_b32_e32 v6, v6, v12, vcc
	v_bfrev_b32_e32 v12, 28
	v_lshlrev_b32_e32 v7, 24, v18
	v_lshl_add_u32 v3, v3, 23, v12
	v_and_or_b32 v3, v7, s96, v3
	v_lshl_or_b32 v3, v6, 21, v3
                                        ; implicit-def: $vgpr6
.LBB2_979:                              ;   in Loop: Header=BB2_564 Depth=4
	s_andn2_saveexec_b64 s[68:69], s[68:69]
; %bb.980:                              ;   in Loop: Header=BB2_564 Depth=4
	v_mov_b32_e32 v3, -1
	v_cmp_gt_i16_sdwa vcc, sext(v18), v3 src0_sel:BYTE_0 src1_sel:DWORD
	v_mov_b32_e32 v3, 0xc7600000
	v_mov_b32_e32 v7, 0x47600000
	v_cndmask_b32_e32 v3, v3, v7, vcc
	v_cmp_eq_u32_e32 vcc, 0, v6
	v_mov_b32_e32 v6, 0x7f800001
	v_cndmask_b32_e32 v3, v6, v3, vcc
; %bb.981:                              ;   in Loop: Header=BB2_564 Depth=4
	s_or_b64 exec, exec, s[68:69]
.LBB2_982:                              ;   in Loop: Header=BB2_564 Depth=4
	s_or_b64 exec, exec, s[30:31]
.LBB2_983:                              ;   in Loop: Header=BB2_564 Depth=4
	s_or_b64 exec, exec, s[28:29]
	v_max_f32_e32 v3, v3, v3
	v_max_f32_e32 v0, v0, v0
	v_min_f32_e32 v3, v0, v3
.LBB2_984:                              ;   in Loop: Header=BB2_564 Depth=4
	v_and_b32_sdwa v0, v3, s97 dst_sel:DWORD dst_unused:UNUSED_PAD src0_sel:BYTE_3 src1_sel:DWORD
	v_and_b32_e32 v6, 0x7f800000, v3
	v_mov_b32_e32 v7, v51
	v_and_b32_e32 v50, 0x7fffff, v3
	v_or_b32_e32 v21, 0x7b, v0
	v_cmp_ne_u64_e32 vcc, s[52:53], v[6:7]
	s_and_saveexec_b64 s[28:29], vcc
	s_xor_b64 s[30:31], exec, s[28:29]
	s_cbranch_execz .LBB2_994
; %bb.985:                              ;   in Loop: Header=BB2_564 Depth=4
	v_and_b32_e32 v6, 0x7fffffff, v3
	v_mov_b32_e32 v7, v51
	v_cmp_gt_u64_e32 vcc, s[54:55], v[6:7]
	s_and_saveexec_b64 s[68:69], vcc
	s_cbranch_execz .LBB2_993
; %bb.986:                              ;   in Loop: Header=BB2_564 Depth=4
	v_cmp_ne_u32_e32 vcc, 0, v3
	v_mov_b32_e32 v21, 0
	s_and_saveexec_b64 s[70:71], vcc
	s_cbranch_execz .LBB2_992
; %bb.987:                              ;   in Loop: Header=BB2_564 Depth=4
	v_bfe_u32 v3, v3, 23, 8
	v_sub_u32_e32 v7, 0x71, v3
	v_cmp_gt_u32_e32 vcc, s38, v3
	v_add_u32_e32 v6, 0xffffff81, v3
	v_cndmask_b32_e32 v7, 0, v7, vcc
	v_cmp_eq_u32_e32 vcc, 0, v3
	v_mov_b32_e32 v3, 0xffffff82
	v_cndmask_b32_e32 v3, v6, v3, vcc
	v_mov_b32_e32 v6, 0x70
	v_cndmask_b32_e32 v21, v7, v6, vcc
	v_add_u32_e32 v6, 21, v21
	v_or_b32_e32 v12, 0x800000, v50
	v_lshlrev_b64 v[6:7], v6, -1
	v_cndmask_b32_e32 v50, v12, v50, vcc
	v_not_b32_e32 v6, v6
	v_and_b32_e32 v12, v50, v6
	v_add_u32_e32 v6, 20, v21
	v_lshrrev_b64 v[16:17], v21, v[50:51]
	v_not_b32_e32 v7, v7
	v_lshlrev_b64 v[14:15], v6, 1
	v_lshrrev_b32_e32 v6, 23, v16
	v_and_b32_e32 v13, 0, v7
	v_add3_u32 v7, v21, v3, v6
	v_bfe_u32 v3, v16, 21, 1
	v_add_u32_e32 v3, -1, v3
	v_cmp_eq_u64_e32 vcc, v[12:13], v[14:15]
	v_cndmask_b32_e32 v3, 0, v3, vcc
	v_add_u32_e32 v3, v3, v16
	v_and_b32_e32 v3, 0x1fffff, v3
	v_add_co_u32_e32 v12, vcc, v3, v16
	v_add_u32_e32 v6, 14, v7
	v_addc_co_u32_e32 v13, vcc, 0, v17, vcc
	v_cmp_ne_u32_e32 vcc, 0, v6
                                        ; implicit-def: $vgpr3
	s_and_saveexec_b64 s[28:29], vcc
	s_xor_b64 s[28:29], exec, s[28:29]
; %bb.988:                              ;   in Loop: Header=BB2_564 Depth=4
	v_add_u32_e32 v3, 15, v7
	v_cmp_lt_u64_e32 vcc, s[56:57], v[12:13]
	v_cndmask_b32_e32 v3, v6, v3, vcc
	v_cndmask_b32_e64 v6, 0, 1, vcc
	v_lshrrev_b64 v[12:13], v6, v[12:13]
; %bb.989:                              ;   in Loop: Header=BB2_564 Depth=4
	s_andn2_saveexec_b64 s[28:29], s[28:29]
; %bb.990:                              ;   in Loop: Header=BB2_564 Depth=4
	v_bfe_u32 v3, v12, 23, 1
; %bb.991:                              ;   in Loop: Header=BB2_564 Depth=4
	s_or_b64 exec, exec, s[28:29]
	v_lshrrev_b64 v[6:7], 21, v[12:13]
	v_cmp_gt_i32_e32 vcc, 32, v3
	v_cndmask_b32_e32 v7, 0, v7, vcc
	v_cndmask_b32_e32 v6, 3, v6, vcc
	v_cmp_eq_u32_e32 vcc, 0, v3
	v_min_i32_e32 v3, 31, v3
	v_cmp_eq_u64_e64 s[28:29], 0, v[6:7]
	v_lshlrev_b32_e32 v3, 2, v3
	v_and_or_b32 v3, v6, 3, v3
	s_and_b64 s[28:29], vcc, s[28:29]
	v_cndmask_b32_e64 v3, v3, 0, s[28:29]
	v_or_b32_e32 v21, v3, v0
.LBB2_992:                              ;   in Loop: Header=BB2_564 Depth=4
	s_or_b64 exec, exec, s[70:71]
.LBB2_993:                              ;   in Loop: Header=BB2_564 Depth=4
	s_or_b64 exec, exec, s[68:69]
                                        ; implicit-def: $vgpr3
.LBB2_994:                              ;   in Loop: Header=BB2_564 Depth=4
	s_andn2_saveexec_b64 s[28:29], s[30:31]
; %bb.995:                              ;   in Loop: Header=BB2_564 Depth=4
	v_or_b32_sdwa v0, v3, s39 dst_sel:DWORD dst_unused:UNUSED_PAD src0_sel:BYTE_3 src1_sel:DWORD
	v_cmp_eq_u64_e32 vcc, 0, v[50:51]
	v_cndmask_b32_e32 v21, v0, v21, vcc
; %bb.996:                              ;   in Loop: Header=BB2_564 Depth=4
	s_or_b64 exec, exec, s[28:29]
	v_lshrrev_b16_e32 v50, 8, v22
	v_lshrrev_b16_e32 v12, 8, v18
	v_cmp_ne_u16_e64 s[28:29], 0, v50
	s_and_b64 vcc, exec, s[66:67]
	s_cbranch_vccz .LBB2_1014
; %bb.997:                              ;   in Loop: Header=BB2_564 Depth=4
	v_mov_b32_e32 v3, 0
	v_mov_b32_e32 v0, 0
	s_and_saveexec_b64 s[30:31], s[28:29]
	s_cbranch_execz .LBB2_1005
; %bb.998:                              ;   in Loop: Header=BB2_564 Depth=4
	v_cmp_ne_u16_e32 vcc, s97, v50
	v_bfrev_b32_e32 v0, 1
	s_and_saveexec_b64 s[68:69], vcc
	s_cbranch_execz .LBB2_1004
; %bb.999:                              ;   in Loop: Header=BB2_564 Depth=4
	v_and_b32_e32 v0, 0x7c, v50
	v_and_b32_e32 v6, 3, v50
	v_cmp_ne_u32_e32 vcc, s95, v0
                                        ; implicit-def: $vgpr0
	s_and_saveexec_b64 s[70:71], vcc
	s_xor_b64 s[70:71], exec, s[70:71]
	s_cbranch_execz .LBB2_1001
; %bb.1000:                             ;   in Loop: Header=BB2_564 Depth=4
	v_ffbh_u32_e32 v7, v6
	v_min_u32_e32 v7, 32, v7
	v_subrev_u32_e32 v13, 29, v7
	v_bfe_u32 v0, v50, 2, 5
	v_lshlrev_b64 v[14:15], v13, v[50:51]
	v_sub_u32_e32 v7, 30, v7
	v_and_b32_e32 v13, 3, v14
	v_cmp_eq_u32_e32 vcc, 0, v0
	v_cndmask_b32_e32 v0, v0, v7, vcc
	v_cndmask_b32_e32 v6, v6, v13, vcc
	v_bfrev_b32_e32 v13, 28
	v_lshlrev_b32_e32 v7, 16, v22
	v_lshl_add_u32 v0, v0, 23, v13
	v_and_or_b32 v0, v7, s96, v0
	v_lshl_or_b32 v0, v6, 21, v0
                                        ; implicit-def: $vgpr6
.LBB2_1001:                             ;   in Loop: Header=BB2_564 Depth=4
	s_andn2_saveexec_b64 s[70:71], s[70:71]
; %bb.1002:                             ;   in Loop: Header=BB2_564 Depth=4
	v_cmp_lt_i16_e32 vcc, -1, v22
	v_mov_b32_e32 v0, 0xc7600000
	v_mov_b32_e32 v7, 0x47600000
	v_cndmask_b32_e32 v0, v0, v7, vcc
	v_cmp_eq_u32_e32 vcc, 0, v6
	v_mov_b32_e32 v6, 0x7f800001
	v_cndmask_b32_e32 v0, v6, v0, vcc
; %bb.1003:                             ;   in Loop: Header=BB2_564 Depth=4
	s_or_b64 exec, exec, s[70:71]
.LBB2_1004:                             ;   in Loop: Header=BB2_564 Depth=4
	s_or_b64 exec, exec, s[68:69]
.LBB2_1005:                             ;   in Loop: Header=BB2_564 Depth=4
	s_or_b64 exec, exec, s[30:31]
	v_cmp_ne_u16_e32 vcc, 0, v12
	s_and_saveexec_b64 s[30:31], vcc
	s_cbranch_execz .LBB2_1013
; %bb.1006:                             ;   in Loop: Header=BB2_564 Depth=4
	v_cmp_ne_u16_e32 vcc, s97, v12
	v_bfrev_b32_e32 v3, 1
	s_and_saveexec_b64 s[68:69], vcc
	s_cbranch_execz .LBB2_1012
; %bb.1007:                             ;   in Loop: Header=BB2_564 Depth=4
	v_and_b32_e32 v3, 0x7c, v12
	v_and_b32_e32 v6, 3, v12
	v_cmp_ne_u32_e32 vcc, s95, v3
                                        ; implicit-def: $vgpr3
	s_and_saveexec_b64 s[70:71], vcc
	s_xor_b64 s[70:71], exec, s[70:71]
	s_cbranch_execz .LBB2_1009
; %bb.1008:                             ;   in Loop: Header=BB2_564 Depth=4
	v_ffbh_u32_e32 v7, v6
	v_min_u32_e32 v7, 32, v7
	v_mov_b32_e32 v13, v51
	v_subrev_u32_e32 v14, 29, v7
	v_bfe_u32 v3, v12, 2, 5
	v_lshlrev_b64 v[14:15], v14, v[12:13]
	v_sub_u32_e32 v7, 30, v7
	v_and_b32_e32 v13, 3, v14
	v_cmp_eq_u32_e32 vcc, 0, v3
	v_cndmask_b32_e32 v3, v3, v7, vcc
	v_cndmask_b32_e32 v6, v6, v13, vcc
	v_bfrev_b32_e32 v13, 28
	v_lshlrev_b32_e32 v7, 16, v18
	v_lshl_add_u32 v3, v3, 23, v13
	v_and_or_b32 v3, v7, s96, v3
	v_lshl_or_b32 v3, v6, 21, v3
                                        ; implicit-def: $vgpr6
.LBB2_1009:                             ;   in Loop: Header=BB2_564 Depth=4
	s_andn2_saveexec_b64 s[70:71], s[70:71]
; %bb.1010:                             ;   in Loop: Header=BB2_564 Depth=4
	v_cmp_lt_i16_e32 vcc, -1, v18
	v_mov_b32_e32 v3, 0xc7600000
	v_mov_b32_e32 v7, 0x47600000
	v_cndmask_b32_e32 v3, v3, v7, vcc
	v_cmp_eq_u32_e32 vcc, 0, v6
	v_mov_b32_e32 v6, 0x7f800001
	v_cndmask_b32_e32 v3, v6, v3, vcc
; %bb.1011:                             ;   in Loop: Header=BB2_564 Depth=4
	s_or_b64 exec, exec, s[70:71]
.LBB2_1012:                             ;   in Loop: Header=BB2_564 Depth=4
	s_or_b64 exec, exec, s[68:69]
.LBB2_1013:                             ;   in Loop: Header=BB2_564 Depth=4
	s_or_b64 exec, exec, s[30:31]
	v_max_f32_e32 v3, v3, v3
	v_max_f32_e32 v0, v0, v0
	;; [unrolled: 1-line block ×3, first 2 shown]
	s_branch .LBB2_1032
.LBB2_1014:                             ;   in Loop: Header=BB2_564 Depth=4
                                        ; implicit-def: $vgpr3
	s_cbranch_execz .LBB2_1032
; %bb.1015:                             ;   in Loop: Header=BB2_564 Depth=4
	v_mov_b32_e32 v3, 0
	v_mov_b32_e32 v0, 0
	s_and_saveexec_b64 s[30:31], s[28:29]
	s_cbranch_execz .LBB2_1023
; %bb.1016:                             ;   in Loop: Header=BB2_564 Depth=4
	v_cmp_ne_u16_e32 vcc, s97, v50
	v_bfrev_b32_e32 v0, 1
	s_and_saveexec_b64 s[28:29], vcc
	s_cbranch_execz .LBB2_1022
; %bb.1017:                             ;   in Loop: Header=BB2_564 Depth=4
	v_and_b32_e32 v0, 0x7c, v50
	v_and_b32_e32 v6, 3, v50
	v_cmp_ne_u32_e32 vcc, s95, v0
                                        ; implicit-def: $vgpr0
	s_and_saveexec_b64 s[68:69], vcc
	s_xor_b64 s[68:69], exec, s[68:69]
	s_cbranch_execz .LBB2_1019
; %bb.1018:                             ;   in Loop: Header=BB2_564 Depth=4
	v_ffbh_u32_e32 v7, v6
	v_min_u32_e32 v7, 32, v7
	v_subrev_u32_e32 v13, 29, v7
	v_bfe_u32 v0, v50, 2, 5
	v_lshlrev_b64 v[14:15], v13, v[50:51]
	v_sub_u32_e32 v7, 30, v7
	v_and_b32_e32 v13, 3, v14
	v_cmp_eq_u32_e32 vcc, 0, v0
	v_cndmask_b32_e32 v0, v0, v7, vcc
	v_cndmask_b32_e32 v6, v6, v13, vcc
	v_bfrev_b32_e32 v13, 28
	v_lshlrev_b32_e32 v7, 16, v22
	v_lshl_add_u32 v0, v0, 23, v13
	v_and_or_b32 v0, v7, s96, v0
	v_lshl_or_b32 v0, v6, 21, v0
                                        ; implicit-def: $vgpr6
.LBB2_1019:                             ;   in Loop: Header=BB2_564 Depth=4
	s_andn2_saveexec_b64 s[68:69], s[68:69]
; %bb.1020:                             ;   in Loop: Header=BB2_564 Depth=4
	v_cmp_lt_i16_e32 vcc, -1, v22
	v_mov_b32_e32 v0, 0xc7600000
	v_mov_b32_e32 v7, 0x47600000
	v_cndmask_b32_e32 v0, v0, v7, vcc
	v_cmp_eq_u32_e32 vcc, 0, v6
	v_mov_b32_e32 v6, 0x7f800001
	v_cndmask_b32_e32 v0, v6, v0, vcc
; %bb.1021:                             ;   in Loop: Header=BB2_564 Depth=4
	s_or_b64 exec, exec, s[68:69]
.LBB2_1022:                             ;   in Loop: Header=BB2_564 Depth=4
	s_or_b64 exec, exec, s[28:29]
.LBB2_1023:                             ;   in Loop: Header=BB2_564 Depth=4
	s_or_b64 exec, exec, s[30:31]
	v_cmp_ne_u16_e32 vcc, 0, v12
	s_and_saveexec_b64 s[28:29], vcc
	s_cbranch_execz .LBB2_1031
; %bb.1024:                             ;   in Loop: Header=BB2_564 Depth=4
	v_cmp_ne_u16_e32 vcc, s97, v12
	v_bfrev_b32_e32 v3, 1
	s_and_saveexec_b64 s[30:31], vcc
	s_cbranch_execz .LBB2_1030
; %bb.1025:                             ;   in Loop: Header=BB2_564 Depth=4
	v_and_b32_e32 v3, 0x7c, v12
	v_and_b32_e32 v6, 3, v12
	v_cmp_ne_u32_e32 vcc, s95, v3
                                        ; implicit-def: $vgpr3
	s_and_saveexec_b64 s[68:69], vcc
	s_xor_b64 s[68:69], exec, s[68:69]
	s_cbranch_execz .LBB2_1027
; %bb.1026:                             ;   in Loop: Header=BB2_564 Depth=4
	v_ffbh_u32_e32 v7, v6
	v_min_u32_e32 v7, 32, v7
	v_mov_b32_e32 v13, v51
	v_subrev_u32_e32 v14, 29, v7
	v_bfe_u32 v3, v12, 2, 5
	v_lshlrev_b64 v[12:13], v14, v[12:13]
	v_sub_u32_e32 v7, 30, v7
	v_and_b32_e32 v12, 3, v12
	v_cmp_eq_u32_e32 vcc, 0, v3
	v_cndmask_b32_e32 v3, v3, v7, vcc
	v_cndmask_b32_e32 v6, v6, v12, vcc
	v_bfrev_b32_e32 v12, 28
	v_lshlrev_b32_e32 v7, 16, v18
	v_lshl_add_u32 v3, v3, 23, v12
	v_and_or_b32 v3, v7, s96, v3
	v_lshl_or_b32 v3, v6, 21, v3
                                        ; implicit-def: $vgpr6
.LBB2_1027:                             ;   in Loop: Header=BB2_564 Depth=4
	s_andn2_saveexec_b64 s[68:69], s[68:69]
; %bb.1028:                             ;   in Loop: Header=BB2_564 Depth=4
	v_cmp_lt_i16_e32 vcc, -1, v18
	v_mov_b32_e32 v3, 0xc7600000
	v_mov_b32_e32 v7, 0x47600000
	v_cndmask_b32_e32 v3, v3, v7, vcc
	v_cmp_eq_u32_e32 vcc, 0, v6
	v_mov_b32_e32 v6, 0x7f800001
	v_cndmask_b32_e32 v3, v6, v3, vcc
; %bb.1029:                             ;   in Loop: Header=BB2_564 Depth=4
	s_or_b64 exec, exec, s[68:69]
.LBB2_1030:                             ;   in Loop: Header=BB2_564 Depth=4
	s_or_b64 exec, exec, s[30:31]
.LBB2_1031:                             ;   in Loop: Header=BB2_564 Depth=4
	s_or_b64 exec, exec, s[28:29]
	v_max_f32_e32 v3, v3, v3
	v_max_f32_e32 v0, v0, v0
	v_min_f32_e32 v3, v0, v3
.LBB2_1032:                             ;   in Loop: Header=BB2_564 Depth=4
	v_and_b32_sdwa v0, v3, s97 dst_sel:DWORD dst_unused:UNUSED_PAD src0_sel:BYTE_3 src1_sel:DWORD
	v_and_b32_e32 v6, 0x7f800000, v3
	v_mov_b32_e32 v7, v51
	v_and_b32_e32 v50, 0x7fffff, v3
	v_or_b32_e32 v45, 0x7b, v0
	v_cmp_ne_u64_e32 vcc, s[52:53], v[6:7]
	s_and_saveexec_b64 s[28:29], vcc
	s_xor_b64 s[30:31], exec, s[28:29]
	s_cbranch_execz .LBB2_1042
; %bb.1033:                             ;   in Loop: Header=BB2_564 Depth=4
	v_and_b32_e32 v6, 0x7fffffff, v3
	v_mov_b32_e32 v7, v51
	v_cmp_gt_u64_e32 vcc, s[54:55], v[6:7]
	s_and_saveexec_b64 s[68:69], vcc
	s_cbranch_execz .LBB2_1041
; %bb.1034:                             ;   in Loop: Header=BB2_564 Depth=4
	v_cmp_ne_u32_e32 vcc, 0, v3
	v_mov_b32_e32 v45, 0
	s_and_saveexec_b64 s[70:71], vcc
	s_cbranch_execz .LBB2_1040
; %bb.1035:                             ;   in Loop: Header=BB2_564 Depth=4
	v_bfe_u32 v3, v3, 23, 8
	v_sub_u32_e32 v7, 0x71, v3
	v_cmp_gt_u32_e32 vcc, s38, v3
	v_add_u32_e32 v6, 0xffffff81, v3
	v_cndmask_b32_e32 v7, 0, v7, vcc
	v_cmp_eq_u32_e32 vcc, 0, v3
	v_mov_b32_e32 v3, 0xffffff82
	v_cndmask_b32_e32 v3, v6, v3, vcc
	v_mov_b32_e32 v6, 0x70
	v_cndmask_b32_e32 v24, v7, v6, vcc
	v_add_u32_e32 v6, 21, v24
	v_or_b32_e32 v12, 0x800000, v50
	v_lshlrev_b64 v[6:7], v6, -1
	v_cndmask_b32_e32 v50, v12, v50, vcc
	v_not_b32_e32 v6, v6
	v_and_b32_e32 v12, v50, v6
	v_add_u32_e32 v6, 20, v24
	v_lshrrev_b64 v[16:17], v24, v[50:51]
	v_not_b32_e32 v7, v7
	v_lshlrev_b64 v[14:15], v6, 1
	v_lshrrev_b32_e32 v6, 23, v16
	v_and_b32_e32 v13, 0, v7
	v_add3_u32 v7, v24, v3, v6
	v_bfe_u32 v3, v16, 21, 1
	v_add_u32_e32 v3, -1, v3
	v_cmp_eq_u64_e32 vcc, v[12:13], v[14:15]
	v_cndmask_b32_e32 v3, 0, v3, vcc
	v_add_u32_e32 v3, v3, v16
	v_and_b32_e32 v3, 0x1fffff, v3
	v_add_co_u32_e32 v12, vcc, v3, v16
	v_add_u32_e32 v6, 14, v7
	v_addc_co_u32_e32 v13, vcc, 0, v17, vcc
	v_cmp_ne_u32_e32 vcc, 0, v6
                                        ; implicit-def: $vgpr3
	s_and_saveexec_b64 s[28:29], vcc
	s_xor_b64 s[28:29], exec, s[28:29]
; %bb.1036:                             ;   in Loop: Header=BB2_564 Depth=4
	v_add_u32_e32 v3, 15, v7
	v_cmp_lt_u64_e32 vcc, s[56:57], v[12:13]
	v_cndmask_b32_e32 v3, v6, v3, vcc
	v_cndmask_b32_e64 v6, 0, 1, vcc
	v_lshrrev_b64 v[12:13], v6, v[12:13]
; %bb.1037:                             ;   in Loop: Header=BB2_564 Depth=4
	s_andn2_saveexec_b64 s[28:29], s[28:29]
; %bb.1038:                             ;   in Loop: Header=BB2_564 Depth=4
	v_bfe_u32 v3, v12, 23, 1
; %bb.1039:                             ;   in Loop: Header=BB2_564 Depth=4
	s_or_b64 exec, exec, s[28:29]
	v_lshrrev_b64 v[6:7], 21, v[12:13]
	v_cmp_gt_i32_e32 vcc, 32, v3
	v_cndmask_b32_e32 v7, 0, v7, vcc
	v_cndmask_b32_e32 v6, 3, v6, vcc
	v_cmp_eq_u32_e32 vcc, 0, v3
	v_min_i32_e32 v3, 31, v3
	v_cmp_eq_u64_e64 s[28:29], 0, v[6:7]
	v_lshlrev_b32_e32 v3, 2, v3
	v_and_or_b32 v3, v6, 3, v3
	s_and_b64 s[28:29], vcc, s[28:29]
	v_cndmask_b32_e64 v3, v3, 0, s[28:29]
	v_or_b32_e32 v45, v3, v0
.LBB2_1040:                             ;   in Loop: Header=BB2_564 Depth=4
	s_or_b64 exec, exec, s[70:71]
.LBB2_1041:                             ;   in Loop: Header=BB2_564 Depth=4
	s_or_b64 exec, exec, s[68:69]
                                        ; implicit-def: $vgpr3
.LBB2_1042:                             ;   in Loop: Header=BB2_564 Depth=4
	s_andn2_saveexec_b64 s[28:29], s[30:31]
; %bb.1043:                             ;   in Loop: Header=BB2_564 Depth=4
	v_or_b32_sdwa v0, v3, s39 dst_sel:DWORD dst_unused:UNUSED_PAD src0_sel:BYTE_3 src1_sel:DWORD
	v_cmp_eq_u64_e32 vcc, 0, v[50:51]
	v_cndmask_b32_e32 v45, v0, v45, vcc
; %bb.1044:                             ;   in Loop: Header=BB2_564 Depth=4
	s_or_b64 exec, exec, s[28:29]
	v_lshrrev_b32_e32 v14, 16, v22
	v_lshrrev_b32_e32 v12, 16, v18
	v_cmp_ne_u16_sdwa s[28:29], v14, v51 src0_sel:BYTE_0 src1_sel:DWORD
	s_and_b64 vcc, exec, s[66:67]
	s_cbranch_vccz .LBB2_1062
; %bb.1045:                             ;   in Loop: Header=BB2_564 Depth=4
	v_mov_b32_e32 v3, 0
	v_mov_b32_e32 v0, 0
	s_and_saveexec_b64 s[30:31], s[28:29]
	s_cbranch_execz .LBB2_1053
; %bb.1046:                             ;   in Loop: Header=BB2_564 Depth=4
	v_cmp_ne_u16_sdwa vcc, v14, s97 src0_sel:BYTE_0 src1_sel:DWORD
	v_bfrev_b32_e32 v0, 1
	s_and_saveexec_b64 s[68:69], vcc
	s_cbranch_execz .LBB2_1052
; %bb.1047:                             ;   in Loop: Header=BB2_564 Depth=4
	v_and_b32_e32 v0, 0x7c0000, v22
	v_bfe_u32 v6, v22, 16, 2
	v_cmp_ne_u32_e32 vcc, s36, v0
                                        ; implicit-def: $vgpr0
	s_and_saveexec_b64 s[70:71], vcc
	s_xor_b64 s[70:71], exec, s[70:71]
	s_cbranch_execz .LBB2_1049
; %bb.1048:                             ;   in Loop: Header=BB2_564 Depth=4
	v_ffbh_u32_e32 v7, v6
	v_min_u32_e32 v7, 32, v7
	v_subrev_u32_e32 v13, 29, v7
	v_bfe_u32 v0, v22, 18, 5
	v_lshlrev_b64 v[16:17], v13, v[14:15]
	v_sub_u32_e32 v7, 30, v7
	v_and_b32_e32 v13, 3, v16
	v_cmp_eq_u32_e32 vcc, 0, v0
	v_cndmask_b32_e32 v0, v0, v7, vcc
	v_cndmask_b32_e32 v6, v6, v13, vcc
	v_bfrev_b32_e32 v13, 28
	v_lshlrev_b32_e32 v7, 24, v14
	v_lshl_add_u32 v0, v0, 23, v13
	v_and_or_b32 v0, v7, s96, v0
	v_lshl_or_b32 v0, v6, 21, v0
                                        ; implicit-def: $vgpr6
.LBB2_1049:                             ;   in Loop: Header=BB2_564 Depth=4
	s_andn2_saveexec_b64 s[70:71], s[70:71]
; %bb.1050:                             ;   in Loop: Header=BB2_564 Depth=4
	v_mov_b32_e32 v0, -1
	v_cmp_gt_i16_sdwa vcc, sext(v14), v0 src0_sel:BYTE_0 src1_sel:DWORD
	v_mov_b32_e32 v0, 0xc7600000
	v_mov_b32_e32 v7, 0x47600000
	v_cndmask_b32_e32 v0, v0, v7, vcc
	v_cmp_eq_u32_e32 vcc, 0, v6
	v_mov_b32_e32 v6, 0x7f800001
	v_cndmask_b32_e32 v0, v6, v0, vcc
; %bb.1051:                             ;   in Loop: Header=BB2_564 Depth=4
	s_or_b64 exec, exec, s[70:71]
.LBB2_1052:                             ;   in Loop: Header=BB2_564 Depth=4
	s_or_b64 exec, exec, s[68:69]
.LBB2_1053:                             ;   in Loop: Header=BB2_564 Depth=4
	s_or_b64 exec, exec, s[30:31]
	v_cmp_ne_u16_sdwa vcc, v12, v51 src0_sel:BYTE_0 src1_sel:DWORD
	s_and_saveexec_b64 s[30:31], vcc
	s_cbranch_execz .LBB2_1061
; %bb.1054:                             ;   in Loop: Header=BB2_564 Depth=4
	v_cmp_ne_u16_sdwa vcc, v12, s97 src0_sel:BYTE_0 src1_sel:DWORD
	v_bfrev_b32_e32 v3, 1
	s_and_saveexec_b64 s[68:69], vcc
	s_cbranch_execz .LBB2_1060
; %bb.1055:                             ;   in Loop: Header=BB2_564 Depth=4
	v_and_b32_e32 v3, 0x7c0000, v18
	v_bfe_u32 v6, v18, 16, 2
	v_cmp_ne_u32_e32 vcc, s36, v3
                                        ; implicit-def: $vgpr3
	s_and_saveexec_b64 s[70:71], vcc
	s_xor_b64 s[70:71], exec, s[70:71]
	s_cbranch_execz .LBB2_1057
; %bb.1056:                             ;   in Loop: Header=BB2_564 Depth=4
	v_ffbh_u32_e32 v7, v6
	v_min_u32_e32 v7, 32, v7
	v_subrev_u32_e32 v13, 29, v7
	v_bfe_u32 v3, v18, 18, 5
	v_lshlrev_b64 v[16:17], v13, v[12:13]
	v_sub_u32_e32 v7, 30, v7
	v_and_b32_e32 v13, 3, v16
	v_cmp_eq_u32_e32 vcc, 0, v3
	v_cndmask_b32_e32 v3, v3, v7, vcc
	v_cndmask_b32_e32 v6, v6, v13, vcc
	v_bfrev_b32_e32 v13, 28
	v_lshlrev_b32_e32 v7, 24, v12
	v_lshl_add_u32 v3, v3, 23, v13
	v_and_or_b32 v3, v7, s96, v3
	v_lshl_or_b32 v3, v6, 21, v3
                                        ; implicit-def: $vgpr6
.LBB2_1057:                             ;   in Loop: Header=BB2_564 Depth=4
	s_andn2_saveexec_b64 s[70:71], s[70:71]
; %bb.1058:                             ;   in Loop: Header=BB2_564 Depth=4
	v_mov_b32_e32 v3, -1
	v_cmp_gt_i16_sdwa vcc, sext(v12), v3 src0_sel:BYTE_0 src1_sel:DWORD
	v_mov_b32_e32 v3, 0xc7600000
	v_mov_b32_e32 v7, 0x47600000
	v_cndmask_b32_e32 v3, v3, v7, vcc
	v_cmp_eq_u32_e32 vcc, 0, v6
	v_mov_b32_e32 v6, 0x7f800001
	v_cndmask_b32_e32 v3, v6, v3, vcc
; %bb.1059:                             ;   in Loop: Header=BB2_564 Depth=4
	s_or_b64 exec, exec, s[70:71]
.LBB2_1060:                             ;   in Loop: Header=BB2_564 Depth=4
	s_or_b64 exec, exec, s[68:69]
.LBB2_1061:                             ;   in Loop: Header=BB2_564 Depth=4
	s_or_b64 exec, exec, s[30:31]
	v_max_f32_e32 v3, v3, v3
	v_max_f32_e32 v0, v0, v0
	;; [unrolled: 1-line block ×3, first 2 shown]
	s_branch .LBB2_1080
.LBB2_1062:                             ;   in Loop: Header=BB2_564 Depth=4
                                        ; implicit-def: $vgpr3
	s_cbranch_execz .LBB2_1080
; %bb.1063:                             ;   in Loop: Header=BB2_564 Depth=4
	v_mov_b32_e32 v3, 0
	v_mov_b32_e32 v0, 0
	s_and_saveexec_b64 s[30:31], s[28:29]
	s_cbranch_execz .LBB2_1071
; %bb.1064:                             ;   in Loop: Header=BB2_564 Depth=4
	v_cmp_ne_u16_sdwa vcc, v14, s97 src0_sel:BYTE_0 src1_sel:DWORD
	v_bfrev_b32_e32 v0, 1
	s_and_saveexec_b64 s[28:29], vcc
	s_cbranch_execz .LBB2_1070
; %bb.1065:                             ;   in Loop: Header=BB2_564 Depth=4
	v_and_b32_e32 v0, 0x7c0000, v22
	v_bfe_u32 v6, v22, 16, 2
	v_cmp_ne_u32_e32 vcc, s36, v0
                                        ; implicit-def: $vgpr0
	s_and_saveexec_b64 s[68:69], vcc
	s_xor_b64 s[68:69], exec, s[68:69]
	s_cbranch_execz .LBB2_1067
; %bb.1066:                             ;   in Loop: Header=BB2_564 Depth=4
	v_ffbh_u32_e32 v7, v6
	v_min_u32_e32 v7, 32, v7
	v_subrev_u32_e32 v13, 29, v7
	v_bfe_u32 v0, v22, 18, 5
	v_lshlrev_b64 v[16:17], v13, v[14:15]
	v_sub_u32_e32 v7, 30, v7
	v_and_b32_e32 v13, 3, v16
	v_cmp_eq_u32_e32 vcc, 0, v0
	v_cndmask_b32_e32 v0, v0, v7, vcc
	v_cndmask_b32_e32 v6, v6, v13, vcc
	v_bfrev_b32_e32 v13, 28
	v_lshlrev_b32_e32 v7, 24, v14
	v_lshl_add_u32 v0, v0, 23, v13
	v_and_or_b32 v0, v7, s96, v0
	v_lshl_or_b32 v0, v6, 21, v0
                                        ; implicit-def: $vgpr6
                                        ; implicit-def: $vgpr14
.LBB2_1067:                             ;   in Loop: Header=BB2_564 Depth=4
	s_andn2_saveexec_b64 s[68:69], s[68:69]
; %bb.1068:                             ;   in Loop: Header=BB2_564 Depth=4
	v_mov_b32_e32 v0, -1
	v_cmp_gt_i16_sdwa vcc, sext(v14), v0 src0_sel:BYTE_0 src1_sel:DWORD
	v_mov_b32_e32 v0, 0xc7600000
	v_mov_b32_e32 v7, 0x47600000
	v_cndmask_b32_e32 v0, v0, v7, vcc
	v_cmp_eq_u32_e32 vcc, 0, v6
	v_mov_b32_e32 v6, 0x7f800001
	v_cndmask_b32_e32 v0, v6, v0, vcc
; %bb.1069:                             ;   in Loop: Header=BB2_564 Depth=4
	s_or_b64 exec, exec, s[68:69]
.LBB2_1070:                             ;   in Loop: Header=BB2_564 Depth=4
	s_or_b64 exec, exec, s[28:29]
.LBB2_1071:                             ;   in Loop: Header=BB2_564 Depth=4
	s_or_b64 exec, exec, s[30:31]
	v_cmp_ne_u16_sdwa vcc, v12, v51 src0_sel:BYTE_0 src1_sel:DWORD
	s_and_saveexec_b64 s[28:29], vcc
	s_cbranch_execz .LBB2_1079
; %bb.1072:                             ;   in Loop: Header=BB2_564 Depth=4
	v_cmp_ne_u16_sdwa vcc, v12, s97 src0_sel:BYTE_0 src1_sel:DWORD
	v_bfrev_b32_e32 v3, 1
	s_and_saveexec_b64 s[30:31], vcc
	s_cbranch_execz .LBB2_1078
; %bb.1073:                             ;   in Loop: Header=BB2_564 Depth=4
	v_and_b32_e32 v3, 0x7c0000, v18
	v_bfe_u32 v6, v18, 16, 2
	v_cmp_ne_u32_e32 vcc, s36, v3
                                        ; implicit-def: $vgpr3
	s_and_saveexec_b64 s[68:69], vcc
	s_xor_b64 s[68:69], exec, s[68:69]
	s_cbranch_execz .LBB2_1075
; %bb.1074:                             ;   in Loop: Header=BB2_564 Depth=4
	v_ffbh_u32_e32 v7, v6
	v_bfe_u32 v3, v18, 18, 5
	v_min_u32_e32 v7, 32, v7
	v_subrev_u32_e32 v13, 29, v7
	v_sub_u32_e32 v7, 30, v7
	v_cmp_eq_u32_e32 vcc, 0, v3
	v_lshlrev_b64 v[14:15], v13, v[12:13]
	v_cndmask_b32_e32 v3, v3, v7, vcc
	v_lshlrev_b32_e32 v7, 24, v12
	v_bfrev_b32_e32 v12, 28
	v_and_b32_e32 v13, 3, v14
	v_lshl_add_u32 v3, v3, 23, v12
	v_cndmask_b32_e32 v6, v6, v13, vcc
	v_and_or_b32 v3, v7, s96, v3
	v_lshl_or_b32 v3, v6, 21, v3
                                        ; implicit-def: $vgpr6
                                        ; implicit-def: $vgpr12
.LBB2_1075:                             ;   in Loop: Header=BB2_564 Depth=4
	s_andn2_saveexec_b64 s[68:69], s[68:69]
; %bb.1076:                             ;   in Loop: Header=BB2_564 Depth=4
	v_mov_b32_e32 v3, -1
	v_cmp_gt_i16_sdwa vcc, sext(v12), v3 src0_sel:BYTE_0 src1_sel:DWORD
	v_mov_b32_e32 v3, 0xc7600000
	v_mov_b32_e32 v7, 0x47600000
	v_cndmask_b32_e32 v3, v3, v7, vcc
	v_cmp_eq_u32_e32 vcc, 0, v6
	v_mov_b32_e32 v6, 0x7f800001
	v_cndmask_b32_e32 v3, v6, v3, vcc
; %bb.1077:                             ;   in Loop: Header=BB2_564 Depth=4
	s_or_b64 exec, exec, s[68:69]
.LBB2_1078:                             ;   in Loop: Header=BB2_564 Depth=4
	s_or_b64 exec, exec, s[30:31]
.LBB2_1079:                             ;   in Loop: Header=BB2_564 Depth=4
	s_or_b64 exec, exec, s[28:29]
	v_max_f32_e32 v3, v3, v3
	v_max_f32_e32 v0, v0, v0
	v_min_f32_e32 v3, v0, v3
.LBB2_1080:                             ;   in Loop: Header=BB2_564 Depth=4
	v_and_b32_sdwa v0, v3, s97 dst_sel:DWORD dst_unused:UNUSED_PAD src0_sel:BYTE_3 src1_sel:DWORD
	v_and_b32_e32 v6, 0x7f800000, v3
	v_mov_b32_e32 v7, v51
	v_and_b32_e32 v50, 0x7fffff, v3
	v_or_b32_e32 v38, 0x7b, v0
	v_cmp_ne_u64_e32 vcc, s[52:53], v[6:7]
	s_and_saveexec_b64 s[28:29], vcc
	s_xor_b64 s[30:31], exec, s[28:29]
	s_cbranch_execz .LBB2_1090
; %bb.1081:                             ;   in Loop: Header=BB2_564 Depth=4
	v_and_b32_e32 v6, 0x7fffffff, v3
	v_mov_b32_e32 v7, v51
	v_cmp_gt_u64_e32 vcc, s[54:55], v[6:7]
	s_and_saveexec_b64 s[68:69], vcc
	s_cbranch_execz .LBB2_1089
; %bb.1082:                             ;   in Loop: Header=BB2_564 Depth=4
	v_cmp_ne_u32_e32 vcc, 0, v3
	v_mov_b32_e32 v38, 0
	s_and_saveexec_b64 s[70:71], vcc
	s_cbranch_execz .LBB2_1088
; %bb.1083:                             ;   in Loop: Header=BB2_564 Depth=4
	v_bfe_u32 v3, v3, 23, 8
	v_sub_u32_e32 v7, 0x71, v3
	v_cmp_gt_u32_e32 vcc, s38, v3
	v_add_u32_e32 v6, 0xffffff81, v3
	v_cndmask_b32_e32 v7, 0, v7, vcc
	v_cmp_eq_u32_e32 vcc, 0, v3
	v_mov_b32_e32 v3, 0xffffff82
	v_cndmask_b32_e32 v3, v6, v3, vcc
	v_mov_b32_e32 v6, 0x70
	v_cndmask_b32_e32 v24, v7, v6, vcc
	v_add_u32_e32 v6, 21, v24
	v_or_b32_e32 v12, 0x800000, v50
	v_lshlrev_b64 v[6:7], v6, -1
	v_cndmask_b32_e32 v50, v12, v50, vcc
	v_not_b32_e32 v6, v6
	v_and_b32_e32 v12, v50, v6
	v_add_u32_e32 v6, 20, v24
	v_lshrrev_b64 v[16:17], v24, v[50:51]
	v_not_b32_e32 v7, v7
	v_lshlrev_b64 v[14:15], v6, 1
	v_lshrrev_b32_e32 v6, 23, v16
	v_and_b32_e32 v13, 0, v7
	v_add3_u32 v7, v24, v3, v6
	v_bfe_u32 v3, v16, 21, 1
	v_add_u32_e32 v3, -1, v3
	v_cmp_eq_u64_e32 vcc, v[12:13], v[14:15]
	v_cndmask_b32_e32 v3, 0, v3, vcc
	v_add_u32_e32 v3, v3, v16
	v_and_b32_e32 v3, 0x1fffff, v3
	v_add_co_u32_e32 v12, vcc, v3, v16
	v_add_u32_e32 v6, 14, v7
	v_addc_co_u32_e32 v13, vcc, 0, v17, vcc
	v_cmp_ne_u32_e32 vcc, 0, v6
                                        ; implicit-def: $vgpr3
	s_and_saveexec_b64 s[28:29], vcc
	s_xor_b64 s[28:29], exec, s[28:29]
; %bb.1084:                             ;   in Loop: Header=BB2_564 Depth=4
	v_add_u32_e32 v3, 15, v7
	v_cmp_lt_u64_e32 vcc, s[56:57], v[12:13]
	v_cndmask_b32_e32 v3, v6, v3, vcc
	v_cndmask_b32_e64 v6, 0, 1, vcc
	v_lshrrev_b64 v[12:13], v6, v[12:13]
; %bb.1085:                             ;   in Loop: Header=BB2_564 Depth=4
	s_andn2_saveexec_b64 s[28:29], s[28:29]
; %bb.1086:                             ;   in Loop: Header=BB2_564 Depth=4
	v_bfe_u32 v3, v12, 23, 1
; %bb.1087:                             ;   in Loop: Header=BB2_564 Depth=4
	s_or_b64 exec, exec, s[28:29]
	v_lshrrev_b64 v[6:7], 21, v[12:13]
	v_cmp_gt_i32_e32 vcc, 32, v3
	v_cndmask_b32_e32 v7, 0, v7, vcc
	v_cndmask_b32_e32 v6, 3, v6, vcc
	v_cmp_eq_u32_e32 vcc, 0, v3
	v_min_i32_e32 v3, 31, v3
	v_cmp_eq_u64_e64 s[28:29], 0, v[6:7]
	v_lshlrev_b32_e32 v3, 2, v3
	v_and_or_b32 v3, v6, 3, v3
	s_and_b64 s[28:29], vcc, s[28:29]
	v_cndmask_b32_e64 v3, v3, 0, s[28:29]
	v_or_b32_e32 v38, v3, v0
.LBB2_1088:                             ;   in Loop: Header=BB2_564 Depth=4
	s_or_b64 exec, exec, s[70:71]
.LBB2_1089:                             ;   in Loop: Header=BB2_564 Depth=4
	s_or_b64 exec, exec, s[68:69]
                                        ; implicit-def: $vgpr3
.LBB2_1090:                             ;   in Loop: Header=BB2_564 Depth=4
	s_andn2_saveexec_b64 s[28:29], s[30:31]
; %bb.1091:                             ;   in Loop: Header=BB2_564 Depth=4
	v_or_b32_sdwa v0, v3, s39 dst_sel:DWORD dst_unused:UNUSED_PAD src0_sel:BYTE_3 src1_sel:DWORD
	v_cmp_eq_u64_e32 vcc, 0, v[50:51]
	v_cndmask_b32_e32 v38, v0, v38, vcc
; %bb.1092:                             ;   in Loop: Header=BB2_564 Depth=4
	s_or_b64 exec, exec, s[28:29]
	v_lshrrev_b32_e32 v14, 24, v22
	v_lshrrev_b32_e32 v12, 24, v18
	v_cmp_lt_u32_e64 s[28:29], s43, v22
	s_and_b64 vcc, exec, s[66:67]
	s_cbranch_vccz .LBB2_1110
; %bb.1093:                             ;   in Loop: Header=BB2_564 Depth=4
	v_mov_b32_e32 v3, 0
	v_mov_b32_e32 v0, 0
	s_and_saveexec_b64 s[30:31], s[28:29]
	s_cbranch_execz .LBB2_1101
; %bb.1094:                             ;   in Loop: Header=BB2_564 Depth=4
	v_cmp_ne_u32_e32 vcc, s97, v14
	v_bfrev_b32_e32 v0, 1
	s_and_saveexec_b64 s[68:69], vcc
	s_cbranch_execz .LBB2_1100
; %bb.1095:                             ;   in Loop: Header=BB2_564 Depth=4
	v_and_b32_e32 v0, 0x7c000000, v22
	v_bfe_u32 v6, v22, 24, 2
	v_cmp_ne_u32_e32 vcc, s37, v0
                                        ; implicit-def: $vgpr0
	s_and_saveexec_b64 s[70:71], vcc
	s_xor_b64 s[70:71], exec, s[70:71]
	s_cbranch_execz .LBB2_1097
; %bb.1096:                             ;   in Loop: Header=BB2_564 Depth=4
	v_ffbh_u32_e32 v7, v6
	v_bfe_u32 v0, v22, 26, 5
	v_min_u32_e32 v7, 32, v7
	v_subrev_u32_e32 v13, 29, v7
	v_sub_u32_e32 v7, 30, v7
	v_cmp_eq_u32_e32 vcc, 0, v0
	v_lshlrev_b64 v[16:17], v13, v[14:15]
	v_cndmask_b32_e32 v0, v0, v7, vcc
	v_bfrev_b32_e32 v7, 28
	v_and_b32_e32 v13, 3, v16
	v_lshl_add_u32 v0, v0, 23, v7
	v_cndmask_b32_e32 v6, v6, v13, vcc
	v_and_or_b32 v0, v22, s96, v0
	v_lshl_or_b32 v0, v6, 21, v0
                                        ; implicit-def: $vgpr6
.LBB2_1097:                             ;   in Loop: Header=BB2_564 Depth=4
	s_andn2_saveexec_b64 s[70:71], s[70:71]
; %bb.1098:                             ;   in Loop: Header=BB2_564 Depth=4
	v_cmp_lt_i32_e32 vcc, -1, v22
	v_mov_b32_e32 v0, 0xc7600000
	v_mov_b32_e32 v7, 0x47600000
	v_cndmask_b32_e32 v0, v0, v7, vcc
	v_cmp_eq_u32_e32 vcc, 0, v6
	v_mov_b32_e32 v6, 0x7f800001
	v_cndmask_b32_e32 v0, v6, v0, vcc
; %bb.1099:                             ;   in Loop: Header=BB2_564 Depth=4
	s_or_b64 exec, exec, s[70:71]
.LBB2_1100:                             ;   in Loop: Header=BB2_564 Depth=4
	s_or_b64 exec, exec, s[68:69]
.LBB2_1101:                             ;   in Loop: Header=BB2_564 Depth=4
	s_or_b64 exec, exec, s[30:31]
	v_cmp_lt_u32_e32 vcc, s43, v18
	s_and_saveexec_b64 s[30:31], vcc
	s_cbranch_execz .LBB2_1109
; %bb.1102:                             ;   in Loop: Header=BB2_564 Depth=4
	v_cmp_ne_u32_e32 vcc, s97, v12
	v_bfrev_b32_e32 v3, 1
	s_and_saveexec_b64 s[68:69], vcc
	s_cbranch_execz .LBB2_1108
; %bb.1103:                             ;   in Loop: Header=BB2_564 Depth=4
	v_and_b32_e32 v3, 0x7c000000, v18
	v_bfe_u32 v6, v18, 24, 2
	v_cmp_ne_u32_e32 vcc, s37, v3
                                        ; implicit-def: $vgpr3
	s_and_saveexec_b64 s[70:71], vcc
	s_xor_b64 s[70:71], exec, s[70:71]
	s_cbranch_execz .LBB2_1105
; %bb.1104:                             ;   in Loop: Header=BB2_564 Depth=4
	v_ffbh_u32_e32 v7, v6
	v_bfe_u32 v3, v18, 26, 5
	v_min_u32_e32 v7, 32, v7
	v_subrev_u32_e32 v13, 29, v7
	v_sub_u32_e32 v7, 30, v7
	v_cmp_eq_u32_e32 vcc, 0, v3
	v_lshlrev_b64 v[16:17], v13, v[12:13]
	v_cndmask_b32_e32 v3, v3, v7, vcc
	v_bfrev_b32_e32 v7, 28
	v_and_b32_e32 v13, 3, v16
	v_lshl_add_u32 v3, v3, 23, v7
	v_cndmask_b32_e32 v6, v6, v13, vcc
	v_and_or_b32 v3, v18, s96, v3
	v_lshl_or_b32 v3, v6, 21, v3
                                        ; implicit-def: $vgpr6
.LBB2_1105:                             ;   in Loop: Header=BB2_564 Depth=4
	s_andn2_saveexec_b64 s[70:71], s[70:71]
; %bb.1106:                             ;   in Loop: Header=BB2_564 Depth=4
	v_cmp_lt_i32_e32 vcc, -1, v18
	v_mov_b32_e32 v3, 0xc7600000
	v_mov_b32_e32 v7, 0x47600000
	v_cndmask_b32_e32 v3, v3, v7, vcc
	v_cmp_eq_u32_e32 vcc, 0, v6
	v_mov_b32_e32 v6, 0x7f800001
	v_cndmask_b32_e32 v3, v6, v3, vcc
; %bb.1107:                             ;   in Loop: Header=BB2_564 Depth=4
	s_or_b64 exec, exec, s[70:71]
.LBB2_1108:                             ;   in Loop: Header=BB2_564 Depth=4
	s_or_b64 exec, exec, s[68:69]
.LBB2_1109:                             ;   in Loop: Header=BB2_564 Depth=4
	s_or_b64 exec, exec, s[30:31]
	v_max_f32_e32 v3, v3, v3
	v_max_f32_e32 v0, v0, v0
	;; [unrolled: 1-line block ×3, first 2 shown]
	s_branch .LBB2_1128
.LBB2_1110:                             ;   in Loop: Header=BB2_564 Depth=4
                                        ; implicit-def: $vgpr3
	s_cbranch_execz .LBB2_1128
; %bb.1111:                             ;   in Loop: Header=BB2_564 Depth=4
	v_mov_b32_e32 v3, 0
	v_mov_b32_e32 v0, 0
	s_and_saveexec_b64 s[30:31], s[28:29]
	s_cbranch_execz .LBB2_1119
; %bb.1112:                             ;   in Loop: Header=BB2_564 Depth=4
	v_cmp_ne_u32_e32 vcc, s97, v14
	v_bfrev_b32_e32 v0, 1
	s_and_saveexec_b64 s[28:29], vcc
	s_cbranch_execz .LBB2_1118
; %bb.1113:                             ;   in Loop: Header=BB2_564 Depth=4
	v_and_b32_e32 v0, 0x7c000000, v22
	v_bfe_u32 v6, v22, 24, 2
	v_cmp_ne_u32_e32 vcc, s37, v0
                                        ; implicit-def: $vgpr0
	s_and_saveexec_b64 s[68:69], vcc
	s_xor_b64 s[68:69], exec, s[68:69]
	s_cbranch_execz .LBB2_1115
; %bb.1114:                             ;   in Loop: Header=BB2_564 Depth=4
	v_ffbh_u32_e32 v7, v6
	v_bfe_u32 v0, v22, 26, 5
	v_min_u32_e32 v7, 32, v7
	v_subrev_u32_e32 v13, 29, v7
	v_sub_u32_e32 v7, 30, v7
	v_cmp_eq_u32_e32 vcc, 0, v0
	v_lshlrev_b64 v[14:15], v13, v[14:15]
	v_cndmask_b32_e32 v0, v0, v7, vcc
	v_bfrev_b32_e32 v7, 28
	v_and_b32_e32 v13, 3, v14
	v_lshl_add_u32 v0, v0, 23, v7
	v_cndmask_b32_e32 v6, v6, v13, vcc
	v_and_or_b32 v0, v22, s96, v0
	v_lshl_or_b32 v0, v6, 21, v0
                                        ; implicit-def: $vgpr6
.LBB2_1115:                             ;   in Loop: Header=BB2_564 Depth=4
	s_andn2_saveexec_b64 s[68:69], s[68:69]
; %bb.1116:                             ;   in Loop: Header=BB2_564 Depth=4
	v_cmp_lt_i32_e32 vcc, -1, v22
	v_mov_b32_e32 v0, 0xc7600000
	v_mov_b32_e32 v7, 0x47600000
	v_cndmask_b32_e32 v0, v0, v7, vcc
	v_cmp_eq_u32_e32 vcc, 0, v6
	v_mov_b32_e32 v6, 0x7f800001
	v_cndmask_b32_e32 v0, v6, v0, vcc
; %bb.1117:                             ;   in Loop: Header=BB2_564 Depth=4
	s_or_b64 exec, exec, s[68:69]
.LBB2_1118:                             ;   in Loop: Header=BB2_564 Depth=4
	s_or_b64 exec, exec, s[28:29]
.LBB2_1119:                             ;   in Loop: Header=BB2_564 Depth=4
	s_or_b64 exec, exec, s[30:31]
	v_cmp_lt_u32_e32 vcc, s43, v18
	s_and_saveexec_b64 s[28:29], vcc
	s_cbranch_execz .LBB2_1127
; %bb.1120:                             ;   in Loop: Header=BB2_564 Depth=4
	v_cmp_ne_u32_e32 vcc, s97, v12
	v_bfrev_b32_e32 v3, 1
	s_and_saveexec_b64 s[30:31], vcc
	s_cbranch_execz .LBB2_1126
; %bb.1121:                             ;   in Loop: Header=BB2_564 Depth=4
	v_and_b32_e32 v3, 0x7c000000, v18
	v_bfe_u32 v6, v18, 24, 2
	v_cmp_ne_u32_e32 vcc, s37, v3
                                        ; implicit-def: $vgpr3
	s_and_saveexec_b64 s[68:69], vcc
	s_xor_b64 s[68:69], exec, s[68:69]
	s_cbranch_execz .LBB2_1123
; %bb.1122:                             ;   in Loop: Header=BB2_564 Depth=4
	v_ffbh_u32_e32 v7, v6
	v_bfe_u32 v3, v18, 26, 5
	v_min_u32_e32 v7, 32, v7
	v_subrev_u32_e32 v13, 29, v7
	v_sub_u32_e32 v7, 30, v7
	v_cmp_eq_u32_e32 vcc, 0, v3
	v_lshlrev_b64 v[12:13], v13, v[12:13]
	v_cndmask_b32_e32 v3, v3, v7, vcc
	v_bfrev_b32_e32 v7, 28
	v_and_b32_e32 v12, 3, v12
	v_lshl_add_u32 v3, v3, 23, v7
	v_cndmask_b32_e32 v6, v6, v12, vcc
	v_and_or_b32 v3, v18, s96, v3
	v_lshl_or_b32 v3, v6, 21, v3
                                        ; implicit-def: $vgpr6
.LBB2_1123:                             ;   in Loop: Header=BB2_564 Depth=4
	s_andn2_saveexec_b64 s[68:69], s[68:69]
; %bb.1124:                             ;   in Loop: Header=BB2_564 Depth=4
	v_cmp_lt_i32_e32 vcc, -1, v18
	v_mov_b32_e32 v3, 0xc7600000
	v_mov_b32_e32 v7, 0x47600000
	v_cndmask_b32_e32 v3, v3, v7, vcc
	v_cmp_eq_u32_e32 vcc, 0, v6
	v_mov_b32_e32 v6, 0x7f800001
	v_cndmask_b32_e32 v3, v6, v3, vcc
; %bb.1125:                             ;   in Loop: Header=BB2_564 Depth=4
	s_or_b64 exec, exec, s[68:69]
.LBB2_1126:                             ;   in Loop: Header=BB2_564 Depth=4
	s_or_b64 exec, exec, s[30:31]
.LBB2_1127:                             ;   in Loop: Header=BB2_564 Depth=4
	s_or_b64 exec, exec, s[28:29]
	v_max_f32_e32 v3, v3, v3
	v_max_f32_e32 v0, v0, v0
	v_min_f32_e32 v3, v0, v3
.LBB2_1128:                             ;   in Loop: Header=BB2_564 Depth=4
	v_and_b32_sdwa v0, v3, s97 dst_sel:DWORD dst_unused:UNUSED_PAD src0_sel:BYTE_3 src1_sel:DWORD
	v_and_b32_e32 v6, 0x7f800000, v3
	v_mov_b32_e32 v7, v51
	v_and_b32_e32 v50, 0x7fffff, v3
	v_or_b32_e32 v39, 0x7b, v0
	v_cmp_ne_u64_e32 vcc, s[52:53], v[6:7]
	s_and_saveexec_b64 s[28:29], vcc
	s_xor_b64 s[30:31], exec, s[28:29]
	s_cbranch_execz .LBB2_1138
; %bb.1129:                             ;   in Loop: Header=BB2_564 Depth=4
	v_and_b32_e32 v6, 0x7fffffff, v3
	v_mov_b32_e32 v7, v51
	v_cmp_gt_u64_e32 vcc, s[54:55], v[6:7]
	s_and_saveexec_b64 s[68:69], vcc
	s_cbranch_execz .LBB2_1137
; %bb.1130:                             ;   in Loop: Header=BB2_564 Depth=4
	v_cmp_ne_u32_e32 vcc, 0, v3
	v_mov_b32_e32 v39, 0
	s_and_saveexec_b64 s[70:71], vcc
	s_cbranch_execz .LBB2_1136
; %bb.1131:                             ;   in Loop: Header=BB2_564 Depth=4
	v_bfe_u32 v3, v3, 23, 8
	v_sub_u32_e32 v7, 0x71, v3
	v_cmp_gt_u32_e32 vcc, s38, v3
	v_add_u32_e32 v6, 0xffffff81, v3
	v_cndmask_b32_e32 v7, 0, v7, vcc
	v_cmp_eq_u32_e32 vcc, 0, v3
	v_mov_b32_e32 v3, 0xffffff82
	v_cndmask_b32_e32 v3, v6, v3, vcc
	v_mov_b32_e32 v6, 0x70
	v_cndmask_b32_e32 v24, v7, v6, vcc
	v_add_u32_e32 v6, 21, v24
	v_or_b32_e32 v12, 0x800000, v50
	v_lshlrev_b64 v[6:7], v6, -1
	v_cndmask_b32_e32 v50, v12, v50, vcc
	v_not_b32_e32 v6, v6
	v_and_b32_e32 v12, v50, v6
	v_add_u32_e32 v6, 20, v24
	v_lshrrev_b64 v[16:17], v24, v[50:51]
	v_not_b32_e32 v7, v7
	v_lshlrev_b64 v[14:15], v6, 1
	v_lshrrev_b32_e32 v6, 23, v16
	v_and_b32_e32 v13, 0, v7
	v_add3_u32 v7, v24, v3, v6
	v_bfe_u32 v3, v16, 21, 1
	v_add_u32_e32 v3, -1, v3
	v_cmp_eq_u64_e32 vcc, v[12:13], v[14:15]
	v_cndmask_b32_e32 v3, 0, v3, vcc
	v_add_u32_e32 v3, v3, v16
	v_and_b32_e32 v3, 0x1fffff, v3
	v_add_co_u32_e32 v12, vcc, v3, v16
	v_add_u32_e32 v6, 14, v7
	v_addc_co_u32_e32 v13, vcc, 0, v17, vcc
	v_cmp_ne_u32_e32 vcc, 0, v6
                                        ; implicit-def: $vgpr3
	s_and_saveexec_b64 s[28:29], vcc
	s_xor_b64 s[28:29], exec, s[28:29]
; %bb.1132:                             ;   in Loop: Header=BB2_564 Depth=4
	v_add_u32_e32 v3, 15, v7
	v_cmp_lt_u64_e32 vcc, s[56:57], v[12:13]
	v_cndmask_b32_e32 v3, v6, v3, vcc
	v_cndmask_b32_e64 v6, 0, 1, vcc
	v_lshrrev_b64 v[12:13], v6, v[12:13]
; %bb.1133:                             ;   in Loop: Header=BB2_564 Depth=4
	s_andn2_saveexec_b64 s[28:29], s[28:29]
; %bb.1134:                             ;   in Loop: Header=BB2_564 Depth=4
	v_bfe_u32 v3, v12, 23, 1
; %bb.1135:                             ;   in Loop: Header=BB2_564 Depth=4
	s_or_b64 exec, exec, s[28:29]
	v_lshrrev_b64 v[6:7], 21, v[12:13]
	v_cmp_gt_i32_e32 vcc, 32, v3
	v_cndmask_b32_e32 v7, 0, v7, vcc
	v_cndmask_b32_e32 v6, 3, v6, vcc
	v_cmp_eq_u32_e32 vcc, 0, v3
	v_min_i32_e32 v3, 31, v3
	v_cmp_eq_u64_e64 s[28:29], 0, v[6:7]
	v_lshlrev_b32_e32 v3, 2, v3
	v_and_or_b32 v3, v6, 3, v3
	s_and_b64 s[28:29], vcc, s[28:29]
	v_cndmask_b32_e64 v3, v3, 0, s[28:29]
	v_or_b32_e32 v39, v3, v0
.LBB2_1136:                             ;   in Loop: Header=BB2_564 Depth=4
	s_or_b64 exec, exec, s[70:71]
.LBB2_1137:                             ;   in Loop: Header=BB2_564 Depth=4
	s_or_b64 exec, exec, s[68:69]
                                        ; implicit-def: $vgpr3
.LBB2_1138:                             ;   in Loop: Header=BB2_564 Depth=4
	s_andn2_saveexec_b64 s[28:29], s[30:31]
; %bb.1139:                             ;   in Loop: Header=BB2_564 Depth=4
	v_or_b32_sdwa v0, v3, s39 dst_sel:DWORD dst_unused:UNUSED_PAD src0_sel:BYTE_3 src1_sel:DWORD
	v_cmp_eq_u64_e32 vcc, 0, v[50:51]
	v_cndmask_b32_e32 v39, v0, v39, vcc
; %bb.1140:                             ;   in Loop: Header=BB2_564 Depth=4
	s_or_b64 exec, exec, s[28:29]
	v_mov_b32_e32 v50, v23
	v_mov_b32_e32 v16, v19
	v_mov_b32_e32 v17, v51
	v_cmp_ne_u16_sdwa s[28:29], v23, v51 src0_sel:BYTE_0 src1_sel:DWORD
	s_and_b64 vcc, exec, s[66:67]
	s_cbranch_vccz .LBB2_1158
; %bb.1141:                             ;   in Loop: Header=BB2_564 Depth=4
	v_mov_b32_e32 v3, 0
	v_mov_b32_e32 v0, 0
	s_and_saveexec_b64 s[30:31], s[28:29]
	s_cbranch_execz .LBB2_1149
; %bb.1142:                             ;   in Loop: Header=BB2_564 Depth=4
	v_cmp_ne_u16_sdwa vcc, v23, s97 src0_sel:BYTE_0 src1_sel:DWORD
	v_bfrev_b32_e32 v0, 1
	s_and_saveexec_b64 s[68:69], vcc
	s_cbranch_execz .LBB2_1148
; %bb.1143:                             ;   in Loop: Header=BB2_564 Depth=4
	v_and_b32_e32 v0, 0x7c, v23
	v_and_b32_e32 v6, 3, v23
	v_cmp_ne_u32_e32 vcc, s95, v0
                                        ; implicit-def: $vgpr0
	s_and_saveexec_b64 s[70:71], vcc
	s_xor_b64 s[70:71], exec, s[70:71]
	s_cbranch_execz .LBB2_1145
; %bb.1144:                             ;   in Loop: Header=BB2_564 Depth=4
	v_ffbh_u32_e32 v7, v6
	v_min_u32_e32 v7, 32, v7
	v_subrev_u32_e32 v12, 29, v7
	v_bfe_u32 v0, v23, 2, 5
	v_lshlrev_b64 v[12:13], v12, v[50:51]
	v_sub_u32_e32 v7, 30, v7
	v_and_b32_e32 v12, 3, v12
	v_cmp_eq_u32_e32 vcc, 0, v0
	v_cndmask_b32_e32 v0, v0, v7, vcc
	v_cndmask_b32_e32 v6, v6, v12, vcc
	v_bfrev_b32_e32 v12, 28
	v_lshlrev_b32_e32 v7, 24, v23
	v_lshl_add_u32 v0, v0, 23, v12
	v_and_or_b32 v0, v7, s96, v0
	v_lshl_or_b32 v0, v6, 21, v0
                                        ; implicit-def: $vgpr6
.LBB2_1145:                             ;   in Loop: Header=BB2_564 Depth=4
	s_andn2_saveexec_b64 s[70:71], s[70:71]
; %bb.1146:                             ;   in Loop: Header=BB2_564 Depth=4
	v_mov_b32_e32 v0, -1
	v_cmp_gt_i16_sdwa vcc, sext(v23), v0 src0_sel:BYTE_0 src1_sel:DWORD
	v_mov_b32_e32 v0, 0xc7600000
	v_mov_b32_e32 v7, 0x47600000
	v_cndmask_b32_e32 v0, v0, v7, vcc
	v_cmp_eq_u32_e32 vcc, 0, v6
	v_mov_b32_e32 v6, 0x7f800001
	v_cndmask_b32_e32 v0, v6, v0, vcc
; %bb.1147:                             ;   in Loop: Header=BB2_564 Depth=4
	s_or_b64 exec, exec, s[70:71]
.LBB2_1148:                             ;   in Loop: Header=BB2_564 Depth=4
	s_or_b64 exec, exec, s[68:69]
.LBB2_1149:                             ;   in Loop: Header=BB2_564 Depth=4
	s_or_b64 exec, exec, s[30:31]
	v_cmp_ne_u16_sdwa vcc, v19, v51 src0_sel:BYTE_0 src1_sel:DWORD
	s_and_saveexec_b64 s[30:31], vcc
	s_cbranch_execz .LBB2_1157
; %bb.1150:                             ;   in Loop: Header=BB2_564 Depth=4
	v_cmp_ne_u16_sdwa vcc, v19, s97 src0_sel:BYTE_0 src1_sel:DWORD
	v_bfrev_b32_e32 v3, 1
	s_and_saveexec_b64 s[68:69], vcc
	s_cbranch_execz .LBB2_1156
; %bb.1151:                             ;   in Loop: Header=BB2_564 Depth=4
	v_and_b32_e32 v3, 0x7c, v19
	v_and_b32_e32 v6, 3, v19
	v_cmp_ne_u32_e32 vcc, s95, v3
                                        ; implicit-def: $vgpr3
	s_and_saveexec_b64 s[70:71], vcc
	s_xor_b64 s[70:71], exec, s[70:71]
	s_cbranch_execz .LBB2_1153
; %bb.1152:                             ;   in Loop: Header=BB2_564 Depth=4
	v_ffbh_u32_e32 v7, v6
	v_min_u32_e32 v7, 32, v7
	v_subrev_u32_e32 v12, 29, v7
	v_bfe_u32 v3, v19, 2, 5
	v_lshlrev_b64 v[12:13], v12, v[16:17]
	v_sub_u32_e32 v7, 30, v7
	v_and_b32_e32 v12, 3, v12
	v_cmp_eq_u32_e32 vcc, 0, v3
	v_cndmask_b32_e32 v3, v3, v7, vcc
	v_cndmask_b32_e32 v6, v6, v12, vcc
	v_bfrev_b32_e32 v12, 28
	v_lshlrev_b32_e32 v7, 24, v19
	v_lshl_add_u32 v3, v3, 23, v12
	v_and_or_b32 v3, v7, s96, v3
	v_lshl_or_b32 v3, v6, 21, v3
                                        ; implicit-def: $vgpr6
.LBB2_1153:                             ;   in Loop: Header=BB2_564 Depth=4
	s_andn2_saveexec_b64 s[70:71], s[70:71]
; %bb.1154:                             ;   in Loop: Header=BB2_564 Depth=4
	v_mov_b32_e32 v3, -1
	v_cmp_gt_i16_sdwa vcc, sext(v19), v3 src0_sel:BYTE_0 src1_sel:DWORD
	v_mov_b32_e32 v3, 0xc7600000
	v_mov_b32_e32 v7, 0x47600000
	v_cndmask_b32_e32 v3, v3, v7, vcc
	v_cmp_eq_u32_e32 vcc, 0, v6
	v_mov_b32_e32 v6, 0x7f800001
	v_cndmask_b32_e32 v3, v6, v3, vcc
; %bb.1155:                             ;   in Loop: Header=BB2_564 Depth=4
	s_or_b64 exec, exec, s[70:71]
.LBB2_1156:                             ;   in Loop: Header=BB2_564 Depth=4
	s_or_b64 exec, exec, s[68:69]
.LBB2_1157:                             ;   in Loop: Header=BB2_564 Depth=4
	s_or_b64 exec, exec, s[30:31]
	v_max_f32_e32 v3, v3, v3
	v_max_f32_e32 v0, v0, v0
	;; [unrolled: 1-line block ×3, first 2 shown]
	s_branch .LBB2_1176
.LBB2_1158:                             ;   in Loop: Header=BB2_564 Depth=4
                                        ; implicit-def: $vgpr3
	s_cbranch_execz .LBB2_1176
; %bb.1159:                             ;   in Loop: Header=BB2_564 Depth=4
	v_mov_b32_e32 v3, 0
	v_mov_b32_e32 v0, 0
	s_and_saveexec_b64 s[30:31], s[28:29]
	s_cbranch_execz .LBB2_1167
; %bb.1160:                             ;   in Loop: Header=BB2_564 Depth=4
	v_cmp_ne_u16_sdwa vcc, v23, s97 src0_sel:BYTE_0 src1_sel:DWORD
	v_bfrev_b32_e32 v0, 1
	s_and_saveexec_b64 s[28:29], vcc
	s_cbranch_execz .LBB2_1166
; %bb.1161:                             ;   in Loop: Header=BB2_564 Depth=4
	v_and_b32_e32 v0, 0x7c, v23
	v_and_b32_e32 v6, 3, v23
	v_cmp_ne_u32_e32 vcc, s95, v0
                                        ; implicit-def: $vgpr0
	s_and_saveexec_b64 s[68:69], vcc
	s_xor_b64 s[68:69], exec, s[68:69]
	s_cbranch_execz .LBB2_1163
; %bb.1162:                             ;   in Loop: Header=BB2_564 Depth=4
	v_ffbh_u32_e32 v7, v6
	v_min_u32_e32 v7, 32, v7
	v_subrev_u32_e32 v12, 29, v7
	v_bfe_u32 v0, v23, 2, 5
	v_lshlrev_b64 v[12:13], v12, v[50:51]
	v_sub_u32_e32 v7, 30, v7
	v_and_b32_e32 v12, 3, v12
	v_cmp_eq_u32_e32 vcc, 0, v0
	v_cndmask_b32_e32 v0, v0, v7, vcc
	v_cndmask_b32_e32 v6, v6, v12, vcc
	v_bfrev_b32_e32 v12, 28
	v_lshlrev_b32_e32 v7, 24, v23
	v_lshl_add_u32 v0, v0, 23, v12
	v_and_or_b32 v0, v7, s96, v0
	v_lshl_or_b32 v0, v6, 21, v0
                                        ; implicit-def: $vgpr6
.LBB2_1163:                             ;   in Loop: Header=BB2_564 Depth=4
	s_andn2_saveexec_b64 s[68:69], s[68:69]
; %bb.1164:                             ;   in Loop: Header=BB2_564 Depth=4
	v_mov_b32_e32 v0, -1
	v_cmp_gt_i16_sdwa vcc, sext(v23), v0 src0_sel:BYTE_0 src1_sel:DWORD
	v_mov_b32_e32 v0, 0xc7600000
	v_mov_b32_e32 v7, 0x47600000
	v_cndmask_b32_e32 v0, v0, v7, vcc
	v_cmp_eq_u32_e32 vcc, 0, v6
	v_mov_b32_e32 v6, 0x7f800001
	v_cndmask_b32_e32 v0, v6, v0, vcc
; %bb.1165:                             ;   in Loop: Header=BB2_564 Depth=4
	s_or_b64 exec, exec, s[68:69]
.LBB2_1166:                             ;   in Loop: Header=BB2_564 Depth=4
	s_or_b64 exec, exec, s[28:29]
.LBB2_1167:                             ;   in Loop: Header=BB2_564 Depth=4
	s_or_b64 exec, exec, s[30:31]
	v_cmp_ne_u16_sdwa vcc, v19, v51 src0_sel:BYTE_0 src1_sel:DWORD
	s_and_saveexec_b64 s[28:29], vcc
	s_cbranch_execz .LBB2_1175
; %bb.1168:                             ;   in Loop: Header=BB2_564 Depth=4
	v_cmp_ne_u16_sdwa vcc, v19, s97 src0_sel:BYTE_0 src1_sel:DWORD
	v_bfrev_b32_e32 v3, 1
	s_and_saveexec_b64 s[30:31], vcc
	s_cbranch_execz .LBB2_1174
; %bb.1169:                             ;   in Loop: Header=BB2_564 Depth=4
	v_and_b32_e32 v3, 0x7c, v19
	v_and_b32_e32 v6, 3, v19
	v_cmp_ne_u32_e32 vcc, s95, v3
                                        ; implicit-def: $vgpr3
	s_and_saveexec_b64 s[68:69], vcc
	s_xor_b64 s[68:69], exec, s[68:69]
	s_cbranch_execz .LBB2_1171
; %bb.1170:                             ;   in Loop: Header=BB2_564 Depth=4
	v_ffbh_u32_e32 v7, v6
	v_min_u32_e32 v7, 32, v7
	v_subrev_u32_e32 v12, 29, v7
	v_bfe_u32 v3, v19, 2, 5
	v_lshlrev_b64 v[12:13], v12, v[16:17]
	v_sub_u32_e32 v7, 30, v7
	v_and_b32_e32 v12, 3, v12
	v_cmp_eq_u32_e32 vcc, 0, v3
	v_cndmask_b32_e32 v3, v3, v7, vcc
	v_cndmask_b32_e32 v6, v6, v12, vcc
	v_bfrev_b32_e32 v12, 28
	v_lshlrev_b32_e32 v7, 24, v19
	v_lshl_add_u32 v3, v3, 23, v12
	v_and_or_b32 v3, v7, s96, v3
	v_lshl_or_b32 v3, v6, 21, v3
                                        ; implicit-def: $vgpr6
.LBB2_1171:                             ;   in Loop: Header=BB2_564 Depth=4
	s_andn2_saveexec_b64 s[68:69], s[68:69]
; %bb.1172:                             ;   in Loop: Header=BB2_564 Depth=4
	v_mov_b32_e32 v3, -1
	v_cmp_gt_i16_sdwa vcc, sext(v19), v3 src0_sel:BYTE_0 src1_sel:DWORD
	v_mov_b32_e32 v3, 0xc7600000
	v_mov_b32_e32 v7, 0x47600000
	v_cndmask_b32_e32 v3, v3, v7, vcc
	v_cmp_eq_u32_e32 vcc, 0, v6
	v_mov_b32_e32 v6, 0x7f800001
	v_cndmask_b32_e32 v3, v6, v3, vcc
; %bb.1173:                             ;   in Loop: Header=BB2_564 Depth=4
	s_or_b64 exec, exec, s[68:69]
.LBB2_1174:                             ;   in Loop: Header=BB2_564 Depth=4
	s_or_b64 exec, exec, s[30:31]
.LBB2_1175:                             ;   in Loop: Header=BB2_564 Depth=4
	s_or_b64 exec, exec, s[28:29]
	v_max_f32_e32 v3, v3, v3
	v_max_f32_e32 v0, v0, v0
	v_min_f32_e32 v3, v0, v3
.LBB2_1176:                             ;   in Loop: Header=BB2_564 Depth=4
	v_and_b32_sdwa v0, v3, s97 dst_sel:DWORD dst_unused:UNUSED_PAD src0_sel:BYTE_3 src1_sel:DWORD
	v_and_b32_e32 v14, 0x7f800000, v3
	v_mov_b32_e32 v15, v51
	v_and_b32_e32 v12, 0x7fffff, v3
	v_mov_b32_e32 v13, v51
	v_or_b32_e32 v6, 0x7b, v0
	v_cmp_ne_u64_e32 vcc, s[52:53], v[14:15]
	s_and_saveexec_b64 s[28:29], vcc
	s_xor_b64 s[30:31], exec, s[28:29]
	s_cbranch_execz .LBB2_1186
; %bb.1177:                             ;   in Loop: Header=BB2_564 Depth=4
	v_and_b32_e32 v14, 0x7fffffff, v3
	v_mov_b32_e32 v15, v51
	v_cmp_gt_u64_e32 vcc, s[54:55], v[14:15]
	s_and_saveexec_b64 s[68:69], vcc
	s_cbranch_execz .LBB2_1185
; %bb.1178:                             ;   in Loop: Header=BB2_564 Depth=4
	v_cmp_ne_u32_e32 vcc, 0, v3
	v_mov_b32_e32 v6, 0
	s_and_saveexec_b64 s[70:71], vcc
	s_cbranch_execz .LBB2_1184
; %bb.1179:                             ;   in Loop: Header=BB2_564 Depth=4
	v_bfe_u32 v3, v3, 23, 8
	v_sub_u32_e32 v7, 0x71, v3
	v_cmp_gt_u32_e32 vcc, s38, v3
	v_add_u32_e32 v6, 0xffffff81, v3
	v_cndmask_b32_e32 v7, 0, v7, vcc
	v_cmp_eq_u32_e32 vcc, 0, v3
	v_mov_b32_e32 v3, 0xffffff82
	v_cndmask_b32_e32 v3, v6, v3, vcc
	v_mov_b32_e32 v6, 0x70
	v_cndmask_b32_e32 v17, v7, v6, vcc
	v_add_u32_e32 v6, 21, v17
	v_or_b32_e32 v14, 0x800000, v12
	v_lshlrev_b64 v[6:7], v6, -1
	v_cndmask_b32_e32 v12, v14, v12, vcc
	v_not_b32_e32 v6, v6
	v_and_b32_e32 v14, v12, v6
	v_add_u32_e32 v6, 20, v17
	v_lshrrev_b64 v[12:13], v17, v[12:13]
	v_not_b32_e32 v7, v7
	v_lshlrev_b64 v[24:25], v6, 1
	v_lshrrev_b32_e32 v6, 23, v12
	v_and_b32_e32 v15, 0, v7
	v_add3_u32 v7, v17, v3, v6
	v_bfe_u32 v3, v12, 21, 1
	v_add_u32_e32 v3, -1, v3
	v_cmp_eq_u64_e32 vcc, v[14:15], v[24:25]
	v_cndmask_b32_e32 v3, 0, v3, vcc
	v_add_u32_e32 v3, v3, v12
	v_and_b32_e32 v3, 0x1fffff, v3
	v_add_co_u32_e32 v12, vcc, v3, v12
	v_add_u32_e32 v6, 14, v7
	v_addc_co_u32_e32 v13, vcc, 0, v13, vcc
	v_cmp_ne_u32_e32 vcc, 0, v6
                                        ; implicit-def: $vgpr3
	s_and_saveexec_b64 s[28:29], vcc
	s_xor_b64 s[28:29], exec, s[28:29]
; %bb.1180:                             ;   in Loop: Header=BB2_564 Depth=4
	v_add_u32_e32 v3, 15, v7
	v_cmp_lt_u64_e32 vcc, s[56:57], v[12:13]
	v_cndmask_b32_e32 v3, v6, v3, vcc
	v_cndmask_b32_e64 v6, 0, 1, vcc
	v_lshrrev_b64 v[12:13], v6, v[12:13]
; %bb.1181:                             ;   in Loop: Header=BB2_564 Depth=4
	s_andn2_saveexec_b64 s[28:29], s[28:29]
; %bb.1182:                             ;   in Loop: Header=BB2_564 Depth=4
	v_bfe_u32 v3, v12, 23, 1
; %bb.1183:                             ;   in Loop: Header=BB2_564 Depth=4
	s_or_b64 exec, exec, s[28:29]
	v_lshrrev_b64 v[6:7], 21, v[12:13]
	v_cmp_gt_i32_e32 vcc, 32, v3
	v_cndmask_b32_e32 v7, 0, v7, vcc
	v_cndmask_b32_e32 v6, 3, v6, vcc
	v_cmp_eq_u32_e32 vcc, 0, v3
	v_min_i32_e32 v3, 31, v3
	v_cmp_eq_u64_e64 s[28:29], 0, v[6:7]
	v_lshlrev_b32_e32 v3, 2, v3
	v_and_or_b32 v3, v6, 3, v3
	s_and_b64 s[28:29], vcc, s[28:29]
	v_cndmask_b32_e64 v3, v3, 0, s[28:29]
	v_or_b32_e32 v6, v3, v0
.LBB2_1184:                             ;   in Loop: Header=BB2_564 Depth=4
	s_or_b64 exec, exec, s[70:71]
.LBB2_1185:                             ;   in Loop: Header=BB2_564 Depth=4
	s_or_b64 exec, exec, s[68:69]
                                        ; implicit-def: $vgpr3
                                        ; implicit-def: $vgpr12_vgpr13
.LBB2_1186:                             ;   in Loop: Header=BB2_564 Depth=4
	s_andn2_saveexec_b64 s[28:29], s[30:31]
; %bb.1187:                             ;   in Loop: Header=BB2_564 Depth=4
	v_or_b32_sdwa v0, v3, s39 dst_sel:DWORD dst_unused:UNUSED_PAD src0_sel:BYTE_3 src1_sel:DWORD
	v_cmp_eq_u64_e32 vcc, 0, v[12:13]
	v_cndmask_b32_e32 v6, v0, v6, vcc
; %bb.1188:                             ;   in Loop: Header=BB2_564 Depth=4
	s_or_b64 exec, exec, s[28:29]
	v_lshrrev_b16_e32 v14, 8, v50
	v_lshrrev_b16_e32 v12, 8, v16
	v_cmp_ne_u16_e64 s[28:29], 0, v14
	s_and_b64 vcc, exec, s[66:67]
	s_cbranch_vccz .LBB2_1206
; %bb.1189:                             ;   in Loop: Header=BB2_564 Depth=4
	v_mov_b32_e32 v3, 0
	v_mov_b32_e32 v0, 0
	s_and_saveexec_b64 s[30:31], s[28:29]
	s_cbranch_execz .LBB2_1197
; %bb.1190:                             ;   in Loop: Header=BB2_564 Depth=4
	v_cmp_ne_u16_e32 vcc, s97, v14
	v_bfrev_b32_e32 v0, 1
	s_and_saveexec_b64 s[68:69], vcc
	s_cbranch_execz .LBB2_1196
; %bb.1191:                             ;   in Loop: Header=BB2_564 Depth=4
	v_and_b32_e32 v0, 0x7c, v14
	v_and_b32_e32 v7, 3, v14
	v_cmp_ne_u32_e32 vcc, s95, v0
                                        ; implicit-def: $vgpr0
	s_and_saveexec_b64 s[70:71], vcc
	s_xor_b64 s[70:71], exec, s[70:71]
	s_cbranch_execz .LBB2_1193
; %bb.1192:                             ;   in Loop: Header=BB2_564 Depth=4
	v_ffbh_u32_e32 v13, v7
	v_min_u32_e32 v13, 32, v13
	v_mov_b32_e32 v15, v51
	v_subrev_u32_e32 v17, 29, v13
	v_bfe_u32 v0, v14, 2, 5
	v_lshlrev_b64 v[24:25], v17, v[14:15]
	v_sub_u32_e32 v13, 30, v13
	v_and_b32_e32 v15, 3, v24
	v_cmp_eq_u32_e32 vcc, 0, v0
	v_cndmask_b32_e32 v0, v0, v13, vcc
	v_cndmask_b32_e32 v7, v7, v15, vcc
	v_bfrev_b32_e32 v15, 28
	v_lshlrev_b32_e32 v13, 16, v50
	v_lshl_add_u32 v0, v0, 23, v15
	v_and_or_b32 v0, v13, s96, v0
	v_lshl_or_b32 v0, v7, 21, v0
                                        ; implicit-def: $vgpr7
.LBB2_1193:                             ;   in Loop: Header=BB2_564 Depth=4
	s_andn2_saveexec_b64 s[70:71], s[70:71]
; %bb.1194:                             ;   in Loop: Header=BB2_564 Depth=4
	v_cmp_lt_i16_e32 vcc, -1, v50
	v_mov_b32_e32 v0, 0xc7600000
	v_mov_b32_e32 v13, 0x47600000
	v_cndmask_b32_e32 v0, v0, v13, vcc
	v_cmp_eq_u32_e32 vcc, 0, v7
	v_mov_b32_e32 v7, 0x7f800001
	v_cndmask_b32_e32 v0, v7, v0, vcc
; %bb.1195:                             ;   in Loop: Header=BB2_564 Depth=4
	s_or_b64 exec, exec, s[70:71]
.LBB2_1196:                             ;   in Loop: Header=BB2_564 Depth=4
	s_or_b64 exec, exec, s[68:69]
.LBB2_1197:                             ;   in Loop: Header=BB2_564 Depth=4
	s_or_b64 exec, exec, s[30:31]
	v_cmp_ne_u16_e32 vcc, 0, v12
	s_and_saveexec_b64 s[30:31], vcc
	s_cbranch_execz .LBB2_1205
; %bb.1198:                             ;   in Loop: Header=BB2_564 Depth=4
	v_cmp_ne_u16_e32 vcc, s97, v12
	v_bfrev_b32_e32 v3, 1
	s_and_saveexec_b64 s[68:69], vcc
	s_cbranch_execz .LBB2_1204
; %bb.1199:                             ;   in Loop: Header=BB2_564 Depth=4
	v_and_b32_e32 v3, 0x7c, v12
	v_and_b32_e32 v7, 3, v12
	v_cmp_ne_u32_e32 vcc, s95, v3
                                        ; implicit-def: $vgpr3
	s_and_saveexec_b64 s[70:71], vcc
	s_xor_b64 s[70:71], exec, s[70:71]
	s_cbranch_execz .LBB2_1201
; %bb.1200:                             ;   in Loop: Header=BB2_564 Depth=4
	v_ffbh_u32_e32 v15, v7
	v_min_u32_e32 v15, 32, v15
	v_mov_b32_e32 v13, v51
	v_subrev_u32_e32 v17, 29, v15
	v_bfe_u32 v3, v12, 2, 5
	v_lshlrev_b64 v[24:25], v17, v[12:13]
	v_sub_u32_e32 v13, 30, v15
	v_and_b32_e32 v15, 3, v24
	v_cmp_eq_u32_e32 vcc, 0, v3
	v_cndmask_b32_e32 v3, v3, v13, vcc
	v_cndmask_b32_e32 v7, v7, v15, vcc
	v_bfrev_b32_e32 v15, 28
	v_lshlrev_b32_e32 v13, 16, v16
	v_lshl_add_u32 v3, v3, 23, v15
	v_and_or_b32 v3, v13, s96, v3
	v_lshl_or_b32 v3, v7, 21, v3
                                        ; implicit-def: $vgpr7
.LBB2_1201:                             ;   in Loop: Header=BB2_564 Depth=4
	s_andn2_saveexec_b64 s[70:71], s[70:71]
; %bb.1202:                             ;   in Loop: Header=BB2_564 Depth=4
	v_cmp_lt_i16_e32 vcc, -1, v16
	v_mov_b32_e32 v3, 0xc7600000
	v_mov_b32_e32 v13, 0x47600000
	v_cndmask_b32_e32 v3, v3, v13, vcc
	v_cmp_eq_u32_e32 vcc, 0, v7
	v_mov_b32_e32 v7, 0x7f800001
	v_cndmask_b32_e32 v3, v7, v3, vcc
; %bb.1203:                             ;   in Loop: Header=BB2_564 Depth=4
	s_or_b64 exec, exec, s[70:71]
.LBB2_1204:                             ;   in Loop: Header=BB2_564 Depth=4
	s_or_b64 exec, exec, s[68:69]
.LBB2_1205:                             ;   in Loop: Header=BB2_564 Depth=4
	s_or_b64 exec, exec, s[30:31]
	v_max_f32_e32 v3, v3, v3
	v_max_f32_e32 v0, v0, v0
	;; [unrolled: 1-line block ×3, first 2 shown]
	s_branch .LBB2_1224
.LBB2_1206:                             ;   in Loop: Header=BB2_564 Depth=4
                                        ; implicit-def: $vgpr3
	s_cbranch_execz .LBB2_1224
; %bb.1207:                             ;   in Loop: Header=BB2_564 Depth=4
	v_mov_b32_e32 v3, 0
	v_mov_b32_e32 v0, 0
	s_and_saveexec_b64 s[30:31], s[28:29]
	s_cbranch_execz .LBB2_1215
; %bb.1208:                             ;   in Loop: Header=BB2_564 Depth=4
	v_cmp_ne_u16_e32 vcc, s97, v14
	v_bfrev_b32_e32 v0, 1
	s_and_saveexec_b64 s[28:29], vcc
	s_cbranch_execz .LBB2_1214
; %bb.1209:                             ;   in Loop: Header=BB2_564 Depth=4
	v_and_b32_e32 v0, 0x7c, v14
	v_and_b32_e32 v7, 3, v14
	v_cmp_ne_u32_e32 vcc, s95, v0
                                        ; implicit-def: $vgpr0
	s_and_saveexec_b64 s[68:69], vcc
	s_xor_b64 s[68:69], exec, s[68:69]
	s_cbranch_execz .LBB2_1211
; %bb.1210:                             ;   in Loop: Header=BB2_564 Depth=4
	v_ffbh_u32_e32 v13, v7
	v_min_u32_e32 v13, 32, v13
	v_mov_b32_e32 v15, v51
	v_subrev_u32_e32 v17, 29, v13
	v_bfe_u32 v0, v14, 2, 5
	v_lshlrev_b64 v[14:15], v17, v[14:15]
	v_sub_u32_e32 v13, 30, v13
	v_and_b32_e32 v14, 3, v14
	v_cmp_eq_u32_e32 vcc, 0, v0
	v_cndmask_b32_e32 v0, v0, v13, vcc
	v_cndmask_b32_e32 v7, v7, v14, vcc
	v_bfrev_b32_e32 v14, 28
	v_lshlrev_b32_e32 v13, 16, v50
	v_lshl_add_u32 v0, v0, 23, v14
	v_and_or_b32 v0, v13, s96, v0
	v_lshl_or_b32 v0, v7, 21, v0
                                        ; implicit-def: $vgpr7
.LBB2_1211:                             ;   in Loop: Header=BB2_564 Depth=4
	s_andn2_saveexec_b64 s[68:69], s[68:69]
; %bb.1212:                             ;   in Loop: Header=BB2_564 Depth=4
	v_cmp_lt_i16_e32 vcc, -1, v50
	v_mov_b32_e32 v0, 0xc7600000
	v_mov_b32_e32 v13, 0x47600000
	v_cndmask_b32_e32 v0, v0, v13, vcc
	v_cmp_eq_u32_e32 vcc, 0, v7
	v_mov_b32_e32 v7, 0x7f800001
	v_cndmask_b32_e32 v0, v7, v0, vcc
; %bb.1213:                             ;   in Loop: Header=BB2_564 Depth=4
	s_or_b64 exec, exec, s[68:69]
.LBB2_1214:                             ;   in Loop: Header=BB2_564 Depth=4
	s_or_b64 exec, exec, s[28:29]
.LBB2_1215:                             ;   in Loop: Header=BB2_564 Depth=4
	s_or_b64 exec, exec, s[30:31]
	v_cmp_ne_u16_e32 vcc, 0, v12
	s_and_saveexec_b64 s[28:29], vcc
	s_cbranch_execz .LBB2_1223
; %bb.1216:                             ;   in Loop: Header=BB2_564 Depth=4
	v_cmp_ne_u16_e32 vcc, s97, v12
	v_bfrev_b32_e32 v3, 1
	s_and_saveexec_b64 s[30:31], vcc
	s_cbranch_execz .LBB2_1222
; %bb.1217:                             ;   in Loop: Header=BB2_564 Depth=4
	v_and_b32_e32 v3, 0x7c, v12
	v_and_b32_e32 v7, 3, v12
	v_cmp_ne_u32_e32 vcc, s95, v3
                                        ; implicit-def: $vgpr3
	s_and_saveexec_b64 s[68:69], vcc
	s_xor_b64 s[68:69], exec, s[68:69]
	s_cbranch_execz .LBB2_1219
; %bb.1218:                             ;   in Loop: Header=BB2_564 Depth=4
	v_ffbh_u32_e32 v14, v7
	v_min_u32_e32 v14, 32, v14
	v_mov_b32_e32 v13, v51
	v_subrev_u32_e32 v15, 29, v14
	v_bfe_u32 v3, v12, 2, 5
	v_lshlrev_b64 v[12:13], v15, v[12:13]
	v_sub_u32_e32 v13, 30, v14
	v_cmp_eq_u32_e32 vcc, 0, v3
	v_and_b32_e32 v12, 3, v12
	v_cndmask_b32_e32 v3, v3, v13, vcc
	v_bfrev_b32_e32 v13, 28
	v_cndmask_b32_e32 v7, v7, v12, vcc
	v_lshlrev_b32_e32 v12, 16, v16
	v_lshl_add_u32 v3, v3, 23, v13
	v_and_or_b32 v3, v12, s96, v3
	v_lshl_or_b32 v3, v7, 21, v3
                                        ; implicit-def: $vgpr7
                                        ; implicit-def: $vgpr16_vgpr17
.LBB2_1219:                             ;   in Loop: Header=BB2_564 Depth=4
	s_andn2_saveexec_b64 s[68:69], s[68:69]
; %bb.1220:                             ;   in Loop: Header=BB2_564 Depth=4
	v_cmp_lt_i16_e32 vcc, -1, v16
	v_mov_b32_e32 v3, 0xc7600000
	v_mov_b32_e32 v12, 0x47600000
	v_cndmask_b32_e32 v3, v3, v12, vcc
	v_cmp_eq_u32_e32 vcc, 0, v7
	v_mov_b32_e32 v7, 0x7f800001
	v_cndmask_b32_e32 v3, v7, v3, vcc
; %bb.1221:                             ;   in Loop: Header=BB2_564 Depth=4
	s_or_b64 exec, exec, s[68:69]
.LBB2_1222:                             ;   in Loop: Header=BB2_564 Depth=4
	s_or_b64 exec, exec, s[30:31]
.LBB2_1223:                             ;   in Loop: Header=BB2_564 Depth=4
	s_or_b64 exec, exec, s[28:29]
	v_max_f32_e32 v3, v3, v3
	v_max_f32_e32 v0, v0, v0
	v_min_f32_e32 v3, v0, v3
.LBB2_1224:                             ;   in Loop: Header=BB2_564 Depth=4
	v_and_b32_sdwa v0, v3, s97 dst_sel:DWORD dst_unused:UNUSED_PAD src0_sel:BYTE_3 src1_sel:DWORD
	v_and_b32_e32 v12, 0x7f800000, v3
	v_mov_b32_e32 v13, v51
	v_and_b32_e32 v50, 0x7fffff, v3
	v_or_b32_e32 v54, 0x7b, v0
	v_cmp_ne_u64_e32 vcc, s[52:53], v[12:13]
	s_and_saveexec_b64 s[28:29], vcc
	s_xor_b64 s[30:31], exec, s[28:29]
	s_cbranch_execz .LBB2_1234
; %bb.1225:                             ;   in Loop: Header=BB2_564 Depth=4
	v_and_b32_e32 v12, 0x7fffffff, v3
	v_mov_b32_e32 v13, v51
	v_cmp_gt_u64_e32 vcc, s[54:55], v[12:13]
	s_and_saveexec_b64 s[68:69], vcc
	s_cbranch_execz .LBB2_1233
; %bb.1226:                             ;   in Loop: Header=BB2_564 Depth=4
	v_cmp_ne_u32_e32 vcc, 0, v3
	v_mov_b32_e32 v54, 0
	s_and_saveexec_b64 s[70:71], vcc
	s_cbranch_execz .LBB2_1232
; %bb.1227:                             ;   in Loop: Header=BB2_564 Depth=4
	v_bfe_u32 v3, v3, 23, 8
	v_sub_u32_e32 v12, 0x71, v3
	v_cmp_gt_u32_e32 vcc, s38, v3
	v_add_u32_e32 v7, 0xffffff81, v3
	v_cndmask_b32_e32 v12, 0, v12, vcc
	v_cmp_eq_u32_e32 vcc, 0, v3
	v_mov_b32_e32 v3, 0xffffff82
	v_cndmask_b32_e32 v3, v7, v3, vcc
	v_mov_b32_e32 v7, 0x70
	v_or_b32_e32 v13, 0x800000, v50
	v_cndmask_b32_e32 v7, v12, v7, vcc
	v_cndmask_b32_e32 v50, v13, v50, vcc
	v_add_u32_e32 v12, 21, v7
	v_lshlrev_b64 v[12:13], v12, -1
	v_add_u32_e32 v14, 20, v7
	v_lshrrev_b64 v[24:25], v7, v[50:51]
	v_not_b32_e32 v13, v13
	v_not_b32_e32 v12, v12
	v_lshlrev_b64 v[16:17], v14, 1
	v_lshrrev_b32_e32 v14, 23, v24
	v_and_b32_e32 v13, 0, v13
	v_and_b32_e32 v12, v50, v12
	v_add3_u32 v14, v7, v3, v14
	v_bfe_u32 v3, v24, 21, 1
	v_add_u32_e32 v3, -1, v3
	v_cmp_eq_u64_e32 vcc, v[12:13], v[16:17]
	v_cndmask_b32_e32 v3, 0, v3, vcc
	v_add_u32_e32 v3, v3, v24
	v_and_b32_e32 v3, 0x1fffff, v3
	v_add_co_u32_e32 v12, vcc, v3, v24
	v_add_u32_e32 v7, 14, v14
	v_addc_co_u32_e32 v13, vcc, 0, v25, vcc
	v_cmp_ne_u32_e32 vcc, 0, v7
                                        ; implicit-def: $vgpr3
	s_and_saveexec_b64 s[28:29], vcc
	s_xor_b64 s[28:29], exec, s[28:29]
; %bb.1228:                             ;   in Loop: Header=BB2_564 Depth=4
	v_add_u32_e32 v3, 15, v14
	v_cmp_lt_u64_e32 vcc, s[56:57], v[12:13]
	v_cndmask_b32_e32 v3, v7, v3, vcc
	v_cndmask_b32_e64 v7, 0, 1, vcc
	v_lshrrev_b64 v[12:13], v7, v[12:13]
; %bb.1229:                             ;   in Loop: Header=BB2_564 Depth=4
	s_andn2_saveexec_b64 s[28:29], s[28:29]
; %bb.1230:                             ;   in Loop: Header=BB2_564 Depth=4
	v_bfe_u32 v3, v12, 23, 1
; %bb.1231:                             ;   in Loop: Header=BB2_564 Depth=4
	s_or_b64 exec, exec, s[28:29]
	v_lshrrev_b64 v[12:13], 21, v[12:13]
	v_cmp_gt_i32_e32 vcc, 32, v3
	v_cndmask_b32_e32 v13, 0, v13, vcc
	v_cndmask_b32_e32 v12, 3, v12, vcc
	v_cmp_eq_u32_e32 vcc, 0, v3
	v_min_i32_e32 v3, 31, v3
	v_cmp_eq_u64_e64 s[28:29], 0, v[12:13]
	v_lshlrev_b32_e32 v3, 2, v3
	v_and_or_b32 v3, v12, 3, v3
	s_and_b64 s[28:29], vcc, s[28:29]
	v_cndmask_b32_e64 v3, v3, 0, s[28:29]
	v_or_b32_e32 v54, v3, v0
.LBB2_1232:                             ;   in Loop: Header=BB2_564 Depth=4
	s_or_b64 exec, exec, s[70:71]
.LBB2_1233:                             ;   in Loop: Header=BB2_564 Depth=4
	s_or_b64 exec, exec, s[68:69]
                                        ; implicit-def: $vgpr3
.LBB2_1234:                             ;   in Loop: Header=BB2_564 Depth=4
	s_andn2_saveexec_b64 s[28:29], s[30:31]
; %bb.1235:                             ;   in Loop: Header=BB2_564 Depth=4
	v_or_b32_sdwa v0, v3, s39 dst_sel:DWORD dst_unused:UNUSED_PAD src0_sel:BYTE_3 src1_sel:DWORD
	v_cmp_eq_u64_e32 vcc, 0, v[50:51]
	v_cndmask_b32_e32 v54, v0, v54, vcc
; %bb.1236:                             ;   in Loop: Header=BB2_564 Depth=4
	s_or_b64 exec, exec, s[28:29]
	v_lshrrev_b32_e32 v14, 16, v23
	v_lshrrev_b32_e32 v12, 16, v19
	v_cmp_ne_u16_sdwa s[28:29], v14, v51 src0_sel:BYTE_0 src1_sel:DWORD
	s_and_b64 vcc, exec, s[66:67]
	s_cbranch_vccz .LBB2_1254
; %bb.1237:                             ;   in Loop: Header=BB2_564 Depth=4
	v_mov_b32_e32 v3, 0
	v_mov_b32_e32 v0, 0
	s_and_saveexec_b64 s[30:31], s[28:29]
	s_cbranch_execz .LBB2_1245
; %bb.1238:                             ;   in Loop: Header=BB2_564 Depth=4
	v_cmp_ne_u16_sdwa vcc, v14, s97 src0_sel:BYTE_0 src1_sel:DWORD
	v_bfrev_b32_e32 v0, 1
	s_and_saveexec_b64 s[68:69], vcc
	s_cbranch_execz .LBB2_1244
; %bb.1239:                             ;   in Loop: Header=BB2_564 Depth=4
	v_and_b32_e32 v0, 0x7c0000, v23
	v_bfe_u32 v7, v23, 16, 2
	v_cmp_ne_u32_e32 vcc, s36, v0
                                        ; implicit-def: $vgpr0
	s_and_saveexec_b64 s[70:71], vcc
	s_xor_b64 s[70:71], exec, s[70:71]
	s_cbranch_execz .LBB2_1241
; %bb.1240:                             ;   in Loop: Header=BB2_564 Depth=4
	v_ffbh_u32_e32 v13, v7
	v_min_u32_e32 v13, 32, v13
	v_subrev_u32_e32 v15, 29, v13
	v_bfe_u32 v0, v23, 18, 5
	v_lshlrev_b64 v[16:17], v15, v[14:15]
	v_sub_u32_e32 v13, 30, v13
	v_and_b32_e32 v15, 3, v16
	v_cmp_eq_u32_e32 vcc, 0, v0
	v_cndmask_b32_e32 v0, v0, v13, vcc
	v_cndmask_b32_e32 v7, v7, v15, vcc
	v_bfrev_b32_e32 v15, 28
	v_lshlrev_b32_e32 v13, 24, v14
	v_lshl_add_u32 v0, v0, 23, v15
	v_and_or_b32 v0, v13, s96, v0
	v_lshl_or_b32 v0, v7, 21, v0
                                        ; implicit-def: $vgpr7
.LBB2_1241:                             ;   in Loop: Header=BB2_564 Depth=4
	s_andn2_saveexec_b64 s[70:71], s[70:71]
; %bb.1242:                             ;   in Loop: Header=BB2_564 Depth=4
	v_mov_b32_e32 v0, -1
	v_cmp_gt_i16_sdwa vcc, sext(v14), v0 src0_sel:BYTE_0 src1_sel:DWORD
	v_mov_b32_e32 v0, 0xc7600000
	v_mov_b32_e32 v13, 0x47600000
	v_cndmask_b32_e32 v0, v0, v13, vcc
	v_cmp_eq_u32_e32 vcc, 0, v7
	v_mov_b32_e32 v7, 0x7f800001
	v_cndmask_b32_e32 v0, v7, v0, vcc
; %bb.1243:                             ;   in Loop: Header=BB2_564 Depth=4
	s_or_b64 exec, exec, s[70:71]
.LBB2_1244:                             ;   in Loop: Header=BB2_564 Depth=4
	s_or_b64 exec, exec, s[68:69]
.LBB2_1245:                             ;   in Loop: Header=BB2_564 Depth=4
	s_or_b64 exec, exec, s[30:31]
	v_cmp_ne_u16_sdwa vcc, v12, v51 src0_sel:BYTE_0 src1_sel:DWORD
	s_and_saveexec_b64 s[30:31], vcc
	s_cbranch_execz .LBB2_1253
; %bb.1246:                             ;   in Loop: Header=BB2_564 Depth=4
	v_cmp_ne_u16_sdwa vcc, v12, s97 src0_sel:BYTE_0 src1_sel:DWORD
	v_bfrev_b32_e32 v3, 1
	s_and_saveexec_b64 s[68:69], vcc
	s_cbranch_execz .LBB2_1252
; %bb.1247:                             ;   in Loop: Header=BB2_564 Depth=4
	v_and_b32_e32 v3, 0x7c0000, v19
	v_bfe_u32 v7, v19, 16, 2
	v_cmp_ne_u32_e32 vcc, s36, v3
                                        ; implicit-def: $vgpr3
	s_and_saveexec_b64 s[70:71], vcc
	s_xor_b64 s[70:71], exec, s[70:71]
	s_cbranch_execz .LBB2_1249
; %bb.1248:                             ;   in Loop: Header=BB2_564 Depth=4
	v_ffbh_u32_e32 v13, v7
	v_min_u32_e32 v13, 32, v13
	v_subrev_u32_e32 v15, 29, v13
	v_bfe_u32 v3, v19, 18, 5
	v_lshlrev_b64 v[16:17], v15, v[12:13]
	v_sub_u32_e32 v13, 30, v13
	v_and_b32_e32 v15, 3, v16
	v_cmp_eq_u32_e32 vcc, 0, v3
	v_cndmask_b32_e32 v3, v3, v13, vcc
	v_cndmask_b32_e32 v7, v7, v15, vcc
	v_bfrev_b32_e32 v15, 28
	v_lshlrev_b32_e32 v13, 24, v12
	v_lshl_add_u32 v3, v3, 23, v15
	v_and_or_b32 v3, v13, s96, v3
	v_lshl_or_b32 v3, v7, 21, v3
                                        ; implicit-def: $vgpr7
.LBB2_1249:                             ;   in Loop: Header=BB2_564 Depth=4
	s_andn2_saveexec_b64 s[70:71], s[70:71]
; %bb.1250:                             ;   in Loop: Header=BB2_564 Depth=4
	v_mov_b32_e32 v3, -1
	v_cmp_gt_i16_sdwa vcc, sext(v12), v3 src0_sel:BYTE_0 src1_sel:DWORD
	v_mov_b32_e32 v3, 0xc7600000
	v_mov_b32_e32 v13, 0x47600000
	v_cndmask_b32_e32 v3, v3, v13, vcc
	v_cmp_eq_u32_e32 vcc, 0, v7
	v_mov_b32_e32 v7, 0x7f800001
	v_cndmask_b32_e32 v3, v7, v3, vcc
; %bb.1251:                             ;   in Loop: Header=BB2_564 Depth=4
	s_or_b64 exec, exec, s[70:71]
.LBB2_1252:                             ;   in Loop: Header=BB2_564 Depth=4
	s_or_b64 exec, exec, s[68:69]
.LBB2_1253:                             ;   in Loop: Header=BB2_564 Depth=4
	s_or_b64 exec, exec, s[30:31]
	v_max_f32_e32 v3, v3, v3
	v_max_f32_e32 v0, v0, v0
	v_max_f32_e32 v7, v0, v3
	s_branch .LBB2_1272
.LBB2_1254:                             ;   in Loop: Header=BB2_564 Depth=4
                                        ; implicit-def: $vgpr7
	s_cbranch_execz .LBB2_1272
; %bb.1255:                             ;   in Loop: Header=BB2_564 Depth=4
	v_mov_b32_e32 v3, 0
	v_mov_b32_e32 v0, 0
	s_and_saveexec_b64 s[30:31], s[28:29]
	s_cbranch_execz .LBB2_1263
; %bb.1256:                             ;   in Loop: Header=BB2_564 Depth=4
	v_cmp_ne_u16_sdwa vcc, v14, s97 src0_sel:BYTE_0 src1_sel:DWORD
	v_bfrev_b32_e32 v0, 1
	s_and_saveexec_b64 s[28:29], vcc
	s_cbranch_execz .LBB2_1262
; %bb.1257:                             ;   in Loop: Header=BB2_564 Depth=4
	v_and_b32_e32 v0, 0x7c0000, v23
	v_bfe_u32 v7, v23, 16, 2
	v_cmp_ne_u32_e32 vcc, s36, v0
                                        ; implicit-def: $vgpr0
	s_and_saveexec_b64 s[68:69], vcc
	s_xor_b64 s[68:69], exec, s[68:69]
	s_cbranch_execz .LBB2_1259
; %bb.1258:                             ;   in Loop: Header=BB2_564 Depth=4
	v_ffbh_u32_e32 v13, v7
	v_bfe_u32 v0, v23, 18, 5
	v_min_u32_e32 v13, 32, v13
	v_subrev_u32_e32 v15, 29, v13
	v_sub_u32_e32 v13, 30, v13
	v_cmp_eq_u32_e32 vcc, 0, v0
	v_lshlrev_b64 v[16:17], v15, v[14:15]
	v_cndmask_b32_e32 v0, v0, v13, vcc
	v_lshlrev_b32_e32 v13, 24, v14
	v_bfrev_b32_e32 v14, 28
	v_and_b32_e32 v15, 3, v16
	v_lshl_add_u32 v0, v0, 23, v14
	v_cndmask_b32_e32 v7, v7, v15, vcc
	v_and_or_b32 v0, v13, s96, v0
	v_lshl_or_b32 v0, v7, 21, v0
                                        ; implicit-def: $vgpr7
                                        ; implicit-def: $vgpr14
.LBB2_1259:                             ;   in Loop: Header=BB2_564 Depth=4
	s_andn2_saveexec_b64 s[68:69], s[68:69]
; %bb.1260:                             ;   in Loop: Header=BB2_564 Depth=4
	v_mov_b32_e32 v0, -1
	v_cmp_gt_i16_sdwa vcc, sext(v14), v0 src0_sel:BYTE_0 src1_sel:DWORD
	v_mov_b32_e32 v0, 0xc7600000
	v_mov_b32_e32 v13, 0x47600000
	v_cndmask_b32_e32 v0, v0, v13, vcc
	v_cmp_eq_u32_e32 vcc, 0, v7
	v_mov_b32_e32 v7, 0x7f800001
	v_cndmask_b32_e32 v0, v7, v0, vcc
; %bb.1261:                             ;   in Loop: Header=BB2_564 Depth=4
	s_or_b64 exec, exec, s[68:69]
.LBB2_1262:                             ;   in Loop: Header=BB2_564 Depth=4
	s_or_b64 exec, exec, s[28:29]
.LBB2_1263:                             ;   in Loop: Header=BB2_564 Depth=4
	s_or_b64 exec, exec, s[30:31]
	v_cmp_ne_u16_sdwa vcc, v12, v51 src0_sel:BYTE_0 src1_sel:DWORD
	s_and_saveexec_b64 s[28:29], vcc
	s_cbranch_execz .LBB2_1271
; %bb.1264:                             ;   in Loop: Header=BB2_564 Depth=4
	v_cmp_ne_u16_sdwa vcc, v12, s97 src0_sel:BYTE_0 src1_sel:DWORD
	v_bfrev_b32_e32 v3, 1
	s_and_saveexec_b64 s[30:31], vcc
	s_cbranch_execz .LBB2_1270
; %bb.1265:                             ;   in Loop: Header=BB2_564 Depth=4
	v_and_b32_e32 v3, 0x7c0000, v19
	v_bfe_u32 v7, v19, 16, 2
	v_cmp_ne_u32_e32 vcc, s36, v3
                                        ; implicit-def: $vgpr3
	s_and_saveexec_b64 s[68:69], vcc
	s_xor_b64 s[68:69], exec, s[68:69]
	s_cbranch_execz .LBB2_1267
; %bb.1266:                             ;   in Loop: Header=BB2_564 Depth=4
	v_ffbh_u32_e32 v13, v7
	v_min_u32_e32 v13, 32, v13
	v_bfe_u32 v3, v19, 18, 5
	v_subrev_u32_e32 v14, 29, v13
	v_lshlrev_b64 v[14:15], v14, v[12:13]
	v_sub_u32_e32 v13, 30, v13
	v_cmp_eq_u32_e32 vcc, 0, v3
	v_cndmask_b32_e32 v3, v3, v13, vcc
	v_bfrev_b32_e32 v13, 28
	v_and_b32_e32 v14, 3, v14
	v_lshlrev_b32_e32 v12, 24, v12
	v_lshl_add_u32 v3, v3, 23, v13
	v_cndmask_b32_e32 v7, v7, v14, vcc
	v_and_or_b32 v3, v12, s96, v3
	v_lshl_or_b32 v3, v7, 21, v3
                                        ; implicit-def: $vgpr7
                                        ; implicit-def: $vgpr12
.LBB2_1267:                             ;   in Loop: Header=BB2_564 Depth=4
	s_andn2_saveexec_b64 s[68:69], s[68:69]
; %bb.1268:                             ;   in Loop: Header=BB2_564 Depth=4
	v_mov_b32_e32 v3, -1
	v_cmp_gt_i16_sdwa vcc, sext(v12), v3 src0_sel:BYTE_0 src1_sel:DWORD
	v_mov_b32_e32 v3, 0xc7600000
	v_mov_b32_e32 v12, 0x47600000
	v_cndmask_b32_e32 v3, v3, v12, vcc
	v_cmp_eq_u32_e32 vcc, 0, v7
	v_mov_b32_e32 v7, 0x7f800001
	v_cndmask_b32_e32 v3, v7, v3, vcc
; %bb.1269:                             ;   in Loop: Header=BB2_564 Depth=4
	s_or_b64 exec, exec, s[68:69]
.LBB2_1270:                             ;   in Loop: Header=BB2_564 Depth=4
	s_or_b64 exec, exec, s[30:31]
.LBB2_1271:                             ;   in Loop: Header=BB2_564 Depth=4
	s_or_b64 exec, exec, s[28:29]
	v_max_f32_e32 v3, v3, v3
	v_max_f32_e32 v0, v0, v0
	v_min_f32_e32 v7, v0, v3
.LBB2_1272:                             ;   in Loop: Header=BB2_564 Depth=4
	v_and_b32_sdwa v0, v7, s97 dst_sel:DWORD dst_unused:UNUSED_PAD src0_sel:BYTE_3 src1_sel:DWORD
	v_and_b32_e32 v12, 0x7f800000, v7
	v_mov_b32_e32 v13, v51
	v_and_b32_e32 v50, 0x7fffff, v7
	v_or_b32_e32 v3, 0x7b, v0
	v_cmp_ne_u64_e32 vcc, s[52:53], v[12:13]
	s_and_saveexec_b64 s[28:29], vcc
	s_xor_b64 s[30:31], exec, s[28:29]
	s_cbranch_execz .LBB2_1282
; %bb.1273:                             ;   in Loop: Header=BB2_564 Depth=4
	v_and_b32_e32 v12, 0x7fffffff, v7
	v_mov_b32_e32 v13, v51
	v_cmp_gt_u64_e32 vcc, s[54:55], v[12:13]
	s_and_saveexec_b64 s[68:69], vcc
	s_cbranch_execz .LBB2_1281
; %bb.1274:                             ;   in Loop: Header=BB2_564 Depth=4
	v_cmp_ne_u32_e32 vcc, 0, v7
	v_mov_b32_e32 v3, 0
	s_and_saveexec_b64 s[70:71], vcc
	s_cbranch_execz .LBB2_1280
; %bb.1275:                             ;   in Loop: Header=BB2_564 Depth=4
	v_bfe_u32 v3, v7, 23, 8
	v_sub_u32_e32 v12, 0x71, v3
	v_cmp_gt_u32_e32 vcc, s38, v3
	v_add_u32_e32 v7, 0xffffff81, v3
	v_cndmask_b32_e32 v12, 0, v12, vcc
	v_cmp_eq_u32_e32 vcc, 0, v3
	v_mov_b32_e32 v3, 0xffffff82
	v_cndmask_b32_e32 v3, v7, v3, vcc
	v_mov_b32_e32 v7, 0x70
	v_or_b32_e32 v13, 0x800000, v50
	v_cndmask_b32_e32 v7, v12, v7, vcc
	v_cndmask_b32_e32 v50, v13, v50, vcc
	v_add_u32_e32 v12, 21, v7
	v_lshlrev_b64 v[12:13], v12, -1
	v_add_u32_e32 v14, 20, v7
	v_lshrrev_b64 v[24:25], v7, v[50:51]
	v_not_b32_e32 v13, v13
	v_not_b32_e32 v12, v12
	v_lshlrev_b64 v[16:17], v14, 1
	v_lshrrev_b32_e32 v14, 23, v24
	v_and_b32_e32 v13, 0, v13
	v_and_b32_e32 v12, v50, v12
	v_add3_u32 v14, v7, v3, v14
	v_bfe_u32 v3, v24, 21, 1
	v_add_u32_e32 v3, -1, v3
	v_cmp_eq_u64_e32 vcc, v[12:13], v[16:17]
	v_cndmask_b32_e32 v3, 0, v3, vcc
	v_add_u32_e32 v3, v3, v24
	v_and_b32_e32 v3, 0x1fffff, v3
	v_add_co_u32_e32 v12, vcc, v3, v24
	v_add_u32_e32 v7, 14, v14
	v_addc_co_u32_e32 v13, vcc, 0, v25, vcc
	v_cmp_ne_u32_e32 vcc, 0, v7
                                        ; implicit-def: $vgpr3
	s_and_saveexec_b64 s[28:29], vcc
	s_xor_b64 s[28:29], exec, s[28:29]
; %bb.1276:                             ;   in Loop: Header=BB2_564 Depth=4
	v_add_u32_e32 v3, 15, v14
	v_cmp_lt_u64_e32 vcc, s[56:57], v[12:13]
	v_cndmask_b32_e32 v3, v7, v3, vcc
	v_cndmask_b32_e64 v7, 0, 1, vcc
	v_lshrrev_b64 v[12:13], v7, v[12:13]
; %bb.1277:                             ;   in Loop: Header=BB2_564 Depth=4
	s_andn2_saveexec_b64 s[28:29], s[28:29]
; %bb.1278:                             ;   in Loop: Header=BB2_564 Depth=4
	v_bfe_u32 v3, v12, 23, 1
; %bb.1279:                             ;   in Loop: Header=BB2_564 Depth=4
	s_or_b64 exec, exec, s[28:29]
	v_lshrrev_b64 v[12:13], 21, v[12:13]
	v_cmp_gt_i32_e32 vcc, 32, v3
	v_cndmask_b32_e32 v13, 0, v13, vcc
	v_cndmask_b32_e32 v12, 3, v12, vcc
	v_cmp_eq_u32_e32 vcc, 0, v3
	v_min_i32_e32 v3, 31, v3
	v_cmp_eq_u64_e64 s[28:29], 0, v[12:13]
	v_lshlrev_b32_e32 v3, 2, v3
	v_and_or_b32 v3, v12, 3, v3
	s_and_b64 s[28:29], vcc, s[28:29]
	v_cndmask_b32_e64 v3, v3, 0, s[28:29]
	v_or_b32_e32 v3, v3, v0
.LBB2_1280:                             ;   in Loop: Header=BB2_564 Depth=4
	s_or_b64 exec, exec, s[70:71]
.LBB2_1281:                             ;   in Loop: Header=BB2_564 Depth=4
	s_or_b64 exec, exec, s[68:69]
                                        ; implicit-def: $vgpr7
.LBB2_1282:                             ;   in Loop: Header=BB2_564 Depth=4
	s_andn2_saveexec_b64 s[28:29], s[30:31]
; %bb.1283:                             ;   in Loop: Header=BB2_564 Depth=4
	v_or_b32_sdwa v0, v7, s39 dst_sel:DWORD dst_unused:UNUSED_PAD src0_sel:BYTE_3 src1_sel:DWORD
	v_cmp_eq_u64_e32 vcc, 0, v[50:51]
	v_cndmask_b32_e32 v3, v0, v3, vcc
; %bb.1284:                             ;   in Loop: Header=BB2_564 Depth=4
	s_or_b64 exec, exec, s[28:29]
	v_lshrrev_b32_e32 v14, 24, v23
	v_lshrrev_b32_e32 v12, 24, v19
	v_cmp_lt_u64_e64 s[28:29], s[42:43], v[22:23]
	s_and_b64 vcc, exec, s[66:67]
	s_cbranch_vccz .LBB2_1302
; %bb.1285:                             ;   in Loop: Header=BB2_564 Depth=4
	v_mov_b32_e32 v7, 0
	v_mov_b32_e32 v0, 0
	s_and_saveexec_b64 s[30:31], s[28:29]
	s_cbranch_execz .LBB2_1293
; %bb.1286:                             ;   in Loop: Header=BB2_564 Depth=4
	v_cmp_ne_u32_e32 vcc, s97, v14
	v_bfrev_b32_e32 v0, 1
	s_and_saveexec_b64 s[68:69], vcc
	s_cbranch_execz .LBB2_1292
; %bb.1287:                             ;   in Loop: Header=BB2_564 Depth=4
	v_and_b32_e32 v0, 0x7c000000, v23
	v_bfe_u32 v13, v23, 24, 2
	v_cmp_ne_u32_e32 vcc, s37, v0
                                        ; implicit-def: $vgpr0
	s_and_saveexec_b64 s[70:71], vcc
	s_xor_b64 s[70:71], exec, s[70:71]
	s_cbranch_execz .LBB2_1289
; %bb.1288:                             ;   in Loop: Header=BB2_564 Depth=4
	v_ffbh_u32_e32 v15, v13
	v_min_u32_e32 v15, 32, v15
	v_bfe_u32 v0, v23, 26, 5
	v_subrev_u32_e32 v16, 29, v15
	v_lshlrev_b64 v[16:17], v16, v[14:15]
	v_sub_u32_e32 v15, 30, v15
	v_cmp_eq_u32_e32 vcc, 0, v0
	v_cndmask_b32_e32 v0, v0, v15, vcc
	v_bfrev_b32_e32 v15, 28
	v_and_b32_e32 v16, 3, v16
	v_lshl_add_u32 v0, v0, 23, v15
	v_cndmask_b32_e32 v13, v13, v16, vcc
	v_and_or_b32 v0, v23, s96, v0
	v_lshl_or_b32 v0, v13, 21, v0
                                        ; implicit-def: $vgpr13
.LBB2_1289:                             ;   in Loop: Header=BB2_564 Depth=4
	s_andn2_saveexec_b64 s[70:71], s[70:71]
; %bb.1290:                             ;   in Loop: Header=BB2_564 Depth=4
	v_cmp_lt_i64_e32 vcc, -1, v[22:23]
	v_mov_b32_e32 v0, 0xc7600000
	v_mov_b32_e32 v15, 0x47600000
	v_cndmask_b32_e32 v0, v0, v15, vcc
	v_cmp_eq_u32_e32 vcc, 0, v13
	v_mov_b32_e32 v13, 0x7f800001
	v_cndmask_b32_e32 v0, v13, v0, vcc
; %bb.1291:                             ;   in Loop: Header=BB2_564 Depth=4
	s_or_b64 exec, exec, s[70:71]
.LBB2_1292:                             ;   in Loop: Header=BB2_564 Depth=4
	s_or_b64 exec, exec, s[68:69]
.LBB2_1293:                             ;   in Loop: Header=BB2_564 Depth=4
	s_or_b64 exec, exec, s[30:31]
	v_cmp_lt_u64_e32 vcc, s[42:43], v[18:19]
	s_and_saveexec_b64 s[30:31], vcc
	s_cbranch_execz .LBB2_1301
; %bb.1294:                             ;   in Loop: Header=BB2_564 Depth=4
	v_cmp_ne_u32_e32 vcc, s97, v12
	v_bfrev_b32_e32 v7, 1
	s_and_saveexec_b64 s[68:69], vcc
	s_cbranch_execz .LBB2_1300
; %bb.1295:                             ;   in Loop: Header=BB2_564 Depth=4
	v_and_b32_e32 v7, 0x7c000000, v19
	v_bfe_u32 v13, v19, 24, 2
	v_cmp_ne_u32_e32 vcc, s37, v7
                                        ; implicit-def: $vgpr7
	s_and_saveexec_b64 s[70:71], vcc
	s_xor_b64 s[70:71], exec, s[70:71]
	s_cbranch_execz .LBB2_1297
; %bb.1296:                             ;   in Loop: Header=BB2_564 Depth=4
	v_ffbh_u32_e32 v15, v13
	v_bfe_u32 v7, v19, 26, 5
	v_min_u32_e32 v15, 32, v15
	v_subrev_u32_e32 v16, 29, v15
	v_sub_u32_e32 v15, 30, v15
	v_cmp_eq_u32_e32 vcc, 0, v7
	v_lshlrev_b64 v[16:17], v16, v[12:13]
	v_cndmask_b32_e32 v7, v7, v15, vcc
	v_bfrev_b32_e32 v15, 28
	v_and_b32_e32 v16, 3, v16
	v_lshl_add_u32 v7, v7, 23, v15
	v_cndmask_b32_e32 v13, v13, v16, vcc
	v_and_or_b32 v7, v19, s96, v7
	v_lshl_or_b32 v7, v13, 21, v7
                                        ; implicit-def: $vgpr13
.LBB2_1297:                             ;   in Loop: Header=BB2_564 Depth=4
	s_andn2_saveexec_b64 s[70:71], s[70:71]
; %bb.1298:                             ;   in Loop: Header=BB2_564 Depth=4
	v_cmp_lt_i64_e32 vcc, -1, v[18:19]
	v_mov_b32_e32 v7, 0xc7600000
	v_mov_b32_e32 v15, 0x47600000
	v_cndmask_b32_e32 v7, v7, v15, vcc
	v_cmp_eq_u32_e32 vcc, 0, v13
	v_mov_b32_e32 v13, 0x7f800001
	v_cndmask_b32_e32 v7, v13, v7, vcc
; %bb.1299:                             ;   in Loop: Header=BB2_564 Depth=4
	s_or_b64 exec, exec, s[70:71]
.LBB2_1300:                             ;   in Loop: Header=BB2_564 Depth=4
	s_or_b64 exec, exec, s[68:69]
.LBB2_1301:                             ;   in Loop: Header=BB2_564 Depth=4
	s_or_b64 exec, exec, s[30:31]
	v_max_f32_e32 v7, v7, v7
	v_max_f32_e32 v0, v0, v0
	;; [unrolled: 1-line block ×3, first 2 shown]
	s_branch .LBB2_1320
.LBB2_1302:                             ;   in Loop: Header=BB2_564 Depth=4
                                        ; implicit-def: $vgpr7
	s_cbranch_execz .LBB2_1320
; %bb.1303:                             ;   in Loop: Header=BB2_564 Depth=4
	v_mov_b32_e32 v7, 0
	v_mov_b32_e32 v0, 0
	s_and_saveexec_b64 s[30:31], s[28:29]
	s_cbranch_execz .LBB2_1311
; %bb.1304:                             ;   in Loop: Header=BB2_564 Depth=4
	v_cmp_ne_u32_e32 vcc, s97, v14
	v_bfrev_b32_e32 v0, 1
	s_and_saveexec_b64 s[28:29], vcc
	s_cbranch_execz .LBB2_1310
; %bb.1305:                             ;   in Loop: Header=BB2_564 Depth=4
	v_and_b32_e32 v0, 0x7c000000, v23
	v_bfe_u32 v13, v23, 24, 2
	v_cmp_ne_u32_e32 vcc, s37, v0
                                        ; implicit-def: $vgpr0
	s_and_saveexec_b64 s[68:69], vcc
	s_xor_b64 s[68:69], exec, s[68:69]
	s_cbranch_execz .LBB2_1307
; %bb.1306:                             ;   in Loop: Header=BB2_564 Depth=4
	v_ffbh_u32_e32 v15, v13
	v_min_u32_e32 v16, 32, v15
	v_subrev_u32_e32 v15, 29, v16
	v_bfe_u32 v0, v23, 26, 5
	v_lshlrev_b64 v[14:15], v15, v[14:15]
	v_sub_u32_e32 v15, 30, v16
	v_and_b32_e32 v14, 3, v14
	v_cmp_eq_u32_e32 vcc, 0, v0
	v_cndmask_b32_e32 v0, v0, v15, vcc
	v_cndmask_b32_e32 v13, v13, v14, vcc
	v_bfrev_b32_e32 v14, 28
	v_lshl_add_u32 v0, v0, 23, v14
	v_and_or_b32 v0, v23, s96, v0
	v_lshl_or_b32 v0, v13, 21, v0
                                        ; implicit-def: $vgpr13
                                        ; implicit-def: $vgpr22_vgpr23
.LBB2_1307:                             ;   in Loop: Header=BB2_564 Depth=4
	s_andn2_saveexec_b64 s[68:69], s[68:69]
; %bb.1308:                             ;   in Loop: Header=BB2_564 Depth=4
	v_cmp_lt_i64_e32 vcc, -1, v[22:23]
	v_mov_b32_e32 v0, 0xc7600000
	v_mov_b32_e32 v14, 0x47600000
	v_cndmask_b32_e32 v0, v0, v14, vcc
	v_cmp_eq_u32_e32 vcc, 0, v13
	v_mov_b32_e32 v13, 0x7f800001
	v_cndmask_b32_e32 v0, v13, v0, vcc
; %bb.1309:                             ;   in Loop: Header=BB2_564 Depth=4
	s_or_b64 exec, exec, s[68:69]
.LBB2_1310:                             ;   in Loop: Header=BB2_564 Depth=4
	s_or_b64 exec, exec, s[28:29]
.LBB2_1311:                             ;   in Loop: Header=BB2_564 Depth=4
	s_or_b64 exec, exec, s[30:31]
	v_cmp_lt_u64_e32 vcc, s[42:43], v[18:19]
	s_and_saveexec_b64 s[28:29], vcc
	s_cbranch_execz .LBB2_1319
; %bb.1312:                             ;   in Loop: Header=BB2_564 Depth=4
	v_cmp_ne_u32_e32 vcc, s97, v12
	v_bfrev_b32_e32 v7, 1
	s_and_saveexec_b64 s[30:31], vcc
	s_cbranch_execz .LBB2_1318
; %bb.1313:                             ;   in Loop: Header=BB2_564 Depth=4
	v_and_b32_e32 v7, 0x7c000000, v19
	v_bfe_u32 v13, v19, 24, 2
	v_cmp_ne_u32_e32 vcc, s37, v7
                                        ; implicit-def: $vgpr7
	s_and_saveexec_b64 s[68:69], vcc
	s_xor_b64 s[68:69], exec, s[68:69]
	s_cbranch_execz .LBB2_1315
; %bb.1314:                             ;   in Loop: Header=BB2_564 Depth=4
	v_ffbh_u32_e32 v14, v13
	v_min_u32_e32 v16, 32, v14
	v_subrev_u32_e32 v14, 29, v16
	v_bfe_u32 v7, v19, 26, 5
	v_lshlrev_b64 v[14:15], v14, v[12:13]
	v_sub_u32_e32 v12, 30, v16
	v_and_b32_e32 v14, 3, v14
	v_cmp_eq_u32_e32 vcc, 0, v7
	v_cndmask_b32_e32 v7, v7, v12, vcc
	v_cndmask_b32_e32 v12, v13, v14, vcc
	v_bfrev_b32_e32 v13, 28
	v_lshl_add_u32 v7, v7, 23, v13
	v_and_or_b32 v7, v19, s96, v7
	v_lshl_or_b32 v7, v12, 21, v7
                                        ; implicit-def: $vgpr13
                                        ; implicit-def: $vgpr18_vgpr19
.LBB2_1315:                             ;   in Loop: Header=BB2_564 Depth=4
	s_andn2_saveexec_b64 s[68:69], s[68:69]
; %bb.1316:                             ;   in Loop: Header=BB2_564 Depth=4
	v_cmp_lt_i64_e32 vcc, -1, v[18:19]
	v_mov_b32_e32 v7, 0xc7600000
	v_mov_b32_e32 v12, 0x47600000
	v_cndmask_b32_e32 v7, v7, v12, vcc
	v_cmp_eq_u32_e32 vcc, 0, v13
	v_mov_b32_e32 v12, 0x7f800001
	v_cndmask_b32_e32 v7, v12, v7, vcc
; %bb.1317:                             ;   in Loop: Header=BB2_564 Depth=4
	s_or_b64 exec, exec, s[68:69]
.LBB2_1318:                             ;   in Loop: Header=BB2_564 Depth=4
	s_or_b64 exec, exec, s[30:31]
.LBB2_1319:                             ;   in Loop: Header=BB2_564 Depth=4
	s_or_b64 exec, exec, s[28:29]
	v_max_f32_e32 v7, v7, v7
	v_max_f32_e32 v0, v0, v0
	v_min_f32_e32 v7, v0, v7
.LBB2_1320:                             ;   in Loop: Header=BB2_564 Depth=4
	v_and_b32_sdwa v0, v7, s97 dst_sel:DWORD dst_unused:UNUSED_PAD src0_sel:BYTE_3 src1_sel:DWORD
	v_and_b32_e32 v12, 0x7f800000, v7
	v_mov_b32_e32 v13, v51
	v_and_b32_e32 v50, 0x7fffff, v7
	v_or_b32_e32 v18, 0x7b, v0
	v_cmp_ne_u64_e32 vcc, s[52:53], v[12:13]
	s_and_saveexec_b64 s[28:29], vcc
	s_xor_b64 s[30:31], exec, s[28:29]
	s_cbranch_execz .LBB2_1330
; %bb.1321:                             ;   in Loop: Header=BB2_564 Depth=4
	v_and_b32_e32 v12, 0x7fffffff, v7
	v_mov_b32_e32 v13, v51
	v_cmp_gt_u64_e32 vcc, s[54:55], v[12:13]
	s_and_saveexec_b64 s[68:69], vcc
	s_cbranch_execz .LBB2_1329
; %bb.1322:                             ;   in Loop: Header=BB2_564 Depth=4
	v_cmp_ne_u32_e32 vcc, 0, v7
	v_mov_b32_e32 v18, 0
	s_and_saveexec_b64 s[70:71], vcc
	s_cbranch_execz .LBB2_1328
; %bb.1323:                             ;   in Loop: Header=BB2_564 Depth=4
	v_bfe_u32 v7, v7, 23, 8
	v_sub_u32_e32 v13, 0x71, v7
	v_cmp_gt_u32_e32 vcc, s38, v7
	v_add_u32_e32 v12, 0xffffff81, v7
	v_cndmask_b32_e32 v13, 0, v13, vcc
	v_cmp_eq_u32_e32 vcc, 0, v7
	v_mov_b32_e32 v7, 0xffffff82
	v_cndmask_b32_e32 v7, v12, v7, vcc
	v_mov_b32_e32 v12, 0x70
	v_or_b32_e32 v14, 0x800000, v50
	v_cndmask_b32_e32 v15, v13, v12, vcc
	v_cndmask_b32_e32 v50, v14, v50, vcc
	v_add_u32_e32 v12, 21, v15
	v_lshlrev_b64 v[12:13], v12, -1
	v_add_u32_e32 v14, 20, v15
	v_lshrrev_b64 v[18:19], v15, v[50:51]
	v_not_b32_e32 v13, v13
	v_not_b32_e32 v12, v12
	v_lshlrev_b64 v[16:17], v14, 1
	v_lshrrev_b32_e32 v14, 23, v18
	v_and_b32_e32 v13, 0, v13
	v_and_b32_e32 v12, v50, v12
	v_add3_u32 v15, v15, v7, v14
	v_bfe_u32 v7, v18, 21, 1
	v_add_u32_e32 v7, -1, v7
	v_cmp_eq_u64_e32 vcc, v[12:13], v[16:17]
	v_cndmask_b32_e32 v7, 0, v7, vcc
	v_add_u32_e32 v7, v7, v18
	v_and_b32_e32 v7, 0x1fffff, v7
	v_add_co_u32_e32 v12, vcc, v7, v18
	v_add_u32_e32 v14, 14, v15
	v_addc_co_u32_e32 v13, vcc, 0, v19, vcc
	v_cmp_ne_u32_e32 vcc, 0, v14
                                        ; implicit-def: $vgpr7
	s_and_saveexec_b64 s[28:29], vcc
	s_xor_b64 s[28:29], exec, s[28:29]
; %bb.1324:                             ;   in Loop: Header=BB2_564 Depth=4
	v_add_u32_e32 v7, 15, v15
	v_cmp_lt_u64_e32 vcc, s[56:57], v[12:13]
	v_cndmask_b32_e32 v7, v14, v7, vcc
	v_cndmask_b32_e64 v14, 0, 1, vcc
	v_lshrrev_b64 v[12:13], v14, v[12:13]
; %bb.1325:                             ;   in Loop: Header=BB2_564 Depth=4
	s_andn2_saveexec_b64 s[28:29], s[28:29]
; %bb.1326:                             ;   in Loop: Header=BB2_564 Depth=4
	v_bfe_u32 v7, v12, 23, 1
; %bb.1327:                             ;   in Loop: Header=BB2_564 Depth=4
	s_or_b64 exec, exec, s[28:29]
	v_lshrrev_b64 v[12:13], 21, v[12:13]
	v_cmp_gt_i32_e32 vcc, 32, v7
	v_cndmask_b32_e32 v13, 0, v13, vcc
	v_cndmask_b32_e32 v12, 3, v12, vcc
	v_cmp_eq_u32_e32 vcc, 0, v7
	v_min_i32_e32 v7, 31, v7
	v_lshlrev_b32_e32 v7, 2, v7
	v_cmp_eq_u64_e64 s[28:29], 0, v[12:13]
	v_and_b32_e32 v7, 0xfc, v7
	v_and_or_b32 v7, v12, 3, v7
	s_and_b64 s[28:29], vcc, s[28:29]
	v_cndmask_b32_e64 v7, v7, 0, s[28:29]
	v_or_b32_e32 v18, v7, v0
.LBB2_1328:                             ;   in Loop: Header=BB2_564 Depth=4
	s_or_b64 exec, exec, s[70:71]
.LBB2_1329:                             ;   in Loop: Header=BB2_564 Depth=4
	s_or_b64 exec, exec, s[68:69]
                                        ; implicit-def: $vgpr7
.LBB2_1330:                             ;   in Loop: Header=BB2_564 Depth=4
	s_andn2_saveexec_b64 s[28:29], s[30:31]
; %bb.1331:                             ;   in Loop: Header=BB2_564 Depth=4
	v_or_b32_sdwa v0, v7, s39 dst_sel:DWORD dst_unused:UNUSED_PAD src0_sel:BYTE_3 src1_sel:DWORD
	v_cmp_eq_u64_e32 vcc, 0, v[50:51]
	v_cndmask_b32_e32 v18, v0, v18, vcc
; %bb.1332:                             ;   in Loop: Header=BB2_564 Depth=4
	s_or_b64 exec, exec, s[28:29]
	v_cndmask_b32_e64 v0, 0, 1, s[66:67]
	v_cmp_ne_u32_e64 s[28:29], 1, v0
	s_andn2_b64 vcc, exec, s[66:67]
	v_cmp_ne_u16_sdwa s[30:31], v26, v51 src0_sel:BYTE_0 src1_sel:DWORD
	s_cbranch_vccnz .LBB2_1350
; %bb.1333:                             ;   in Loop: Header=BB2_564 Depth=4
	v_mov_b32_e32 v7, 0
	v_mov_b32_e32 v0, 0
	s_and_saveexec_b64 s[68:69], s[30:31]
	s_cbranch_execz .LBB2_1341
; %bb.1334:                             ;   in Loop: Header=BB2_564 Depth=4
	v_cmp_ne_u16_sdwa vcc, sext(v26), s94 src0_sel:BYTE_0 src1_sel:DWORD
	v_bfrev_b32_e32 v0, 1
	s_and_saveexec_b64 s[70:71], vcc
	s_cbranch_execz .LBB2_1340
; %bb.1335:                             ;   in Loop: Header=BB2_564 Depth=4
	v_and_b32_e32 v0, 0x7c, v26
	v_and_b32_e32 v12, 3, v26
	v_cmp_ne_u32_e32 vcc, s95, v0
                                        ; implicit-def: $vgpr0
	s_and_saveexec_b64 s[72:73], vcc
	s_xor_b64 s[72:73], exec, s[72:73]
	s_cbranch_execz .LBB2_1337
; %bb.1336:                             ;   in Loop: Header=BB2_564 Depth=4
	v_ffbh_u32_e32 v13, v12
	v_min_u32_e32 v13, 32, v13
	v_subrev_u32_e32 v14, 29, v13
	v_bfe_u32 v0, v26, 2, 5
	v_lshlrev_b64 v[14:15], v14, v[26:27]
	v_sub_u32_e32 v13, 30, v13
	v_and_b32_e32 v14, 3, v14
	v_cmp_eq_u32_e32 vcc, 0, v0
	v_cndmask_b32_e32 v0, v0, v13, vcc
	v_cndmask_b32_e32 v12, v12, v14, vcc
	v_bfrev_b32_e32 v14, 28
	v_lshlrev_b32_e32 v13, 24, v26
	v_lshl_add_u32 v0, v0, 23, v14
	v_and_or_b32 v0, v13, s96, v0
	v_lshl_or_b32 v0, v12, 21, v0
                                        ; implicit-def: $vgpr12
.LBB2_1337:                             ;   in Loop: Header=BB2_564 Depth=4
	s_andn2_saveexec_b64 s[72:73], s[72:73]
; %bb.1338:                             ;   in Loop: Header=BB2_564 Depth=4
	v_mov_b32_e32 v0, -1
	v_cmp_gt_i16_sdwa vcc, sext(v26), v0 src0_sel:BYTE_0 src1_sel:DWORD
	v_mov_b32_e32 v0, 0xc7600000
	v_mov_b32_e32 v13, 0x47600000
	v_cndmask_b32_e32 v0, v0, v13, vcc
	v_cmp_eq_u32_e32 vcc, 0, v12
	v_mov_b32_e32 v12, 0x7f800001
	v_cndmask_b32_e32 v0, v12, v0, vcc
; %bb.1339:                             ;   in Loop: Header=BB2_564 Depth=4
	s_or_b64 exec, exec, s[72:73]
.LBB2_1340:                             ;   in Loop: Header=BB2_564 Depth=4
	s_or_b64 exec, exec, s[70:71]
.LBB2_1341:                             ;   in Loop: Header=BB2_564 Depth=4
	s_or_b64 exec, exec, s[68:69]
	v_cmp_ne_u16_sdwa vcc, sext(v8), v51 src0_sel:BYTE_0 src1_sel:DWORD
	s_and_saveexec_b64 s[68:69], vcc
	s_cbranch_execz .LBB2_1349
; %bb.1342:                             ;   in Loop: Header=BB2_564 Depth=4
	v_cmp_ne_u16_sdwa vcc, sext(v8), s94 src0_sel:BYTE_0 src1_sel:DWORD
	v_bfrev_b32_e32 v7, 1
	s_and_saveexec_b64 s[70:71], vcc
	s_cbranch_execz .LBB2_1348
; %bb.1343:                             ;   in Loop: Header=BB2_564 Depth=4
	v_and_b32_e32 v7, 0x7c, v8
	v_and_b32_e32 v12, 3, v8
	v_cmp_ne_u32_e32 vcc, s95, v7
                                        ; implicit-def: $vgpr7
	s_and_saveexec_b64 s[72:73], vcc
	s_xor_b64 s[72:73], exec, s[72:73]
	s_cbranch_execz .LBB2_1345
; %bb.1344:                             ;   in Loop: Header=BB2_564 Depth=4
	v_ffbh_u32_e32 v13, v12
	v_min_u32_e32 v13, 32, v13
	v_subrev_u32_e32 v14, 29, v13
	v_bfe_u32 v7, v8, 2, 5
	v_lshlrev_b64 v[14:15], v14, v[8:9]
	v_sub_u32_e32 v13, 30, v13
	v_and_b32_e32 v14, 3, v14
	v_cmp_eq_u32_e32 vcc, 0, v7
	v_cndmask_b32_e32 v7, v7, v13, vcc
	v_cndmask_b32_e32 v12, v12, v14, vcc
	v_bfrev_b32_e32 v14, 28
	v_lshlrev_b32_e32 v13, 24, v8
	v_lshl_add_u32 v7, v7, 23, v14
	v_and_or_b32 v7, v13, s96, v7
	v_lshl_or_b32 v7, v12, 21, v7
                                        ; implicit-def: $vgpr12
.LBB2_1345:                             ;   in Loop: Header=BB2_564 Depth=4
	s_andn2_saveexec_b64 s[72:73], s[72:73]
; %bb.1346:                             ;   in Loop: Header=BB2_564 Depth=4
	v_mov_b32_e32 v7, -1
	v_cmp_gt_i16_sdwa vcc, sext(v8), v7 src0_sel:BYTE_0 src1_sel:DWORD
	v_mov_b32_e32 v7, 0xc7600000
	v_mov_b32_e32 v13, 0x47600000
	v_cndmask_b32_e32 v7, v7, v13, vcc
	v_cmp_eq_u32_e32 vcc, 0, v12
	v_mov_b32_e32 v12, 0x7f800001
	v_cndmask_b32_e32 v7, v12, v7, vcc
; %bb.1347:                             ;   in Loop: Header=BB2_564 Depth=4
	s_or_b64 exec, exec, s[72:73]
.LBB2_1348:                             ;   in Loop: Header=BB2_564 Depth=4
	s_or_b64 exec, exec, s[70:71]
.LBB2_1349:                             ;   in Loop: Header=BB2_564 Depth=4
	s_or_b64 exec, exec, s[68:69]
	v_max_f32_e32 v7, v7, v7
	v_max_f32_e32 v0, v0, v0
	;; [unrolled: 1-line block ×3, first 2 shown]
	s_branch .LBB2_1368
.LBB2_1350:                             ;   in Loop: Header=BB2_564 Depth=4
                                        ; implicit-def: $vgpr7
	s_cbranch_execz .LBB2_1368
; %bb.1351:                             ;   in Loop: Header=BB2_564 Depth=4
	v_mov_b32_e32 v7, 0
	v_mov_b32_e32 v0, 0
	s_and_saveexec_b64 s[68:69], s[30:31]
	s_cbranch_execz .LBB2_1359
; %bb.1352:                             ;   in Loop: Header=BB2_564 Depth=4
	v_cmp_ne_u16_sdwa vcc, sext(v26), s94 src0_sel:BYTE_0 src1_sel:DWORD
	v_bfrev_b32_e32 v0, 1
	s_and_saveexec_b64 s[30:31], vcc
	s_cbranch_execz .LBB2_1358
; %bb.1353:                             ;   in Loop: Header=BB2_564 Depth=4
	v_and_b32_e32 v0, 0x7c, v26
	v_and_b32_e32 v12, 3, v26
	v_cmp_ne_u32_e32 vcc, s95, v0
                                        ; implicit-def: $vgpr0
	s_and_saveexec_b64 s[70:71], vcc
	s_xor_b64 s[70:71], exec, s[70:71]
	s_cbranch_execz .LBB2_1355
; %bb.1354:                             ;   in Loop: Header=BB2_564 Depth=4
	v_ffbh_u32_e32 v13, v12
	v_min_u32_e32 v13, 32, v13
	v_subrev_u32_e32 v14, 29, v13
	v_bfe_u32 v0, v26, 2, 5
	v_lshlrev_b64 v[14:15], v14, v[26:27]
	v_sub_u32_e32 v13, 30, v13
	v_and_b32_e32 v14, 3, v14
	v_cmp_eq_u32_e32 vcc, 0, v0
	v_cndmask_b32_e32 v0, v0, v13, vcc
	v_cndmask_b32_e32 v12, v12, v14, vcc
	v_bfrev_b32_e32 v14, 28
	v_lshlrev_b32_e32 v13, 24, v26
	v_lshl_add_u32 v0, v0, 23, v14
	v_and_or_b32 v0, v13, s96, v0
	v_lshl_or_b32 v0, v12, 21, v0
                                        ; implicit-def: $vgpr12
.LBB2_1355:                             ;   in Loop: Header=BB2_564 Depth=4
	s_andn2_saveexec_b64 s[70:71], s[70:71]
; %bb.1356:                             ;   in Loop: Header=BB2_564 Depth=4
	v_mov_b32_e32 v0, -1
	v_cmp_gt_i16_sdwa vcc, sext(v26), v0 src0_sel:BYTE_0 src1_sel:DWORD
	v_mov_b32_e32 v0, 0xc7600000
	v_mov_b32_e32 v13, 0x47600000
	v_cndmask_b32_e32 v0, v0, v13, vcc
	v_cmp_eq_u32_e32 vcc, 0, v12
	v_mov_b32_e32 v12, 0x7f800001
	v_cndmask_b32_e32 v0, v12, v0, vcc
; %bb.1357:                             ;   in Loop: Header=BB2_564 Depth=4
	s_or_b64 exec, exec, s[70:71]
.LBB2_1358:                             ;   in Loop: Header=BB2_564 Depth=4
	s_or_b64 exec, exec, s[30:31]
.LBB2_1359:                             ;   in Loop: Header=BB2_564 Depth=4
	s_or_b64 exec, exec, s[68:69]
	v_cmp_ne_u16_sdwa vcc, sext(v8), v51 src0_sel:BYTE_0 src1_sel:DWORD
	s_and_saveexec_b64 s[30:31], vcc
	s_cbranch_execz .LBB2_1367
; %bb.1360:                             ;   in Loop: Header=BB2_564 Depth=4
	v_cmp_ne_u16_sdwa vcc, sext(v8), s94 src0_sel:BYTE_0 src1_sel:DWORD
	v_bfrev_b32_e32 v7, 1
	s_and_saveexec_b64 s[68:69], vcc
	s_cbranch_execz .LBB2_1366
; %bb.1361:                             ;   in Loop: Header=BB2_564 Depth=4
	v_and_b32_e32 v7, 0x7c, v8
	v_and_b32_e32 v12, 3, v8
	v_cmp_ne_u32_e32 vcc, s95, v7
                                        ; implicit-def: $vgpr7
	s_and_saveexec_b64 s[70:71], vcc
	s_xor_b64 s[70:71], exec, s[70:71]
	s_cbranch_execz .LBB2_1363
; %bb.1362:                             ;   in Loop: Header=BB2_564 Depth=4
	v_ffbh_u32_e32 v13, v12
	v_min_u32_e32 v13, 32, v13
	v_subrev_u32_e32 v14, 29, v13
	v_bfe_u32 v7, v8, 2, 5
	v_lshlrev_b64 v[14:15], v14, v[8:9]
	v_sub_u32_e32 v13, 30, v13
	v_and_b32_e32 v14, 3, v14
	v_cmp_eq_u32_e32 vcc, 0, v7
	v_cndmask_b32_e32 v7, v7, v13, vcc
	v_cndmask_b32_e32 v12, v12, v14, vcc
	v_bfrev_b32_e32 v14, 28
	v_lshlrev_b32_e32 v13, 24, v8
	v_lshl_add_u32 v7, v7, 23, v14
	v_and_or_b32 v7, v13, s96, v7
	v_lshl_or_b32 v7, v12, 21, v7
                                        ; implicit-def: $vgpr12
.LBB2_1363:                             ;   in Loop: Header=BB2_564 Depth=4
	s_andn2_saveexec_b64 s[70:71], s[70:71]
; %bb.1364:                             ;   in Loop: Header=BB2_564 Depth=4
	v_mov_b32_e32 v7, -1
	v_cmp_gt_i16_sdwa vcc, sext(v8), v7 src0_sel:BYTE_0 src1_sel:DWORD
	v_mov_b32_e32 v7, 0xc7600000
	v_mov_b32_e32 v13, 0x47600000
	v_cndmask_b32_e32 v7, v7, v13, vcc
	v_cmp_eq_u32_e32 vcc, 0, v12
	v_mov_b32_e32 v12, 0x7f800001
	v_cndmask_b32_e32 v7, v12, v7, vcc
; %bb.1365:                             ;   in Loop: Header=BB2_564 Depth=4
	s_or_b64 exec, exec, s[70:71]
.LBB2_1366:                             ;   in Loop: Header=BB2_564 Depth=4
	s_or_b64 exec, exec, s[68:69]
.LBB2_1367:                             ;   in Loop: Header=BB2_564 Depth=4
	s_or_b64 exec, exec, s[30:31]
	v_max_f32_e32 v7, v7, v7
	v_max_f32_e32 v0, v0, v0
	v_min_f32_e32 v7, v0, v7
.LBB2_1368:                             ;   in Loop: Header=BB2_564 Depth=4
	v_and_b32_sdwa v0, v7, s97 dst_sel:DWORD dst_unused:UNUSED_PAD src0_sel:BYTE_3 src1_sel:DWORD
	v_and_b32_e32 v12, 0x7f800000, v7
	v_mov_b32_e32 v13, v51
	v_and_b32_e32 v50, 0x7fffff, v7
	v_or_b32_e32 v19, 0x7b, v0
	v_cmp_ne_u64_e32 vcc, s[52:53], v[12:13]
	s_and_saveexec_b64 s[30:31], vcc
	s_xor_b64 s[68:69], exec, s[30:31]
	s_cbranch_execz .LBB2_1378
; %bb.1369:                             ;   in Loop: Header=BB2_564 Depth=4
	v_and_b32_e32 v12, 0x7fffffff, v7
	v_mov_b32_e32 v13, v51
	v_cmp_gt_u64_e32 vcc, s[54:55], v[12:13]
	s_and_saveexec_b64 s[70:71], vcc
	s_cbranch_execz .LBB2_1377
; %bb.1370:                             ;   in Loop: Header=BB2_564 Depth=4
	v_cmp_ne_u32_e32 vcc, 0, v7
	v_mov_b32_e32 v19, 0
	s_and_saveexec_b64 s[72:73], vcc
	s_cbranch_execz .LBB2_1376
; %bb.1371:                             ;   in Loop: Header=BB2_564 Depth=4
	v_bfe_u32 v7, v7, 23, 8
	v_sub_u32_e32 v13, 0x71, v7
	v_cmp_gt_u32_e32 vcc, s38, v7
	v_add_u32_e32 v12, 0xffffff81, v7
	v_cndmask_b32_e32 v13, 0, v13, vcc
	v_cmp_eq_u32_e32 vcc, 0, v7
	v_mov_b32_e32 v7, 0xffffff82
	v_cndmask_b32_e32 v7, v12, v7, vcc
	v_mov_b32_e32 v12, 0x70
	v_or_b32_e32 v14, 0x800000, v50
	v_cndmask_b32_e32 v15, v13, v12, vcc
	v_cndmask_b32_e32 v50, v14, v50, vcc
	v_add_u32_e32 v12, 21, v15
	v_lshlrev_b64 v[12:13], v12, -1
	v_add_u32_e32 v14, 20, v15
	v_lshrrev_b64 v[22:23], v15, v[50:51]
	v_not_b32_e32 v13, v13
	v_not_b32_e32 v12, v12
	v_lshlrev_b64 v[16:17], v14, 1
	v_lshrrev_b32_e32 v14, 23, v22
	v_and_b32_e32 v13, 0, v13
	v_and_b32_e32 v12, v50, v12
	v_add3_u32 v15, v15, v7, v14
	v_bfe_u32 v7, v22, 21, 1
	v_add_u32_e32 v7, -1, v7
	v_cmp_eq_u64_e32 vcc, v[12:13], v[16:17]
	v_cndmask_b32_e32 v7, 0, v7, vcc
	v_add_u32_e32 v7, v7, v22
	v_and_b32_e32 v7, 0x1fffff, v7
	v_add_co_u32_e32 v12, vcc, v7, v22
	v_add_u32_e32 v14, 14, v15
	v_addc_co_u32_e32 v13, vcc, 0, v23, vcc
	v_cmp_ne_u32_e32 vcc, 0, v14
                                        ; implicit-def: $vgpr7
	s_and_saveexec_b64 s[30:31], vcc
	s_xor_b64 s[30:31], exec, s[30:31]
; %bb.1372:                             ;   in Loop: Header=BB2_564 Depth=4
	v_add_u32_e32 v7, 15, v15
	v_cmp_lt_u64_e32 vcc, s[56:57], v[12:13]
	v_cndmask_b32_e32 v7, v14, v7, vcc
	v_cndmask_b32_e64 v14, 0, 1, vcc
	v_lshrrev_b64 v[12:13], v14, v[12:13]
; %bb.1373:                             ;   in Loop: Header=BB2_564 Depth=4
	s_andn2_saveexec_b64 vcc, s[30:31]
; %bb.1374:                             ;   in Loop: Header=BB2_564 Depth=4
	v_bfe_u32 v7, v12, 23, 1
; %bb.1375:                             ;   in Loop: Header=BB2_564 Depth=4
	s_or_b64 exec, exec, vcc
	v_lshrrev_b64 v[12:13], 21, v[12:13]
	v_cmp_gt_i32_e32 vcc, 32, v7
	v_cndmask_b32_e32 v13, 0, v13, vcc
	v_cndmask_b32_e32 v12, 3, v12, vcc
	v_cmp_eq_u32_e32 vcc, 0, v7
	v_min_i32_e32 v7, 31, v7
	v_cmp_eq_u64_e64 s[30:31], 0, v[12:13]
	v_lshlrev_b32_e32 v7, 2, v7
	v_and_or_b32 v7, v12, 3, v7
	s_and_b64 vcc, vcc, s[30:31]
	v_cndmask_b32_e64 v7, v7, 0, vcc
	v_or_b32_e32 v19, v7, v0
.LBB2_1376:                             ;   in Loop: Header=BB2_564 Depth=4
	s_or_b64 exec, exec, s[72:73]
.LBB2_1377:                             ;   in Loop: Header=BB2_564 Depth=4
	s_or_b64 exec, exec, s[70:71]
                                        ; implicit-def: $vgpr7
.LBB2_1378:                             ;   in Loop: Header=BB2_564 Depth=4
	s_andn2_saveexec_b64 s[30:31], s[68:69]
; %bb.1379:                             ;   in Loop: Header=BB2_564 Depth=4
	v_or_b32_sdwa v0, v7, s39 dst_sel:DWORD dst_unused:UNUSED_PAD src0_sel:BYTE_3 src1_sel:DWORD
	v_cmp_eq_u64_e32 vcc, 0, v[50:51]
	v_cndmask_b32_e32 v19, v0, v19, vcc
; %bb.1380:                             ;   in Loop: Header=BB2_564 Depth=4
	s_or_b64 exec, exec, s[30:31]
	v_lshrrev_b16_e32 v50, 8, v26
	v_lshrrev_b16_e32 v12, 8, v8
	s_and_b64 vcc, exec, s[28:29]
	v_cmp_ne_u16_e64 s[30:31], 0, v50
	s_cbranch_vccnz .LBB2_1398
; %bb.1381:                             ;   in Loop: Header=BB2_564 Depth=4
	v_mov_b32_e32 v7, 0
	v_mov_b32_e32 v0, 0
	s_and_saveexec_b64 s[68:69], s[30:31]
	s_cbranch_execz .LBB2_1389
; %bb.1382:                             ;   in Loop: Header=BB2_564 Depth=4
	v_cmp_ne_u16_e32 vcc, s97, v50
	v_bfrev_b32_e32 v0, 1
	s_and_saveexec_b64 s[70:71], vcc
	s_cbranch_execz .LBB2_1388
; %bb.1383:                             ;   in Loop: Header=BB2_564 Depth=4
	v_and_b32_e32 v0, 0x7c, v50
	v_and_b32_e32 v13, 3, v50
	v_cmp_ne_u32_e32 vcc, s95, v0
                                        ; implicit-def: $vgpr0
	s_and_saveexec_b64 s[72:73], vcc
	s_xor_b64 s[72:73], exec, s[72:73]
	s_cbranch_execz .LBB2_1385
; %bb.1384:                             ;   in Loop: Header=BB2_564 Depth=4
	v_ffbh_u32_e32 v14, v13
	v_min_u32_e32 v16, 32, v14
	v_subrev_u32_e32 v14, 29, v16
	v_bfe_u32 v0, v50, 2, 5
	v_lshlrev_b64 v[14:15], v14, v[50:51]
	v_sub_u32_e32 v15, 30, v16
	v_cmp_eq_u32_e32 vcc, 0, v0
	v_and_b32_e32 v14, 3, v14
	v_cndmask_b32_e32 v0, v0, v15, vcc
	v_bfrev_b32_e32 v15, 28
	v_cndmask_b32_e32 v13, v13, v14, vcc
	v_lshlrev_b32_e32 v14, 16, v26
	v_lshl_add_u32 v0, v0, 23, v15
	v_and_or_b32 v0, v14, s96, v0
	v_lshl_or_b32 v0, v13, 21, v0
                                        ; implicit-def: $vgpr13
.LBB2_1385:                             ;   in Loop: Header=BB2_564 Depth=4
	s_andn2_saveexec_b64 s[72:73], s[72:73]
; %bb.1386:                             ;   in Loop: Header=BB2_564 Depth=4
	v_cmp_lt_i16_e32 vcc, -1, v26
	v_mov_b32_e32 v0, 0xc7600000
	v_mov_b32_e32 v14, 0x47600000
	v_cndmask_b32_e32 v0, v0, v14, vcc
	v_cmp_eq_u32_e32 vcc, 0, v13
	v_mov_b32_e32 v13, 0x7f800001
	v_cndmask_b32_e32 v0, v13, v0, vcc
; %bb.1387:                             ;   in Loop: Header=BB2_564 Depth=4
	s_or_b64 exec, exec, s[72:73]
.LBB2_1388:                             ;   in Loop: Header=BB2_564 Depth=4
	s_or_b64 exec, exec, s[70:71]
.LBB2_1389:                             ;   in Loop: Header=BB2_564 Depth=4
	s_or_b64 exec, exec, s[68:69]
	v_cmp_ne_u16_e32 vcc, 0, v12
	s_and_saveexec_b64 s[68:69], vcc
	s_cbranch_execz .LBB2_1397
; %bb.1390:                             ;   in Loop: Header=BB2_564 Depth=4
	v_cmp_ne_u16_e32 vcc, s97, v12
	v_bfrev_b32_e32 v7, 1
	s_and_saveexec_b64 s[70:71], vcc
	s_cbranch_execz .LBB2_1396
; %bb.1391:                             ;   in Loop: Header=BB2_564 Depth=4
	v_and_b32_e32 v7, 0x7c, v12
	v_and_b32_e32 v14, 3, v12
	v_cmp_ne_u32_e32 vcc, s95, v7
                                        ; implicit-def: $vgpr7
	s_and_saveexec_b64 s[72:73], vcc
	s_xor_b64 s[72:73], exec, s[72:73]
	s_cbranch_execz .LBB2_1393
; %bb.1392:                             ;   in Loop: Header=BB2_564 Depth=4
	v_ffbh_u32_e32 v15, v14
	v_min_u32_e32 v15, 32, v15
	v_mov_b32_e32 v13, v51
	v_subrev_u32_e32 v16, 29, v15
	v_bfe_u32 v7, v12, 2, 5
	v_lshlrev_b64 v[16:17], v16, v[12:13]
	v_sub_u32_e32 v13, 30, v15
	v_and_b32_e32 v15, 3, v16
	v_cmp_eq_u32_e32 vcc, 0, v7
	v_cndmask_b32_e32 v7, v7, v13, vcc
	v_cndmask_b32_e32 v13, v14, v15, vcc
	v_bfrev_b32_e32 v15, 28
	v_lshlrev_b32_e32 v14, 16, v8
	v_lshl_add_u32 v7, v7, 23, v15
	v_and_or_b32 v7, v14, s96, v7
	v_lshl_or_b32 v7, v13, 21, v7
                                        ; implicit-def: $vgpr14
.LBB2_1393:                             ;   in Loop: Header=BB2_564 Depth=4
	s_andn2_saveexec_b64 s[72:73], s[72:73]
; %bb.1394:                             ;   in Loop: Header=BB2_564 Depth=4
	v_cmp_lt_i16_e32 vcc, -1, v8
	v_mov_b32_e32 v7, 0xc7600000
	v_mov_b32_e32 v13, 0x47600000
	v_cndmask_b32_e32 v7, v7, v13, vcc
	v_cmp_eq_u32_e32 vcc, 0, v14
	v_mov_b32_e32 v13, 0x7f800001
	v_cndmask_b32_e32 v7, v13, v7, vcc
; %bb.1395:                             ;   in Loop: Header=BB2_564 Depth=4
	s_or_b64 exec, exec, s[72:73]
.LBB2_1396:                             ;   in Loop: Header=BB2_564 Depth=4
	s_or_b64 exec, exec, s[70:71]
.LBB2_1397:                             ;   in Loop: Header=BB2_564 Depth=4
	s_or_b64 exec, exec, s[68:69]
	v_max_f32_e32 v7, v7, v7
	v_max_f32_e32 v0, v0, v0
	;; [unrolled: 1-line block ×3, first 2 shown]
	s_branch .LBB2_1416
.LBB2_1398:                             ;   in Loop: Header=BB2_564 Depth=4
                                        ; implicit-def: $vgpr7
	s_cbranch_execz .LBB2_1416
; %bb.1399:                             ;   in Loop: Header=BB2_564 Depth=4
	v_mov_b32_e32 v7, 0
	v_mov_b32_e32 v0, 0
	s_and_saveexec_b64 s[68:69], s[30:31]
	s_cbranch_execz .LBB2_1407
; %bb.1400:                             ;   in Loop: Header=BB2_564 Depth=4
	v_cmp_ne_u16_e32 vcc, s97, v50
	v_bfrev_b32_e32 v0, 1
	s_and_saveexec_b64 s[30:31], vcc
	s_cbranch_execz .LBB2_1406
; %bb.1401:                             ;   in Loop: Header=BB2_564 Depth=4
	v_and_b32_e32 v0, 0x7c, v50
	v_and_b32_e32 v13, 3, v50
	v_cmp_ne_u32_e32 vcc, s95, v0
                                        ; implicit-def: $vgpr0
	s_and_saveexec_b64 s[70:71], vcc
	s_xor_b64 s[70:71], exec, s[70:71]
	s_cbranch_execz .LBB2_1403
; %bb.1402:                             ;   in Loop: Header=BB2_564 Depth=4
	v_ffbh_u32_e32 v14, v13
	v_min_u32_e32 v16, 32, v14
	v_subrev_u32_e32 v14, 29, v16
	v_bfe_u32 v0, v50, 2, 5
	v_lshlrev_b64 v[14:15], v14, v[50:51]
	v_sub_u32_e32 v15, 30, v16
	v_cmp_eq_u32_e32 vcc, 0, v0
	v_and_b32_e32 v14, 3, v14
	v_cndmask_b32_e32 v0, v0, v15, vcc
	v_bfrev_b32_e32 v15, 28
	v_cndmask_b32_e32 v13, v13, v14, vcc
	v_lshlrev_b32_e32 v14, 16, v26
	v_lshl_add_u32 v0, v0, 23, v15
	v_and_or_b32 v0, v14, s96, v0
	v_lshl_or_b32 v0, v13, 21, v0
                                        ; implicit-def: $vgpr13
.LBB2_1403:                             ;   in Loop: Header=BB2_564 Depth=4
	s_andn2_saveexec_b64 s[70:71], s[70:71]
; %bb.1404:                             ;   in Loop: Header=BB2_564 Depth=4
	v_cmp_lt_i16_e32 vcc, -1, v26
	v_mov_b32_e32 v0, 0xc7600000
	v_mov_b32_e32 v14, 0x47600000
	v_cndmask_b32_e32 v0, v0, v14, vcc
	v_cmp_eq_u32_e32 vcc, 0, v13
	v_mov_b32_e32 v13, 0x7f800001
	v_cndmask_b32_e32 v0, v13, v0, vcc
; %bb.1405:                             ;   in Loop: Header=BB2_564 Depth=4
	s_or_b64 exec, exec, s[70:71]
.LBB2_1406:                             ;   in Loop: Header=BB2_564 Depth=4
	s_or_b64 exec, exec, s[30:31]
.LBB2_1407:                             ;   in Loop: Header=BB2_564 Depth=4
	s_or_b64 exec, exec, s[68:69]
	v_cmp_ne_u16_e32 vcc, 0, v12
	s_and_saveexec_b64 s[30:31], vcc
	s_cbranch_execz .LBB2_1415
; %bb.1408:                             ;   in Loop: Header=BB2_564 Depth=4
	v_cmp_ne_u16_e32 vcc, s97, v12
	v_bfrev_b32_e32 v7, 1
	s_and_saveexec_b64 s[68:69], vcc
	s_cbranch_execz .LBB2_1414
; %bb.1409:                             ;   in Loop: Header=BB2_564 Depth=4
	v_and_b32_e32 v7, 0x7c, v12
	v_and_b32_e32 v14, 3, v12
	v_cmp_ne_u32_e32 vcc, s95, v7
                                        ; implicit-def: $vgpr7
	s_and_saveexec_b64 s[70:71], vcc
	s_xor_b64 s[70:71], exec, s[70:71]
	s_cbranch_execz .LBB2_1411
; %bb.1410:                             ;   in Loop: Header=BB2_564 Depth=4
	v_ffbh_u32_e32 v15, v14
	v_min_u32_e32 v15, 32, v15
	v_mov_b32_e32 v13, v51
	v_subrev_u32_e32 v16, 29, v15
	v_bfe_u32 v7, v12, 2, 5
	v_lshlrev_b64 v[12:13], v16, v[12:13]
	v_sub_u32_e32 v13, 30, v15
	v_and_b32_e32 v12, 3, v12
	v_cmp_eq_u32_e32 vcc, 0, v7
	v_cndmask_b32_e32 v7, v7, v13, vcc
	v_cndmask_b32_e32 v12, v14, v12, vcc
	v_bfrev_b32_e32 v14, 28
	v_lshlrev_b32_e32 v13, 16, v8
	v_lshl_add_u32 v7, v7, 23, v14
	v_and_or_b32 v7, v13, s96, v7
	v_lshl_or_b32 v7, v12, 21, v7
                                        ; implicit-def: $vgpr14
.LBB2_1411:                             ;   in Loop: Header=BB2_564 Depth=4
	s_andn2_saveexec_b64 s[70:71], s[70:71]
; %bb.1412:                             ;   in Loop: Header=BB2_564 Depth=4
	v_cmp_lt_i16_e32 vcc, -1, v8
	v_mov_b32_e32 v7, 0xc7600000
	v_mov_b32_e32 v12, 0x47600000
	v_cndmask_b32_e32 v7, v7, v12, vcc
	v_cmp_eq_u32_e32 vcc, 0, v14
	v_mov_b32_e32 v12, 0x7f800001
	v_cndmask_b32_e32 v7, v12, v7, vcc
; %bb.1413:                             ;   in Loop: Header=BB2_564 Depth=4
	s_or_b64 exec, exec, s[70:71]
.LBB2_1414:                             ;   in Loop: Header=BB2_564 Depth=4
	s_or_b64 exec, exec, s[68:69]
.LBB2_1415:                             ;   in Loop: Header=BB2_564 Depth=4
	s_or_b64 exec, exec, s[30:31]
	v_max_f32_e32 v7, v7, v7
	v_max_f32_e32 v0, v0, v0
	v_min_f32_e32 v7, v0, v7
.LBB2_1416:                             ;   in Loop: Header=BB2_564 Depth=4
	v_and_b32_sdwa v0, v7, s97 dst_sel:DWORD dst_unused:UNUSED_PAD src0_sel:BYTE_3 src1_sel:DWORD
	v_and_b32_e32 v12, 0x7f800000, v7
	v_mov_b32_e32 v13, v51
	v_and_b32_e32 v50, 0x7fffff, v7
	v_or_b32_e32 v22, 0x7b, v0
	v_cmp_ne_u64_e32 vcc, s[52:53], v[12:13]
	s_and_saveexec_b64 s[30:31], vcc
	s_xor_b64 s[68:69], exec, s[30:31]
	s_cbranch_execz .LBB2_1426
; %bb.1417:                             ;   in Loop: Header=BB2_564 Depth=4
	v_and_b32_e32 v12, 0x7fffffff, v7
	v_mov_b32_e32 v13, v51
	v_cmp_gt_u64_e32 vcc, s[54:55], v[12:13]
	s_and_saveexec_b64 s[70:71], vcc
	s_cbranch_execz .LBB2_1425
; %bb.1418:                             ;   in Loop: Header=BB2_564 Depth=4
	v_cmp_ne_u32_e32 vcc, 0, v7
	v_mov_b32_e32 v22, 0
	s_and_saveexec_b64 s[72:73], vcc
	s_cbranch_execz .LBB2_1424
; %bb.1419:                             ;   in Loop: Header=BB2_564 Depth=4
	v_bfe_u32 v7, v7, 23, 8
	v_sub_u32_e32 v13, 0x71, v7
	v_cmp_gt_u32_e32 vcc, s38, v7
	v_add_u32_e32 v12, 0xffffff81, v7
	v_cndmask_b32_e32 v13, 0, v13, vcc
	v_cmp_eq_u32_e32 vcc, 0, v7
	v_mov_b32_e32 v7, 0xffffff82
	v_cndmask_b32_e32 v7, v12, v7, vcc
	v_mov_b32_e32 v12, 0x70
	v_or_b32_e32 v14, 0x800000, v50
	v_cndmask_b32_e32 v15, v13, v12, vcc
	v_cndmask_b32_e32 v50, v14, v50, vcc
	v_add_u32_e32 v12, 21, v15
	v_lshlrev_b64 v[12:13], v12, -1
	v_add_u32_e32 v14, 20, v15
	v_lshrrev_b64 v[22:23], v15, v[50:51]
	v_not_b32_e32 v13, v13
	v_not_b32_e32 v12, v12
	v_lshlrev_b64 v[16:17], v14, 1
	v_lshrrev_b32_e32 v14, 23, v22
	v_and_b32_e32 v13, 0, v13
	v_and_b32_e32 v12, v50, v12
	v_add3_u32 v15, v15, v7, v14
	v_bfe_u32 v7, v22, 21, 1
	v_add_u32_e32 v7, -1, v7
	v_cmp_eq_u64_e32 vcc, v[12:13], v[16:17]
	v_cndmask_b32_e32 v7, 0, v7, vcc
	v_add_u32_e32 v7, v7, v22
	v_and_b32_e32 v7, 0x1fffff, v7
	v_add_co_u32_e32 v12, vcc, v7, v22
	v_add_u32_e32 v14, 14, v15
	v_addc_co_u32_e32 v13, vcc, 0, v23, vcc
	v_cmp_ne_u32_e32 vcc, 0, v14
                                        ; implicit-def: $vgpr7
	s_and_saveexec_b64 s[30:31], vcc
	s_xor_b64 s[30:31], exec, s[30:31]
; %bb.1420:                             ;   in Loop: Header=BB2_564 Depth=4
	v_add_u32_e32 v7, 15, v15
	v_cmp_lt_u64_e32 vcc, s[56:57], v[12:13]
	v_cndmask_b32_e32 v7, v14, v7, vcc
	v_cndmask_b32_e64 v14, 0, 1, vcc
	v_lshrrev_b64 v[12:13], v14, v[12:13]
; %bb.1421:                             ;   in Loop: Header=BB2_564 Depth=4
	s_andn2_saveexec_b64 vcc, s[30:31]
; %bb.1422:                             ;   in Loop: Header=BB2_564 Depth=4
	v_bfe_u32 v7, v12, 23, 1
; %bb.1423:                             ;   in Loop: Header=BB2_564 Depth=4
	s_or_b64 exec, exec, vcc
	v_lshrrev_b64 v[12:13], 21, v[12:13]
	v_cmp_gt_i32_e32 vcc, 32, v7
	v_cndmask_b32_e32 v13, 0, v13, vcc
	v_cndmask_b32_e32 v12, 3, v12, vcc
	v_cmp_eq_u32_e32 vcc, 0, v7
	v_min_i32_e32 v7, 31, v7
	v_cmp_eq_u64_e64 s[30:31], 0, v[12:13]
	v_lshlrev_b32_e32 v7, 2, v7
	v_and_or_b32 v7, v12, 3, v7
	s_and_b64 vcc, vcc, s[30:31]
	v_cndmask_b32_e64 v7, v7, 0, vcc
	v_or_b32_e32 v22, v7, v0
.LBB2_1424:                             ;   in Loop: Header=BB2_564 Depth=4
	s_or_b64 exec, exec, s[72:73]
.LBB2_1425:                             ;   in Loop: Header=BB2_564 Depth=4
	s_or_b64 exec, exec, s[70:71]
                                        ; implicit-def: $vgpr7
.LBB2_1426:                             ;   in Loop: Header=BB2_564 Depth=4
	s_andn2_saveexec_b64 s[30:31], s[68:69]
; %bb.1427:                             ;   in Loop: Header=BB2_564 Depth=4
	v_or_b32_sdwa v0, v7, s39 dst_sel:DWORD dst_unused:UNUSED_PAD src0_sel:BYTE_3 src1_sel:DWORD
	v_cmp_eq_u64_e32 vcc, 0, v[50:51]
	v_cndmask_b32_e32 v22, v0, v22, vcc
; %bb.1428:                             ;   in Loop: Header=BB2_564 Depth=4
	s_or_b64 exec, exec, s[30:31]
	v_lshrrev_b32_e32 v14, 16, v26
	v_lshrrev_b32_e32 v12, 16, v8
	s_and_b64 vcc, exec, s[28:29]
	v_cmp_ne_u16_sdwa s[30:31], v14, v51 src0_sel:BYTE_0 src1_sel:DWORD
	s_cbranch_vccnz .LBB2_1446
; %bb.1429:                             ;   in Loop: Header=BB2_564 Depth=4
	v_mov_b32_e32 v7, 0
	v_mov_b32_e32 v0, 0
	s_and_saveexec_b64 s[68:69], s[30:31]
	s_cbranch_execz .LBB2_1437
; %bb.1430:                             ;   in Loop: Header=BB2_564 Depth=4
	v_cmp_ne_u16_sdwa vcc, v14, s97 src0_sel:BYTE_0 src1_sel:DWORD
	v_bfrev_b32_e32 v0, 1
	s_and_saveexec_b64 s[70:71], vcc
	s_cbranch_execz .LBB2_1436
; %bb.1431:                             ;   in Loop: Header=BB2_564 Depth=4
	v_and_b32_e32 v0, 0x7c0000, v26
	v_bfe_u32 v13, v26, 16, 2
	v_cmp_ne_u32_e32 vcc, s36, v0
                                        ; implicit-def: $vgpr0
	s_and_saveexec_b64 s[72:73], vcc
	s_xor_b64 s[72:73], exec, s[72:73]
	s_cbranch_execz .LBB2_1433
; %bb.1432:                             ;   in Loop: Header=BB2_564 Depth=4
	v_ffbh_u32_e32 v15, v13
	v_min_u32_e32 v15, 32, v15
	v_subrev_u32_e32 v16, 29, v15
	v_bfe_u32 v0, v26, 18, 5
	v_lshlrev_b64 v[16:17], v16, v[14:15]
	v_sub_u32_e32 v15, 30, v15
	v_and_b32_e32 v16, 3, v16
	v_cmp_eq_u32_e32 vcc, 0, v0
	v_cndmask_b32_e32 v0, v0, v15, vcc
	v_cndmask_b32_e32 v13, v13, v16, vcc
	v_bfrev_b32_e32 v16, 28
	v_lshlrev_b32_e32 v15, 24, v14
	v_lshl_add_u32 v0, v0, 23, v16
	v_and_or_b32 v0, v15, s96, v0
	v_lshl_or_b32 v0, v13, 21, v0
                                        ; implicit-def: $vgpr13
.LBB2_1433:                             ;   in Loop: Header=BB2_564 Depth=4
	s_andn2_saveexec_b64 s[72:73], s[72:73]
; %bb.1434:                             ;   in Loop: Header=BB2_564 Depth=4
	v_mov_b32_e32 v0, -1
	v_cmp_gt_i16_sdwa vcc, sext(v14), v0 src0_sel:BYTE_0 src1_sel:DWORD
	v_mov_b32_e32 v0, 0xc7600000
	v_mov_b32_e32 v15, 0x47600000
	v_cndmask_b32_e32 v0, v0, v15, vcc
	v_cmp_eq_u32_e32 vcc, 0, v13
	v_mov_b32_e32 v13, 0x7f800001
	v_cndmask_b32_e32 v0, v13, v0, vcc
; %bb.1435:                             ;   in Loop: Header=BB2_564 Depth=4
	s_or_b64 exec, exec, s[72:73]
.LBB2_1436:                             ;   in Loop: Header=BB2_564 Depth=4
	s_or_b64 exec, exec, s[70:71]
.LBB2_1437:                             ;   in Loop: Header=BB2_564 Depth=4
	s_or_b64 exec, exec, s[68:69]
	v_cmp_ne_u16_sdwa vcc, v12, v51 src0_sel:BYTE_0 src1_sel:DWORD
	s_and_saveexec_b64 s[68:69], vcc
	s_cbranch_execz .LBB2_1445
; %bb.1438:                             ;   in Loop: Header=BB2_564 Depth=4
	v_cmp_ne_u16_sdwa vcc, v12, s97 src0_sel:BYTE_0 src1_sel:DWORD
	v_bfrev_b32_e32 v7, 1
	s_and_saveexec_b64 s[70:71], vcc
	s_cbranch_execz .LBB2_1444
; %bb.1439:                             ;   in Loop: Header=BB2_564 Depth=4
	v_and_b32_e32 v7, 0x7c0000, v8
	v_bfe_u32 v13, v8, 16, 2
	v_cmp_ne_u32_e32 vcc, s36, v7
                                        ; implicit-def: $vgpr7
	s_and_saveexec_b64 s[72:73], vcc
	s_xor_b64 s[72:73], exec, s[72:73]
	s_cbranch_execz .LBB2_1441
; %bb.1440:                             ;   in Loop: Header=BB2_564 Depth=4
	v_ffbh_u32_e32 v15, v13
	v_min_u32_e32 v15, 32, v15
	v_subrev_u32_e32 v16, 29, v15
	v_bfe_u32 v7, v8, 18, 5
	v_lshlrev_b64 v[16:17], v16, v[12:13]
	v_sub_u32_e32 v15, 30, v15
	v_and_b32_e32 v16, 3, v16
	v_cmp_eq_u32_e32 vcc, 0, v7
	v_cndmask_b32_e32 v7, v7, v15, vcc
	v_cndmask_b32_e32 v13, v13, v16, vcc
	v_bfrev_b32_e32 v16, 28
	v_lshlrev_b32_e32 v15, 24, v12
	v_lshl_add_u32 v7, v7, 23, v16
	v_and_or_b32 v7, v15, s96, v7
	v_lshl_or_b32 v7, v13, 21, v7
                                        ; implicit-def: $vgpr13
.LBB2_1441:                             ;   in Loop: Header=BB2_564 Depth=4
	s_andn2_saveexec_b64 s[72:73], s[72:73]
; %bb.1442:                             ;   in Loop: Header=BB2_564 Depth=4
	v_mov_b32_e32 v7, -1
	v_cmp_gt_i16_sdwa vcc, sext(v12), v7 src0_sel:BYTE_0 src1_sel:DWORD
	v_mov_b32_e32 v7, 0xc7600000
	v_mov_b32_e32 v15, 0x47600000
	v_cndmask_b32_e32 v7, v7, v15, vcc
	v_cmp_eq_u32_e32 vcc, 0, v13
	v_mov_b32_e32 v13, 0x7f800001
	v_cndmask_b32_e32 v7, v13, v7, vcc
; %bb.1443:                             ;   in Loop: Header=BB2_564 Depth=4
	s_or_b64 exec, exec, s[72:73]
.LBB2_1444:                             ;   in Loop: Header=BB2_564 Depth=4
	s_or_b64 exec, exec, s[70:71]
.LBB2_1445:                             ;   in Loop: Header=BB2_564 Depth=4
	s_or_b64 exec, exec, s[68:69]
	v_max_f32_e32 v7, v7, v7
	v_max_f32_e32 v0, v0, v0
	;; [unrolled: 1-line block ×3, first 2 shown]
	s_branch .LBB2_1464
.LBB2_1446:                             ;   in Loop: Header=BB2_564 Depth=4
                                        ; implicit-def: $vgpr7
	s_cbranch_execz .LBB2_1464
; %bb.1447:                             ;   in Loop: Header=BB2_564 Depth=4
	v_mov_b32_e32 v7, 0
	v_mov_b32_e32 v0, 0
	s_and_saveexec_b64 s[68:69], s[30:31]
	s_cbranch_execz .LBB2_1455
; %bb.1448:                             ;   in Loop: Header=BB2_564 Depth=4
	v_cmp_ne_u16_sdwa vcc, v14, s97 src0_sel:BYTE_0 src1_sel:DWORD
	v_bfrev_b32_e32 v0, 1
	s_and_saveexec_b64 s[30:31], vcc
	s_cbranch_execz .LBB2_1454
; %bb.1449:                             ;   in Loop: Header=BB2_564 Depth=4
	v_and_b32_e32 v0, 0x7c0000, v26
	v_bfe_u32 v13, v26, 16, 2
	v_cmp_ne_u32_e32 vcc, s36, v0
                                        ; implicit-def: $vgpr0
	s_and_saveexec_b64 s[70:71], vcc
	s_xor_b64 s[70:71], exec, s[70:71]
	s_cbranch_execz .LBB2_1451
; %bb.1450:                             ;   in Loop: Header=BB2_564 Depth=4
	v_ffbh_u32_e32 v15, v13
	v_min_u32_e32 v15, 32, v15
	v_bfe_u32 v0, v26, 18, 5
	v_subrev_u32_e32 v16, 29, v15
	v_lshlrev_b64 v[16:17], v16, v[14:15]
	v_sub_u32_e32 v15, 30, v15
	v_cmp_eq_u32_e32 vcc, 0, v0
	v_cndmask_b32_e32 v0, v0, v15, vcc
	v_bfrev_b32_e32 v15, 28
	v_and_b32_e32 v16, 3, v16
	v_lshlrev_b32_e32 v14, 24, v14
	v_lshl_add_u32 v0, v0, 23, v15
	v_cndmask_b32_e32 v13, v13, v16, vcc
	v_and_or_b32 v0, v14, s96, v0
	v_lshl_or_b32 v0, v13, 21, v0
                                        ; implicit-def: $vgpr13
                                        ; implicit-def: $vgpr14
.LBB2_1451:                             ;   in Loop: Header=BB2_564 Depth=4
	s_andn2_saveexec_b64 s[70:71], s[70:71]
; %bb.1452:                             ;   in Loop: Header=BB2_564 Depth=4
	v_mov_b32_e32 v0, -1
	v_cmp_gt_i16_sdwa vcc, sext(v14), v0 src0_sel:BYTE_0 src1_sel:DWORD
	v_mov_b32_e32 v0, 0xc7600000
	v_mov_b32_e32 v14, 0x47600000
	v_cndmask_b32_e32 v0, v0, v14, vcc
	v_cmp_eq_u32_e32 vcc, 0, v13
	v_mov_b32_e32 v13, 0x7f800001
	v_cndmask_b32_e32 v0, v13, v0, vcc
; %bb.1453:                             ;   in Loop: Header=BB2_564 Depth=4
	s_or_b64 exec, exec, s[70:71]
.LBB2_1454:                             ;   in Loop: Header=BB2_564 Depth=4
	s_or_b64 exec, exec, s[30:31]
.LBB2_1455:                             ;   in Loop: Header=BB2_564 Depth=4
	s_or_b64 exec, exec, s[68:69]
	v_cmp_ne_u16_sdwa vcc, v12, v51 src0_sel:BYTE_0 src1_sel:DWORD
	s_and_saveexec_b64 s[30:31], vcc
	s_cbranch_execz .LBB2_1463
; %bb.1456:                             ;   in Loop: Header=BB2_564 Depth=4
	v_cmp_ne_u16_sdwa vcc, v12, s97 src0_sel:BYTE_0 src1_sel:DWORD
	v_bfrev_b32_e32 v7, 1
	s_and_saveexec_b64 s[68:69], vcc
	s_cbranch_execz .LBB2_1462
; %bb.1457:                             ;   in Loop: Header=BB2_564 Depth=4
	v_and_b32_e32 v7, 0x7c0000, v8
	v_bfe_u32 v13, v8, 16, 2
	v_cmp_ne_u32_e32 vcc, s36, v7
                                        ; implicit-def: $vgpr7
	s_and_saveexec_b64 s[70:71], vcc
	s_xor_b64 s[70:71], exec, s[70:71]
	s_cbranch_execz .LBB2_1459
; %bb.1458:                             ;   in Loop: Header=BB2_564 Depth=4
	v_ffbh_u32_e32 v14, v13
	v_min_u32_e32 v16, 32, v14
	v_subrev_u32_e32 v14, 29, v16
	v_bfe_u32 v7, v8, 18, 5
	v_lshlrev_b64 v[14:15], v14, v[12:13]
	v_sub_u32_e32 v15, 30, v16
	v_and_b32_e32 v14, 3, v14
	v_cmp_eq_u32_e32 vcc, 0, v7
	v_cndmask_b32_e32 v7, v7, v15, vcc
	v_cndmask_b32_e32 v13, v13, v14, vcc
	v_bfrev_b32_e32 v14, 28
	v_lshlrev_b32_e32 v12, 24, v12
	v_lshl_add_u32 v7, v7, 23, v14
	v_and_or_b32 v7, v12, s96, v7
	v_lshl_or_b32 v7, v13, 21, v7
                                        ; implicit-def: $vgpr13
                                        ; implicit-def: $vgpr12
.LBB2_1459:                             ;   in Loop: Header=BB2_564 Depth=4
	s_andn2_saveexec_b64 s[70:71], s[70:71]
; %bb.1460:                             ;   in Loop: Header=BB2_564 Depth=4
	v_mov_b32_e32 v7, -1
	v_cmp_gt_i16_sdwa vcc, sext(v12), v7 src0_sel:BYTE_0 src1_sel:DWORD
	v_mov_b32_e32 v7, 0xc7600000
	v_mov_b32_e32 v12, 0x47600000
	v_cndmask_b32_e32 v7, v7, v12, vcc
	v_cmp_eq_u32_e32 vcc, 0, v13
	v_mov_b32_e32 v12, 0x7f800001
	v_cndmask_b32_e32 v7, v12, v7, vcc
; %bb.1461:                             ;   in Loop: Header=BB2_564 Depth=4
	s_or_b64 exec, exec, s[70:71]
.LBB2_1462:                             ;   in Loop: Header=BB2_564 Depth=4
	s_or_b64 exec, exec, s[68:69]
.LBB2_1463:                             ;   in Loop: Header=BB2_564 Depth=4
	s_or_b64 exec, exec, s[30:31]
	v_max_f32_e32 v7, v7, v7
	v_max_f32_e32 v0, v0, v0
	v_min_f32_e32 v7, v0, v7
.LBB2_1464:                             ;   in Loop: Header=BB2_564 Depth=4
	v_and_b32_sdwa v0, v7, s97 dst_sel:DWORD dst_unused:UNUSED_PAD src0_sel:BYTE_3 src1_sel:DWORD
	v_and_b32_e32 v12, 0x7f800000, v7
	v_mov_b32_e32 v13, v51
	v_and_b32_e32 v50, 0x7fffff, v7
	v_or_b32_e32 v23, 0x7b, v0
	v_cmp_ne_u64_e32 vcc, s[52:53], v[12:13]
	s_and_saveexec_b64 s[30:31], vcc
	s_xor_b64 s[68:69], exec, s[30:31]
	s_cbranch_execz .LBB2_1474
; %bb.1465:                             ;   in Loop: Header=BB2_564 Depth=4
	v_and_b32_e32 v12, 0x7fffffff, v7
	v_mov_b32_e32 v13, v51
	v_cmp_gt_u64_e32 vcc, s[54:55], v[12:13]
	s_and_saveexec_b64 s[70:71], vcc
	s_cbranch_execz .LBB2_1473
; %bb.1466:                             ;   in Loop: Header=BB2_564 Depth=4
	v_cmp_ne_u32_e32 vcc, 0, v7
	v_mov_b32_e32 v23, 0
	s_and_saveexec_b64 s[72:73], vcc
	s_cbranch_execz .LBB2_1472
; %bb.1467:                             ;   in Loop: Header=BB2_564 Depth=4
	v_bfe_u32 v7, v7, 23, 8
	v_sub_u32_e32 v13, 0x71, v7
	v_cmp_gt_u32_e32 vcc, s38, v7
	v_add_u32_e32 v12, 0xffffff81, v7
	v_cndmask_b32_e32 v13, 0, v13, vcc
	v_cmp_eq_u32_e32 vcc, 0, v7
	v_mov_b32_e32 v7, 0xffffff82
	v_cndmask_b32_e32 v7, v12, v7, vcc
	v_mov_b32_e32 v12, 0x70
	v_or_b32_e32 v14, 0x800000, v50
	v_cndmask_b32_e32 v15, v13, v12, vcc
	v_cndmask_b32_e32 v50, v14, v50, vcc
	v_add_u32_e32 v12, 21, v15
	v_lshlrev_b64 v[12:13], v12, -1
	v_add_u32_e32 v14, 20, v15
	v_lshrrev_b64 v[24:25], v15, v[50:51]
	v_not_b32_e32 v13, v13
	v_not_b32_e32 v12, v12
	v_lshlrev_b64 v[16:17], v14, 1
	v_lshrrev_b32_e32 v14, 23, v24
	v_and_b32_e32 v13, 0, v13
	v_and_b32_e32 v12, v50, v12
	v_add3_u32 v15, v15, v7, v14
	v_bfe_u32 v7, v24, 21, 1
	v_add_u32_e32 v7, -1, v7
	v_cmp_eq_u64_e32 vcc, v[12:13], v[16:17]
	v_cndmask_b32_e32 v7, 0, v7, vcc
	v_add_u32_e32 v7, v7, v24
	v_and_b32_e32 v7, 0x1fffff, v7
	v_add_co_u32_e32 v12, vcc, v7, v24
	v_add_u32_e32 v14, 14, v15
	v_addc_co_u32_e32 v13, vcc, 0, v25, vcc
	v_cmp_ne_u32_e32 vcc, 0, v14
                                        ; implicit-def: $vgpr7
	s_and_saveexec_b64 s[30:31], vcc
	s_xor_b64 s[30:31], exec, s[30:31]
; %bb.1468:                             ;   in Loop: Header=BB2_564 Depth=4
	v_add_u32_e32 v7, 15, v15
	v_cmp_lt_u64_e32 vcc, s[56:57], v[12:13]
	v_cndmask_b32_e32 v7, v14, v7, vcc
	v_cndmask_b32_e64 v14, 0, 1, vcc
	v_lshrrev_b64 v[12:13], v14, v[12:13]
; %bb.1469:                             ;   in Loop: Header=BB2_564 Depth=4
	s_andn2_saveexec_b64 vcc, s[30:31]
; %bb.1470:                             ;   in Loop: Header=BB2_564 Depth=4
	v_bfe_u32 v7, v12, 23, 1
; %bb.1471:                             ;   in Loop: Header=BB2_564 Depth=4
	s_or_b64 exec, exec, vcc
	v_lshrrev_b64 v[12:13], 21, v[12:13]
	v_cmp_gt_i32_e32 vcc, 32, v7
	v_cndmask_b32_e32 v13, 0, v13, vcc
	v_cndmask_b32_e32 v12, 3, v12, vcc
	v_cmp_eq_u32_e32 vcc, 0, v7
	v_min_i32_e32 v7, 31, v7
	v_cmp_eq_u64_e64 s[30:31], 0, v[12:13]
	v_lshlrev_b32_e32 v7, 2, v7
	v_and_or_b32 v7, v12, 3, v7
	s_and_b64 vcc, vcc, s[30:31]
	v_cndmask_b32_e64 v7, v7, 0, vcc
	v_or_b32_e32 v23, v7, v0
.LBB2_1472:                             ;   in Loop: Header=BB2_564 Depth=4
	s_or_b64 exec, exec, s[72:73]
.LBB2_1473:                             ;   in Loop: Header=BB2_564 Depth=4
	s_or_b64 exec, exec, s[70:71]
                                        ; implicit-def: $vgpr7
.LBB2_1474:                             ;   in Loop: Header=BB2_564 Depth=4
	s_andn2_saveexec_b64 s[30:31], s[68:69]
; %bb.1475:                             ;   in Loop: Header=BB2_564 Depth=4
	v_or_b32_sdwa v0, v7, s39 dst_sel:DWORD dst_unused:UNUSED_PAD src0_sel:BYTE_3 src1_sel:DWORD
	v_cmp_eq_u64_e32 vcc, 0, v[50:51]
	v_cndmask_b32_e32 v23, v0, v23, vcc
; %bb.1476:                             ;   in Loop: Header=BB2_564 Depth=4
	s_or_b64 exec, exec, s[30:31]
	v_lshrrev_b32_e32 v14, 24, v26
	v_lshrrev_b32_e32 v12, 24, v8
	s_and_b64 vcc, exec, s[28:29]
	v_cmp_lt_u32_e64 s[30:31], s43, v26
	s_cbranch_vccnz .LBB2_1494
; %bb.1477:                             ;   in Loop: Header=BB2_564 Depth=4
	v_mov_b32_e32 v7, 0
	v_mov_b32_e32 v0, 0
	s_and_saveexec_b64 s[68:69], s[30:31]
	s_cbranch_execz .LBB2_1485
; %bb.1478:                             ;   in Loop: Header=BB2_564 Depth=4
	v_cmp_ne_u32_e32 vcc, s97, v14
	v_bfrev_b32_e32 v0, 1
	s_and_saveexec_b64 s[70:71], vcc
	s_cbranch_execz .LBB2_1484
; %bb.1479:                             ;   in Loop: Header=BB2_564 Depth=4
	v_and_b32_e32 v0, 0x7c000000, v26
	v_bfe_u32 v13, v26, 24, 2
	v_cmp_ne_u32_e32 vcc, s37, v0
                                        ; implicit-def: $vgpr0
	s_and_saveexec_b64 s[72:73], vcc
	s_xor_b64 s[72:73], exec, s[72:73]
	s_cbranch_execz .LBB2_1481
; %bb.1480:                             ;   in Loop: Header=BB2_564 Depth=4
	v_ffbh_u32_e32 v15, v13
	v_min_u32_e32 v15, 32, v15
	v_bfe_u32 v0, v26, 26, 5
	v_subrev_u32_e32 v16, 29, v15
	v_lshlrev_b64 v[16:17], v16, v[14:15]
	v_sub_u32_e32 v15, 30, v15
	v_cmp_eq_u32_e32 vcc, 0, v0
	v_cndmask_b32_e32 v0, v0, v15, vcc
	v_bfrev_b32_e32 v15, 28
	v_and_b32_e32 v16, 3, v16
	v_lshl_add_u32 v0, v0, 23, v15
	v_cndmask_b32_e32 v13, v13, v16, vcc
	v_and_or_b32 v0, v26, s96, v0
	v_lshl_or_b32 v0, v13, 21, v0
                                        ; implicit-def: $vgpr13
.LBB2_1481:                             ;   in Loop: Header=BB2_564 Depth=4
	s_andn2_saveexec_b64 s[72:73], s[72:73]
; %bb.1482:                             ;   in Loop: Header=BB2_564 Depth=4
	v_cmp_lt_i32_e32 vcc, -1, v26
	v_mov_b32_e32 v0, 0xc7600000
	v_mov_b32_e32 v15, 0x47600000
	v_cndmask_b32_e32 v0, v0, v15, vcc
	v_cmp_eq_u32_e32 vcc, 0, v13
	v_mov_b32_e32 v13, 0x7f800001
	v_cndmask_b32_e32 v0, v13, v0, vcc
; %bb.1483:                             ;   in Loop: Header=BB2_564 Depth=4
	s_or_b64 exec, exec, s[72:73]
.LBB2_1484:                             ;   in Loop: Header=BB2_564 Depth=4
	s_or_b64 exec, exec, s[70:71]
.LBB2_1485:                             ;   in Loop: Header=BB2_564 Depth=4
	s_or_b64 exec, exec, s[68:69]
	v_cmp_lt_u32_e32 vcc, s43, v8
	s_and_saveexec_b64 s[68:69], vcc
	s_cbranch_execz .LBB2_1493
; %bb.1486:                             ;   in Loop: Header=BB2_564 Depth=4
	v_cmp_ne_u32_e32 vcc, s97, v12
	v_bfrev_b32_e32 v7, 1
	s_and_saveexec_b64 s[70:71], vcc
	s_cbranch_execz .LBB2_1492
; %bb.1487:                             ;   in Loop: Header=BB2_564 Depth=4
	v_and_b32_e32 v7, 0x7c000000, v8
	v_bfe_u32 v13, v8, 24, 2
	v_cmp_ne_u32_e32 vcc, s37, v7
                                        ; implicit-def: $vgpr7
	s_and_saveexec_b64 s[72:73], vcc
	s_xor_b64 s[72:73], exec, s[72:73]
	s_cbranch_execz .LBB2_1489
; %bb.1488:                             ;   in Loop: Header=BB2_564 Depth=4
	v_ffbh_u32_e32 v15, v13
	v_bfe_u32 v7, v8, 26, 5
	v_min_u32_e32 v15, 32, v15
	v_subrev_u32_e32 v16, 29, v15
	v_sub_u32_e32 v15, 30, v15
	v_cmp_eq_u32_e32 vcc, 0, v7
	v_lshlrev_b64 v[16:17], v16, v[12:13]
	v_cndmask_b32_e32 v7, v7, v15, vcc
	v_bfrev_b32_e32 v15, 28
	v_and_b32_e32 v16, 3, v16
	v_lshl_add_u32 v7, v7, 23, v15
	v_cndmask_b32_e32 v13, v13, v16, vcc
	v_and_or_b32 v7, v8, s96, v7
	v_lshl_or_b32 v7, v13, 21, v7
                                        ; implicit-def: $vgpr13
.LBB2_1489:                             ;   in Loop: Header=BB2_564 Depth=4
	s_andn2_saveexec_b64 s[72:73], s[72:73]
; %bb.1490:                             ;   in Loop: Header=BB2_564 Depth=4
	v_cmp_lt_i32_e32 vcc, -1, v8
	v_mov_b32_e32 v7, 0xc7600000
	v_mov_b32_e32 v15, 0x47600000
	v_cndmask_b32_e32 v7, v7, v15, vcc
	v_cmp_eq_u32_e32 vcc, 0, v13
	v_mov_b32_e32 v13, 0x7f800001
	v_cndmask_b32_e32 v7, v13, v7, vcc
; %bb.1491:                             ;   in Loop: Header=BB2_564 Depth=4
	s_or_b64 exec, exec, s[72:73]
.LBB2_1492:                             ;   in Loop: Header=BB2_564 Depth=4
	s_or_b64 exec, exec, s[70:71]
.LBB2_1493:                             ;   in Loop: Header=BB2_564 Depth=4
	s_or_b64 exec, exec, s[68:69]
	v_max_f32_e32 v7, v7, v7
	v_max_f32_e32 v0, v0, v0
	;; [unrolled: 1-line block ×3, first 2 shown]
	s_branch .LBB2_1512
.LBB2_1494:                             ;   in Loop: Header=BB2_564 Depth=4
                                        ; implicit-def: $vgpr7
	s_cbranch_execz .LBB2_1512
; %bb.1495:                             ;   in Loop: Header=BB2_564 Depth=4
	v_mov_b32_e32 v7, 0
	v_mov_b32_e32 v0, 0
	s_and_saveexec_b64 s[68:69], s[30:31]
	s_cbranch_execz .LBB2_1503
; %bb.1496:                             ;   in Loop: Header=BB2_564 Depth=4
	v_cmp_ne_u32_e32 vcc, s97, v14
	v_bfrev_b32_e32 v0, 1
	s_and_saveexec_b64 s[30:31], vcc
	s_cbranch_execz .LBB2_1502
; %bb.1497:                             ;   in Loop: Header=BB2_564 Depth=4
	v_and_b32_e32 v0, 0x7c000000, v26
	v_bfe_u32 v13, v26, 24, 2
	v_cmp_ne_u32_e32 vcc, s37, v0
                                        ; implicit-def: $vgpr0
	s_and_saveexec_b64 s[70:71], vcc
	s_xor_b64 s[70:71], exec, s[70:71]
	s_cbranch_execz .LBB2_1499
; %bb.1498:                             ;   in Loop: Header=BB2_564 Depth=4
	v_ffbh_u32_e32 v15, v13
	v_min_u32_e32 v16, 32, v15
	v_subrev_u32_e32 v15, 29, v16
	v_bfe_u32 v0, v26, 26, 5
	v_lshlrev_b64 v[14:15], v15, v[14:15]
	v_sub_u32_e32 v15, 30, v16
	v_and_b32_e32 v14, 3, v14
	v_cmp_eq_u32_e32 vcc, 0, v0
	v_cndmask_b32_e32 v0, v0, v15, vcc
	v_cndmask_b32_e32 v13, v13, v14, vcc
	v_bfrev_b32_e32 v14, 28
	v_lshl_add_u32 v0, v0, 23, v14
	v_and_or_b32 v0, v26, s96, v0
	v_lshl_or_b32 v0, v13, 21, v0
                                        ; implicit-def: $vgpr13
.LBB2_1499:                             ;   in Loop: Header=BB2_564 Depth=4
	s_andn2_saveexec_b64 s[70:71], s[70:71]
; %bb.1500:                             ;   in Loop: Header=BB2_564 Depth=4
	v_cmp_lt_i32_e32 vcc, -1, v26
	v_mov_b32_e32 v0, 0xc7600000
	v_mov_b32_e32 v14, 0x47600000
	v_cndmask_b32_e32 v0, v0, v14, vcc
	v_cmp_eq_u32_e32 vcc, 0, v13
	v_mov_b32_e32 v13, 0x7f800001
	v_cndmask_b32_e32 v0, v13, v0, vcc
; %bb.1501:                             ;   in Loop: Header=BB2_564 Depth=4
	s_or_b64 exec, exec, s[70:71]
.LBB2_1502:                             ;   in Loop: Header=BB2_564 Depth=4
	s_or_b64 exec, exec, s[30:31]
.LBB2_1503:                             ;   in Loop: Header=BB2_564 Depth=4
	s_or_b64 exec, exec, s[68:69]
	v_cmp_lt_u32_e32 vcc, s43, v8
	s_and_saveexec_b64 s[30:31], vcc
	s_cbranch_execz .LBB2_1511
; %bb.1504:                             ;   in Loop: Header=BB2_564 Depth=4
	v_cmp_ne_u32_e32 vcc, s97, v12
	v_bfrev_b32_e32 v7, 1
	s_and_saveexec_b64 s[68:69], vcc
	s_cbranch_execz .LBB2_1510
; %bb.1505:                             ;   in Loop: Header=BB2_564 Depth=4
	v_and_b32_e32 v7, 0x7c000000, v8
	v_bfe_u32 v13, v8, 24, 2
	v_cmp_ne_u32_e32 vcc, s37, v7
                                        ; implicit-def: $vgpr7
	s_and_saveexec_b64 s[70:71], vcc
	s_xor_b64 s[70:71], exec, s[70:71]
	s_cbranch_execz .LBB2_1507
; %bb.1506:                             ;   in Loop: Header=BB2_564 Depth=4
	v_ffbh_u32_e32 v14, v13
	v_min_u32_e32 v16, 32, v14
	v_subrev_u32_e32 v14, 29, v16
	v_bfe_u32 v7, v8, 26, 5
	v_lshlrev_b64 v[14:15], v14, v[12:13]
	v_sub_u32_e32 v12, 30, v16
	v_and_b32_e32 v14, 3, v14
	v_cmp_eq_u32_e32 vcc, 0, v7
	v_cndmask_b32_e32 v7, v7, v12, vcc
	v_cndmask_b32_e32 v12, v13, v14, vcc
	v_bfrev_b32_e32 v13, 28
	v_lshl_add_u32 v7, v7, 23, v13
	v_and_or_b32 v7, v8, s96, v7
	v_lshl_or_b32 v7, v12, 21, v7
                                        ; implicit-def: $vgpr13
.LBB2_1507:                             ;   in Loop: Header=BB2_564 Depth=4
	s_andn2_saveexec_b64 s[70:71], s[70:71]
; %bb.1508:                             ;   in Loop: Header=BB2_564 Depth=4
	v_cmp_lt_i32_e32 vcc, -1, v8
	v_mov_b32_e32 v7, 0xc7600000
	v_mov_b32_e32 v12, 0x47600000
	v_cndmask_b32_e32 v7, v7, v12, vcc
	v_cmp_eq_u32_e32 vcc, 0, v13
	v_mov_b32_e32 v12, 0x7f800001
	v_cndmask_b32_e32 v7, v12, v7, vcc
; %bb.1509:                             ;   in Loop: Header=BB2_564 Depth=4
	s_or_b64 exec, exec, s[70:71]
.LBB2_1510:                             ;   in Loop: Header=BB2_564 Depth=4
	s_or_b64 exec, exec, s[68:69]
.LBB2_1511:                             ;   in Loop: Header=BB2_564 Depth=4
	s_or_b64 exec, exec, s[30:31]
	v_max_f32_e32 v7, v7, v7
	v_max_f32_e32 v0, v0, v0
	v_min_f32_e32 v7, v0, v7
.LBB2_1512:                             ;   in Loop: Header=BB2_564 Depth=4
	v_and_b32_sdwa v0, v7, s97 dst_sel:DWORD dst_unused:UNUSED_PAD src0_sel:BYTE_3 src1_sel:DWORD
	v_and_b32_e32 v12, 0x7f800000, v7
	v_mov_b32_e32 v13, v51
	v_and_b32_e32 v50, 0x7fffff, v7
	v_or_b32_e32 v57, 0x7b, v0
	v_cmp_ne_u64_e32 vcc, s[52:53], v[12:13]
	s_and_saveexec_b64 s[30:31], vcc
	s_xor_b64 s[68:69], exec, s[30:31]
	s_cbranch_execz .LBB2_1522
; %bb.1513:                             ;   in Loop: Header=BB2_564 Depth=4
	v_and_b32_e32 v12, 0x7fffffff, v7
	v_mov_b32_e32 v13, v51
	v_cmp_gt_u64_e32 vcc, s[54:55], v[12:13]
	s_and_saveexec_b64 s[70:71], vcc
	s_cbranch_execz .LBB2_1521
; %bb.1514:                             ;   in Loop: Header=BB2_564 Depth=4
	v_cmp_ne_u32_e32 vcc, 0, v7
	v_mov_b32_e32 v57, 0
	s_and_saveexec_b64 s[72:73], vcc
	s_cbranch_execz .LBB2_1520
; %bb.1515:                             ;   in Loop: Header=BB2_564 Depth=4
	v_bfe_u32 v7, v7, 23, 8
	v_sub_u32_e32 v13, 0x71, v7
	v_cmp_gt_u32_e32 vcc, s38, v7
	v_add_u32_e32 v12, 0xffffff81, v7
	v_cndmask_b32_e32 v13, 0, v13, vcc
	v_cmp_eq_u32_e32 vcc, 0, v7
	v_mov_b32_e32 v7, 0xffffff82
	v_cndmask_b32_e32 v7, v12, v7, vcc
	v_mov_b32_e32 v12, 0x70
	v_or_b32_e32 v14, 0x800000, v50
	v_cndmask_b32_e32 v15, v13, v12, vcc
	v_cndmask_b32_e32 v50, v14, v50, vcc
	v_add_u32_e32 v12, 21, v15
	v_lshlrev_b64 v[12:13], v12, -1
	v_add_u32_e32 v14, 20, v15
	v_lshrrev_b64 v[24:25], v15, v[50:51]
	v_not_b32_e32 v13, v13
	v_not_b32_e32 v12, v12
	v_lshlrev_b64 v[16:17], v14, 1
	v_lshrrev_b32_e32 v14, 23, v24
	v_and_b32_e32 v13, 0, v13
	v_and_b32_e32 v12, v50, v12
	v_add3_u32 v15, v15, v7, v14
	v_bfe_u32 v7, v24, 21, 1
	v_add_u32_e32 v7, -1, v7
	v_cmp_eq_u64_e32 vcc, v[12:13], v[16:17]
	v_cndmask_b32_e32 v7, 0, v7, vcc
	v_add_u32_e32 v7, v7, v24
	v_and_b32_e32 v7, 0x1fffff, v7
	v_add_co_u32_e32 v12, vcc, v7, v24
	v_add_u32_e32 v14, 14, v15
	v_addc_co_u32_e32 v13, vcc, 0, v25, vcc
	v_cmp_ne_u32_e32 vcc, 0, v14
                                        ; implicit-def: $vgpr7
	s_and_saveexec_b64 s[30:31], vcc
	s_xor_b64 s[30:31], exec, s[30:31]
; %bb.1516:                             ;   in Loop: Header=BB2_564 Depth=4
	v_add_u32_e32 v7, 15, v15
	v_cmp_lt_u64_e32 vcc, s[56:57], v[12:13]
	v_cndmask_b32_e32 v7, v14, v7, vcc
	v_cndmask_b32_e64 v14, 0, 1, vcc
	v_lshrrev_b64 v[12:13], v14, v[12:13]
; %bb.1517:                             ;   in Loop: Header=BB2_564 Depth=4
	s_andn2_saveexec_b64 vcc, s[30:31]
; %bb.1518:                             ;   in Loop: Header=BB2_564 Depth=4
	v_bfe_u32 v7, v12, 23, 1
; %bb.1519:                             ;   in Loop: Header=BB2_564 Depth=4
	s_or_b64 exec, exec, vcc
	v_lshrrev_b64 v[12:13], 21, v[12:13]
	v_cmp_gt_i32_e32 vcc, 32, v7
	v_cndmask_b32_e32 v13, 0, v13, vcc
	v_cndmask_b32_e32 v12, 3, v12, vcc
	v_cmp_eq_u32_e32 vcc, 0, v7
	v_min_i32_e32 v7, 31, v7
	v_cmp_eq_u64_e64 s[30:31], 0, v[12:13]
	v_lshlrev_b32_e32 v7, 2, v7
	v_and_or_b32 v7, v12, 3, v7
	s_and_b64 vcc, vcc, s[30:31]
	v_cndmask_b32_e64 v7, v7, 0, vcc
	v_or_b32_e32 v57, v7, v0
.LBB2_1520:                             ;   in Loop: Header=BB2_564 Depth=4
	s_or_b64 exec, exec, s[72:73]
.LBB2_1521:                             ;   in Loop: Header=BB2_564 Depth=4
	s_or_b64 exec, exec, s[70:71]
                                        ; implicit-def: $vgpr7
.LBB2_1522:                             ;   in Loop: Header=BB2_564 Depth=4
	s_andn2_saveexec_b64 s[30:31], s[68:69]
; %bb.1523:                             ;   in Loop: Header=BB2_564 Depth=4
	v_or_b32_sdwa v0, v7, s39 dst_sel:DWORD dst_unused:UNUSED_PAD src0_sel:BYTE_3 src1_sel:DWORD
	v_cmp_eq_u64_e32 vcc, 0, v[50:51]
	v_cndmask_b32_e32 v57, v0, v57, vcc
; %bb.1524:                             ;   in Loop: Header=BB2_564 Depth=4
	s_or_b64 exec, exec, s[30:31]
	v_mov_b32_e32 v50, v27
	v_mov_b32_e32 v12, v9
	;; [unrolled: 1-line block ×3, first 2 shown]
	s_and_b64 vcc, exec, s[28:29]
	v_cmp_ne_u16_sdwa s[30:31], v27, v51 src0_sel:BYTE_0 src1_sel:DWORD
	s_cbranch_vccnz .LBB2_1542
; %bb.1525:                             ;   in Loop: Header=BB2_564 Depth=4
	v_mov_b32_e32 v7, 0
	v_mov_b32_e32 v0, 0
	s_and_saveexec_b64 s[68:69], s[30:31]
	s_cbranch_execz .LBB2_1533
; %bb.1526:                             ;   in Loop: Header=BB2_564 Depth=4
	v_cmp_ne_u16_sdwa vcc, v27, s97 src0_sel:BYTE_0 src1_sel:DWORD
	v_bfrev_b32_e32 v0, 1
	s_and_saveexec_b64 s[70:71], vcc
	s_cbranch_execz .LBB2_1532
; %bb.1527:                             ;   in Loop: Header=BB2_564 Depth=4
	v_and_b32_e32 v0, 0x7c, v27
	v_and_b32_e32 v14, 3, v27
	v_cmp_ne_u32_e32 vcc, s95, v0
                                        ; implicit-def: $vgpr0
	s_and_saveexec_b64 s[72:73], vcc
	s_xor_b64 s[72:73], exec, s[72:73]
	s_cbranch_execz .LBB2_1529
; %bb.1528:                             ;   in Loop: Header=BB2_564 Depth=4
	v_ffbh_u32_e32 v15, v14
	v_min_u32_e32 v15, 32, v15
	v_subrev_u32_e32 v16, 29, v15
	v_bfe_u32 v0, v27, 2, 5
	v_lshlrev_b64 v[16:17], v16, v[50:51]
	v_sub_u32_e32 v15, 30, v15
	v_and_b32_e32 v16, 3, v16
	v_cmp_eq_u32_e32 vcc, 0, v0
	v_cndmask_b32_e32 v0, v0, v15, vcc
	v_cndmask_b32_e32 v14, v14, v16, vcc
	v_bfrev_b32_e32 v16, 28
	v_lshlrev_b32_e32 v15, 24, v27
	v_lshl_add_u32 v0, v0, 23, v16
	v_and_or_b32 v0, v15, s96, v0
	v_lshl_or_b32 v0, v14, 21, v0
                                        ; implicit-def: $vgpr14
.LBB2_1529:                             ;   in Loop: Header=BB2_564 Depth=4
	s_andn2_saveexec_b64 s[72:73], s[72:73]
; %bb.1530:                             ;   in Loop: Header=BB2_564 Depth=4
	v_mov_b32_e32 v0, -1
	v_cmp_gt_i16_sdwa vcc, sext(v27), v0 src0_sel:BYTE_0 src1_sel:DWORD
	v_mov_b32_e32 v0, 0xc7600000
	v_mov_b32_e32 v15, 0x47600000
	v_cndmask_b32_e32 v0, v0, v15, vcc
	v_cmp_eq_u32_e32 vcc, 0, v14
	v_mov_b32_e32 v14, 0x7f800001
	v_cndmask_b32_e32 v0, v14, v0, vcc
; %bb.1531:                             ;   in Loop: Header=BB2_564 Depth=4
	s_or_b64 exec, exec, s[72:73]
.LBB2_1532:                             ;   in Loop: Header=BB2_564 Depth=4
	s_or_b64 exec, exec, s[70:71]
.LBB2_1533:                             ;   in Loop: Header=BB2_564 Depth=4
	s_or_b64 exec, exec, s[68:69]
	v_cmp_ne_u16_sdwa vcc, v9, v51 src0_sel:BYTE_0 src1_sel:DWORD
	s_and_saveexec_b64 s[68:69], vcc
	s_cbranch_execz .LBB2_1541
; %bb.1534:                             ;   in Loop: Header=BB2_564 Depth=4
	v_cmp_ne_u16_sdwa vcc, v9, s97 src0_sel:BYTE_0 src1_sel:DWORD
	v_bfrev_b32_e32 v7, 1
	s_and_saveexec_b64 s[70:71], vcc
	s_cbranch_execz .LBB2_1540
; %bb.1535:                             ;   in Loop: Header=BB2_564 Depth=4
	v_and_b32_e32 v7, 0x7c, v9
	v_and_b32_e32 v14, 3, v9
	v_cmp_ne_u32_e32 vcc, s95, v7
                                        ; implicit-def: $vgpr7
	s_and_saveexec_b64 s[72:73], vcc
	s_xor_b64 s[72:73], exec, s[72:73]
	s_cbranch_execz .LBB2_1537
; %bb.1536:                             ;   in Loop: Header=BB2_564 Depth=4
	v_ffbh_u32_e32 v15, v14
	v_min_u32_e32 v15, 32, v15
	v_subrev_u32_e32 v16, 29, v15
	v_bfe_u32 v7, v9, 2, 5
	v_lshlrev_b64 v[16:17], v16, v[12:13]
	v_sub_u32_e32 v15, 30, v15
	v_and_b32_e32 v16, 3, v16
	v_cmp_eq_u32_e32 vcc, 0, v7
	v_cndmask_b32_e32 v7, v7, v15, vcc
	v_cndmask_b32_e32 v14, v14, v16, vcc
	v_bfrev_b32_e32 v16, 28
	v_lshlrev_b32_e32 v15, 24, v9
	v_lshl_add_u32 v7, v7, 23, v16
	v_and_or_b32 v7, v15, s96, v7
	v_lshl_or_b32 v7, v14, 21, v7
                                        ; implicit-def: $vgpr14
.LBB2_1537:                             ;   in Loop: Header=BB2_564 Depth=4
	s_andn2_saveexec_b64 s[72:73], s[72:73]
; %bb.1538:                             ;   in Loop: Header=BB2_564 Depth=4
	v_mov_b32_e32 v7, -1
	v_cmp_gt_i16_sdwa vcc, sext(v9), v7 src0_sel:BYTE_0 src1_sel:DWORD
	v_mov_b32_e32 v7, 0xc7600000
	v_mov_b32_e32 v15, 0x47600000
	v_cndmask_b32_e32 v7, v7, v15, vcc
	v_cmp_eq_u32_e32 vcc, 0, v14
	v_mov_b32_e32 v14, 0x7f800001
	v_cndmask_b32_e32 v7, v14, v7, vcc
; %bb.1539:                             ;   in Loop: Header=BB2_564 Depth=4
	s_or_b64 exec, exec, s[72:73]
.LBB2_1540:                             ;   in Loop: Header=BB2_564 Depth=4
	s_or_b64 exec, exec, s[70:71]
.LBB2_1541:                             ;   in Loop: Header=BB2_564 Depth=4
	s_or_b64 exec, exec, s[68:69]
	v_max_f32_e32 v7, v7, v7
	v_max_f32_e32 v0, v0, v0
	;; [unrolled: 1-line block ×3, first 2 shown]
	s_branch .LBB2_1560
.LBB2_1542:                             ;   in Loop: Header=BB2_564 Depth=4
                                        ; implicit-def: $vgpr7
	s_cbranch_execz .LBB2_1560
; %bb.1543:                             ;   in Loop: Header=BB2_564 Depth=4
	v_mov_b32_e32 v7, 0
	v_mov_b32_e32 v0, 0
	s_and_saveexec_b64 s[68:69], s[30:31]
	s_cbranch_execz .LBB2_1551
; %bb.1544:                             ;   in Loop: Header=BB2_564 Depth=4
	v_cmp_ne_u16_sdwa vcc, v27, s97 src0_sel:BYTE_0 src1_sel:DWORD
	v_bfrev_b32_e32 v0, 1
	s_and_saveexec_b64 s[30:31], vcc
	s_cbranch_execz .LBB2_1550
; %bb.1545:                             ;   in Loop: Header=BB2_564 Depth=4
	v_and_b32_e32 v0, 0x7c, v27
	v_and_b32_e32 v14, 3, v27
	v_cmp_ne_u32_e32 vcc, s95, v0
                                        ; implicit-def: $vgpr0
	s_and_saveexec_b64 s[70:71], vcc
	s_xor_b64 s[70:71], exec, s[70:71]
	s_cbranch_execz .LBB2_1547
; %bb.1546:                             ;   in Loop: Header=BB2_564 Depth=4
	v_ffbh_u32_e32 v15, v14
	v_min_u32_e32 v15, 32, v15
	v_subrev_u32_e32 v16, 29, v15
	v_bfe_u32 v0, v27, 2, 5
	v_lshlrev_b64 v[16:17], v16, v[50:51]
	v_sub_u32_e32 v15, 30, v15
	v_and_b32_e32 v16, 3, v16
	v_cmp_eq_u32_e32 vcc, 0, v0
	v_cndmask_b32_e32 v0, v0, v15, vcc
	v_cndmask_b32_e32 v14, v14, v16, vcc
	v_bfrev_b32_e32 v16, 28
	v_lshlrev_b32_e32 v15, 24, v27
	v_lshl_add_u32 v0, v0, 23, v16
	v_and_or_b32 v0, v15, s96, v0
	v_lshl_or_b32 v0, v14, 21, v0
                                        ; implicit-def: $vgpr14
.LBB2_1547:                             ;   in Loop: Header=BB2_564 Depth=4
	s_andn2_saveexec_b64 s[70:71], s[70:71]
; %bb.1548:                             ;   in Loop: Header=BB2_564 Depth=4
	v_mov_b32_e32 v0, -1
	v_cmp_gt_i16_sdwa vcc, sext(v27), v0 src0_sel:BYTE_0 src1_sel:DWORD
	v_mov_b32_e32 v0, 0xc7600000
	v_mov_b32_e32 v15, 0x47600000
	v_cndmask_b32_e32 v0, v0, v15, vcc
	v_cmp_eq_u32_e32 vcc, 0, v14
	v_mov_b32_e32 v14, 0x7f800001
	v_cndmask_b32_e32 v0, v14, v0, vcc
; %bb.1549:                             ;   in Loop: Header=BB2_564 Depth=4
	s_or_b64 exec, exec, s[70:71]
.LBB2_1550:                             ;   in Loop: Header=BB2_564 Depth=4
	s_or_b64 exec, exec, s[30:31]
.LBB2_1551:                             ;   in Loop: Header=BB2_564 Depth=4
	s_or_b64 exec, exec, s[68:69]
	v_cmp_ne_u16_sdwa vcc, v9, v51 src0_sel:BYTE_0 src1_sel:DWORD
	s_and_saveexec_b64 s[30:31], vcc
	s_cbranch_execz .LBB2_1559
; %bb.1552:                             ;   in Loop: Header=BB2_564 Depth=4
	v_cmp_ne_u16_sdwa vcc, v9, s97 src0_sel:BYTE_0 src1_sel:DWORD
	v_bfrev_b32_e32 v7, 1
	s_and_saveexec_b64 s[68:69], vcc
	s_cbranch_execz .LBB2_1558
; %bb.1553:                             ;   in Loop: Header=BB2_564 Depth=4
	v_and_b32_e32 v7, 0x7c, v9
	v_and_b32_e32 v14, 3, v9
	v_cmp_ne_u32_e32 vcc, s95, v7
                                        ; implicit-def: $vgpr7
	s_and_saveexec_b64 s[70:71], vcc
	s_xor_b64 s[70:71], exec, s[70:71]
	s_cbranch_execz .LBB2_1555
; %bb.1554:                             ;   in Loop: Header=BB2_564 Depth=4
	v_ffbh_u32_e32 v15, v14
	v_min_u32_e32 v15, 32, v15
	v_subrev_u32_e32 v16, 29, v15
	v_bfe_u32 v7, v9, 2, 5
	v_lshlrev_b64 v[16:17], v16, v[12:13]
	v_sub_u32_e32 v13, 30, v15
	v_and_b32_e32 v15, 3, v16
	v_cmp_eq_u32_e32 vcc, 0, v7
	v_cndmask_b32_e32 v7, v7, v13, vcc
	v_cndmask_b32_e32 v13, v14, v15, vcc
	v_bfrev_b32_e32 v15, 28
	v_lshlrev_b32_e32 v14, 24, v9
	v_lshl_add_u32 v7, v7, 23, v15
	v_and_or_b32 v7, v14, s96, v7
	v_lshl_or_b32 v7, v13, 21, v7
                                        ; implicit-def: $vgpr14
.LBB2_1555:                             ;   in Loop: Header=BB2_564 Depth=4
	s_andn2_saveexec_b64 s[70:71], s[70:71]
; %bb.1556:                             ;   in Loop: Header=BB2_564 Depth=4
	v_mov_b32_e32 v7, -1
	v_cmp_gt_i16_sdwa vcc, sext(v9), v7 src0_sel:BYTE_0 src1_sel:DWORD
	v_mov_b32_e32 v7, 0xc7600000
	v_mov_b32_e32 v13, 0x47600000
	v_cndmask_b32_e32 v7, v7, v13, vcc
	v_cmp_eq_u32_e32 vcc, 0, v14
	v_mov_b32_e32 v13, 0x7f800001
	v_cndmask_b32_e32 v7, v13, v7, vcc
; %bb.1557:                             ;   in Loop: Header=BB2_564 Depth=4
	s_or_b64 exec, exec, s[70:71]
.LBB2_1558:                             ;   in Loop: Header=BB2_564 Depth=4
	s_or_b64 exec, exec, s[68:69]
.LBB2_1559:                             ;   in Loop: Header=BB2_564 Depth=4
	s_or_b64 exec, exec, s[30:31]
	v_max_f32_e32 v7, v7, v7
	v_max_f32_e32 v0, v0, v0
	v_min_f32_e32 v7, v0, v7
.LBB2_1560:                             ;   in Loop: Header=BB2_564 Depth=4
	v_and_b32_sdwa v0, v7, s97 dst_sel:DWORD dst_unused:UNUSED_PAD src0_sel:BYTE_3 src1_sel:DWORD
	v_and_b32_e32 v16, 0x7f800000, v7
	v_mov_b32_e32 v17, v51
	v_and_b32_e32 v14, 0x7fffff, v7
	v_mov_b32_e32 v15, v51
	v_or_b32_e32 v31, 0x7b, v0
	v_cmp_ne_u64_e32 vcc, s[52:53], v[16:17]
	s_and_saveexec_b64 s[30:31], vcc
	s_xor_b64 s[68:69], exec, s[30:31]
	s_cbranch_execz .LBB2_1570
; %bb.1561:                             ;   in Loop: Header=BB2_564 Depth=4
	v_and_b32_e32 v16, 0x7fffffff, v7
	v_mov_b32_e32 v17, v51
	v_cmp_gt_u64_e32 vcc, s[54:55], v[16:17]
	s_and_saveexec_b64 s[70:71], vcc
	s_cbranch_execz .LBB2_1569
; %bb.1562:                             ;   in Loop: Header=BB2_564 Depth=4
	v_cmp_ne_u32_e32 vcc, 0, v7
	v_mov_b32_e32 v31, 0
	s_and_saveexec_b64 s[72:73], vcc
	s_cbranch_execz .LBB2_1568
; %bb.1563:                             ;   in Loop: Header=BB2_564 Depth=4
	v_bfe_u32 v7, v7, 23, 8
	v_sub_u32_e32 v16, 0x71, v7
	v_cmp_gt_u32_e32 vcc, s38, v7
	v_add_u32_e32 v13, 0xffffff81, v7
	v_cndmask_b32_e32 v16, 0, v16, vcc
	v_cmp_eq_u32_e32 vcc, 0, v7
	v_mov_b32_e32 v7, 0xffffff82
	v_cndmask_b32_e32 v7, v13, v7, vcc
	v_mov_b32_e32 v13, 0x70
	v_cndmask_b32_e32 v13, v16, v13, vcc
	v_or_b32_e32 v17, 0x800000, v14
	v_add_u32_e32 v16, 21, v13
	v_cndmask_b32_e32 v14, v17, v14, vcc
	v_lshlrev_b64 v[16:17], v16, -1
	v_not_b32_e32 v16, v16
	v_and_b32_e32 v24, v14, v16
	v_add_u32_e32 v16, 20, v13
	v_lshrrev_b64 v[14:15], v13, v[14:15]
	v_not_b32_e32 v17, v17
	v_lshlrev_b64 v[30:31], v16, 1
	v_lshrrev_b32_e32 v16, 23, v14
	v_and_b32_e32 v25, 0, v17
	v_add3_u32 v16, v13, v7, v16
	v_bfe_u32 v7, v14, 21, 1
	v_add_u32_e32 v7, -1, v7
	v_cmp_eq_u64_e32 vcc, v[24:25], v[30:31]
	v_cndmask_b32_e32 v7, 0, v7, vcc
	v_add_u32_e32 v7, v7, v14
	v_and_b32_e32 v7, 0x1fffff, v7
	v_add_co_u32_e32 v14, vcc, v7, v14
	v_add_u32_e32 v13, 14, v16
	v_addc_co_u32_e32 v15, vcc, 0, v15, vcc
	v_cmp_ne_u32_e32 vcc, 0, v13
                                        ; implicit-def: $vgpr7
	s_and_saveexec_b64 s[30:31], vcc
	s_xor_b64 s[30:31], exec, s[30:31]
; %bb.1564:                             ;   in Loop: Header=BB2_564 Depth=4
	v_add_u32_e32 v7, 15, v16
	v_cmp_lt_u64_e32 vcc, s[56:57], v[14:15]
	v_cndmask_b32_e32 v7, v13, v7, vcc
	v_cndmask_b32_e64 v13, 0, 1, vcc
	v_lshrrev_b64 v[14:15], v13, v[14:15]
; %bb.1565:                             ;   in Loop: Header=BB2_564 Depth=4
	s_andn2_saveexec_b64 vcc, s[30:31]
; %bb.1566:                             ;   in Loop: Header=BB2_564 Depth=4
	v_bfe_u32 v7, v14, 23, 1
; %bb.1567:                             ;   in Loop: Header=BB2_564 Depth=4
	s_or_b64 exec, exec, vcc
	v_lshrrev_b64 v[14:15], 21, v[14:15]
	v_cmp_gt_i32_e32 vcc, 32, v7
	v_cndmask_b32_e32 v15, 0, v15, vcc
	v_cndmask_b32_e32 v14, 3, v14, vcc
	v_cmp_eq_u32_e32 vcc, 0, v7
	v_min_i32_e32 v7, 31, v7
	v_cmp_eq_u64_e64 s[30:31], 0, v[14:15]
	v_lshlrev_b32_e32 v7, 2, v7
	v_and_or_b32 v7, v14, 3, v7
	s_and_b64 vcc, vcc, s[30:31]
	v_cndmask_b32_e64 v7, v7, 0, vcc
	v_or_b32_e32 v31, v7, v0
.LBB2_1568:                             ;   in Loop: Header=BB2_564 Depth=4
	s_or_b64 exec, exec, s[72:73]
.LBB2_1569:                             ;   in Loop: Header=BB2_564 Depth=4
	s_or_b64 exec, exec, s[70:71]
                                        ; implicit-def: $vgpr7
                                        ; implicit-def: $vgpr14_vgpr15
.LBB2_1570:                             ;   in Loop: Header=BB2_564 Depth=4
	s_andn2_saveexec_b64 s[30:31], s[68:69]
; %bb.1571:                             ;   in Loop: Header=BB2_564 Depth=4
	v_or_b32_sdwa v0, v7, s39 dst_sel:DWORD dst_unused:UNUSED_PAD src0_sel:BYTE_3 src1_sel:DWORD
	v_cmp_eq_u64_e32 vcc, 0, v[14:15]
	v_cndmask_b32_e32 v31, v0, v31, vcc
; %bb.1572:                             ;   in Loop: Header=BB2_564 Depth=4
	s_or_b64 exec, exec, s[30:31]
	v_lshrrev_b16_e32 v14, 8, v50
	v_lshrrev_b16_e32 v16, 8, v12
	s_and_b64 vcc, exec, s[28:29]
	v_cmp_ne_u16_e64 s[30:31], 0, v14
	s_cbranch_vccnz .LBB2_1590
; %bb.1573:                             ;   in Loop: Header=BB2_564 Depth=4
	v_mov_b32_e32 v7, 0
	v_mov_b32_e32 v0, 0
	s_and_saveexec_b64 s[68:69], s[30:31]
	s_cbranch_execz .LBB2_1581
; %bb.1574:                             ;   in Loop: Header=BB2_564 Depth=4
	v_cmp_ne_u16_e32 vcc, s97, v14
	v_bfrev_b32_e32 v0, 1
	s_and_saveexec_b64 s[70:71], vcc
	s_cbranch_execz .LBB2_1580
; %bb.1575:                             ;   in Loop: Header=BB2_564 Depth=4
	v_and_b32_e32 v0, 0x7c, v14
	v_and_b32_e32 v13, 3, v14
	v_cmp_ne_u32_e32 vcc, s95, v0
                                        ; implicit-def: $vgpr0
	s_and_saveexec_b64 s[72:73], vcc
	s_xor_b64 s[72:73], exec, s[72:73]
	s_cbranch_execz .LBB2_1577
; %bb.1576:                             ;   in Loop: Header=BB2_564 Depth=4
	v_ffbh_u32_e32 v17, v13
	v_min_u32_e32 v17, 32, v17
	v_mov_b32_e32 v15, v51
	v_subrev_u32_e32 v24, 29, v17
	v_bfe_u32 v0, v14, 2, 5
	v_lshlrev_b64 v[24:25], v24, v[14:15]
	v_sub_u32_e32 v15, 30, v17
	v_and_b32_e32 v17, 3, v24
	v_cmp_eq_u32_e32 vcc, 0, v0
	v_cndmask_b32_e32 v0, v0, v15, vcc
	v_cndmask_b32_e32 v13, v13, v17, vcc
	v_bfrev_b32_e32 v17, 28
	v_lshlrev_b32_e32 v15, 16, v50
	v_lshl_add_u32 v0, v0, 23, v17
	v_and_or_b32 v0, v15, s96, v0
	v_lshl_or_b32 v0, v13, 21, v0
                                        ; implicit-def: $vgpr13
.LBB2_1577:                             ;   in Loop: Header=BB2_564 Depth=4
	s_andn2_saveexec_b64 s[72:73], s[72:73]
; %bb.1578:                             ;   in Loop: Header=BB2_564 Depth=4
	v_cmp_lt_i16_e32 vcc, -1, v50
	v_mov_b32_e32 v0, 0xc7600000
	v_mov_b32_e32 v15, 0x47600000
	v_cndmask_b32_e32 v0, v0, v15, vcc
	v_cmp_eq_u32_e32 vcc, 0, v13
	v_mov_b32_e32 v13, 0x7f800001
	v_cndmask_b32_e32 v0, v13, v0, vcc
; %bb.1579:                             ;   in Loop: Header=BB2_564 Depth=4
	s_or_b64 exec, exec, s[72:73]
.LBB2_1580:                             ;   in Loop: Header=BB2_564 Depth=4
	s_or_b64 exec, exec, s[70:71]
.LBB2_1581:                             ;   in Loop: Header=BB2_564 Depth=4
	s_or_b64 exec, exec, s[68:69]
	v_cmp_ne_u16_e32 vcc, 0, v16
	s_and_saveexec_b64 s[68:69], vcc
	s_cbranch_execz .LBB2_1589
; %bb.1582:                             ;   in Loop: Header=BB2_564 Depth=4
	v_cmp_ne_u16_e32 vcc, s97, v16
	v_bfrev_b32_e32 v7, 1
	s_and_saveexec_b64 s[70:71], vcc
	s_cbranch_execz .LBB2_1588
; %bb.1583:                             ;   in Loop: Header=BB2_564 Depth=4
	v_and_b32_e32 v7, 0x7c, v16
	v_and_b32_e32 v13, 3, v16
	v_cmp_ne_u32_e32 vcc, s95, v7
                                        ; implicit-def: $vgpr7
	s_and_saveexec_b64 s[72:73], vcc
	s_xor_b64 s[72:73], exec, s[72:73]
	s_cbranch_execz .LBB2_1585
; %bb.1584:                             ;   in Loop: Header=BB2_564 Depth=4
	v_ffbh_u32_e32 v15, v13
	v_min_u32_e32 v15, 32, v15
	v_mov_b32_e32 v17, v51
	v_subrev_u32_e32 v24, 29, v15
	v_bfe_u32 v7, v16, 2, 5
	v_lshlrev_b64 v[24:25], v24, v[16:17]
	v_sub_u32_e32 v15, 30, v15
	v_and_b32_e32 v17, 3, v24
	v_cmp_eq_u32_e32 vcc, 0, v7
	v_cndmask_b32_e32 v7, v7, v15, vcc
	v_cndmask_b32_e32 v13, v13, v17, vcc
	v_bfrev_b32_e32 v17, 28
	v_lshlrev_b32_e32 v15, 16, v12
	v_lshl_add_u32 v7, v7, 23, v17
	v_and_or_b32 v7, v15, s96, v7
	v_lshl_or_b32 v7, v13, 21, v7
                                        ; implicit-def: $vgpr13
.LBB2_1585:                             ;   in Loop: Header=BB2_564 Depth=4
	s_andn2_saveexec_b64 s[72:73], s[72:73]
; %bb.1586:                             ;   in Loop: Header=BB2_564 Depth=4
	v_cmp_lt_i16_e32 vcc, -1, v12
	v_mov_b32_e32 v7, 0xc7600000
	v_mov_b32_e32 v15, 0x47600000
	v_cndmask_b32_e32 v7, v7, v15, vcc
	v_cmp_eq_u32_e32 vcc, 0, v13
	v_mov_b32_e32 v13, 0x7f800001
	v_cndmask_b32_e32 v7, v13, v7, vcc
; %bb.1587:                             ;   in Loop: Header=BB2_564 Depth=4
	s_or_b64 exec, exec, s[72:73]
.LBB2_1588:                             ;   in Loop: Header=BB2_564 Depth=4
	s_or_b64 exec, exec, s[70:71]
.LBB2_1589:                             ;   in Loop: Header=BB2_564 Depth=4
	s_or_b64 exec, exec, s[68:69]
	v_max_f32_e32 v7, v7, v7
	v_max_f32_e32 v0, v0, v0
	;; [unrolled: 1-line block ×3, first 2 shown]
	s_branch .LBB2_1608
.LBB2_1590:                             ;   in Loop: Header=BB2_564 Depth=4
                                        ; implicit-def: $vgpr7
	s_cbranch_execz .LBB2_1608
; %bb.1591:                             ;   in Loop: Header=BB2_564 Depth=4
	v_mov_b32_e32 v7, 0
	v_mov_b32_e32 v0, 0
	s_and_saveexec_b64 s[68:69], s[30:31]
	s_cbranch_execz .LBB2_1599
; %bb.1592:                             ;   in Loop: Header=BB2_564 Depth=4
	v_cmp_ne_u16_e32 vcc, s97, v14
	v_bfrev_b32_e32 v0, 1
	s_and_saveexec_b64 s[30:31], vcc
	s_cbranch_execz .LBB2_1598
; %bb.1593:                             ;   in Loop: Header=BB2_564 Depth=4
	v_and_b32_e32 v0, 0x7c, v14
	v_and_b32_e32 v13, 3, v14
	v_cmp_ne_u32_e32 vcc, s95, v0
                                        ; implicit-def: $vgpr0
	s_and_saveexec_b64 s[70:71], vcc
	s_xor_b64 s[70:71], exec, s[70:71]
	s_cbranch_execz .LBB2_1595
; %bb.1594:                             ;   in Loop: Header=BB2_564 Depth=4
	v_ffbh_u32_e32 v17, v13
	v_min_u32_e32 v17, 32, v17
	v_mov_b32_e32 v15, v51
	v_subrev_u32_e32 v24, 29, v17
	v_bfe_u32 v0, v14, 2, 5
	v_lshlrev_b64 v[14:15], v24, v[14:15]
	v_sub_u32_e32 v15, 30, v17
	v_cmp_eq_u32_e32 vcc, 0, v0
	v_and_b32_e32 v14, 3, v14
	v_cndmask_b32_e32 v0, v0, v15, vcc
	v_bfrev_b32_e32 v15, 28
	v_cndmask_b32_e32 v13, v13, v14, vcc
	v_lshlrev_b32_e32 v14, 16, v50
	v_lshl_add_u32 v0, v0, 23, v15
	v_and_or_b32 v0, v14, s96, v0
	v_lshl_or_b32 v0, v13, 21, v0
                                        ; implicit-def: $vgpr13
.LBB2_1595:                             ;   in Loop: Header=BB2_564 Depth=4
	s_andn2_saveexec_b64 s[70:71], s[70:71]
; %bb.1596:                             ;   in Loop: Header=BB2_564 Depth=4
	v_cmp_lt_i16_e32 vcc, -1, v50
	v_mov_b32_e32 v0, 0xc7600000
	v_mov_b32_e32 v14, 0x47600000
	v_cndmask_b32_e32 v0, v0, v14, vcc
	v_cmp_eq_u32_e32 vcc, 0, v13
	v_mov_b32_e32 v13, 0x7f800001
	v_cndmask_b32_e32 v0, v13, v0, vcc
; %bb.1597:                             ;   in Loop: Header=BB2_564 Depth=4
	s_or_b64 exec, exec, s[70:71]
.LBB2_1598:                             ;   in Loop: Header=BB2_564 Depth=4
	s_or_b64 exec, exec, s[30:31]
.LBB2_1599:                             ;   in Loop: Header=BB2_564 Depth=4
	s_or_b64 exec, exec, s[68:69]
	v_cmp_ne_u16_e32 vcc, 0, v16
	s_and_saveexec_b64 s[30:31], vcc
	s_cbranch_execz .LBB2_1607
; %bb.1600:                             ;   in Loop: Header=BB2_564 Depth=4
	v_cmp_ne_u16_e32 vcc, s97, v16
	v_bfrev_b32_e32 v7, 1
	s_and_saveexec_b64 s[68:69], vcc
	s_cbranch_execz .LBB2_1606
; %bb.1601:                             ;   in Loop: Header=BB2_564 Depth=4
	v_and_b32_e32 v7, 0x7c, v16
	v_and_b32_e32 v14, 3, v16
	v_cmp_ne_u32_e32 vcc, s95, v7
                                        ; implicit-def: $vgpr7
	s_and_saveexec_b64 s[70:71], vcc
	s_xor_b64 s[70:71], exec, s[70:71]
	s_cbranch_execz .LBB2_1603
; %bb.1602:                             ;   in Loop: Header=BB2_564 Depth=4
	v_ffbh_u32_e32 v13, v14
	v_min_u32_e32 v13, 32, v13
	v_mov_b32_e32 v17, v51
	v_subrev_u32_e32 v15, 29, v13
	v_bfe_u32 v7, v16, 2, 5
	v_lshlrev_b64 v[16:17], v15, v[16:17]
	v_sub_u32_e32 v13, 30, v13
	v_and_b32_e32 v15, 3, v16
	v_cmp_eq_u32_e32 vcc, 0, v7
	v_cndmask_b32_e32 v7, v7, v13, vcc
	v_cndmask_b32_e32 v13, v14, v15, vcc
	v_bfrev_b32_e32 v14, 28
	v_lshlrev_b32_e32 v12, 16, v12
	v_lshl_add_u32 v7, v7, 23, v14
	v_and_or_b32 v7, v12, s96, v7
	v_lshl_or_b32 v7, v13, 21, v7
                                        ; implicit-def: $vgpr14
                                        ; implicit-def: $vgpr12_vgpr13
.LBB2_1603:                             ;   in Loop: Header=BB2_564 Depth=4
	s_andn2_saveexec_b64 s[70:71], s[70:71]
; %bb.1604:                             ;   in Loop: Header=BB2_564 Depth=4
	v_cmp_lt_i16_e32 vcc, -1, v12
	v_mov_b32_e32 v7, 0xc7600000
	v_mov_b32_e32 v12, 0x47600000
	v_cndmask_b32_e32 v7, v7, v12, vcc
	v_cmp_eq_u32_e32 vcc, 0, v14
	v_mov_b32_e32 v12, 0x7f800001
	v_cndmask_b32_e32 v7, v12, v7, vcc
; %bb.1605:                             ;   in Loop: Header=BB2_564 Depth=4
	s_or_b64 exec, exec, s[70:71]
.LBB2_1606:                             ;   in Loop: Header=BB2_564 Depth=4
	s_or_b64 exec, exec, s[68:69]
.LBB2_1607:                             ;   in Loop: Header=BB2_564 Depth=4
	s_or_b64 exec, exec, s[30:31]
	v_max_f32_e32 v7, v7, v7
	v_max_f32_e32 v0, v0, v0
	v_min_f32_e32 v7, v0, v7
.LBB2_1608:                             ;   in Loop: Header=BB2_564 Depth=4
	v_and_b32_sdwa v0, v7, s97 dst_sel:DWORD dst_unused:UNUSED_PAD src0_sel:BYTE_3 src1_sel:DWORD
	v_and_b32_e32 v12, 0x7f800000, v7
	v_mov_b32_e32 v13, v51
	v_and_b32_e32 v50, 0x7fffff, v7
	v_or_b32_e32 v16, 0x7b, v0
	v_cmp_ne_u64_e32 vcc, s[52:53], v[12:13]
	s_and_saveexec_b64 s[30:31], vcc
	s_xor_b64 s[68:69], exec, s[30:31]
	s_cbranch_execz .LBB2_1618
; %bb.1609:                             ;   in Loop: Header=BB2_564 Depth=4
	v_and_b32_e32 v12, 0x7fffffff, v7
	v_mov_b32_e32 v13, v51
	v_cmp_gt_u64_e32 vcc, s[54:55], v[12:13]
	s_and_saveexec_b64 s[70:71], vcc
	s_cbranch_execz .LBB2_1617
; %bb.1610:                             ;   in Loop: Header=BB2_564 Depth=4
	v_cmp_ne_u32_e32 vcc, 0, v7
	v_mov_b32_e32 v16, 0
	s_and_saveexec_b64 s[72:73], vcc
	s_cbranch_execz .LBB2_1616
; %bb.1611:                             ;   in Loop: Header=BB2_564 Depth=4
	v_bfe_u32 v7, v7, 23, 8
	v_sub_u32_e32 v13, 0x71, v7
	v_cmp_gt_u32_e32 vcc, s38, v7
	v_add_u32_e32 v12, 0xffffff81, v7
	v_cndmask_b32_e32 v13, 0, v13, vcc
	v_cmp_eq_u32_e32 vcc, 0, v7
	v_mov_b32_e32 v7, 0xffffff82
	v_cndmask_b32_e32 v7, v12, v7, vcc
	v_mov_b32_e32 v12, 0x70
	v_or_b32_e32 v14, 0x800000, v50
	v_cndmask_b32_e32 v15, v13, v12, vcc
	v_cndmask_b32_e32 v50, v14, v50, vcc
	v_add_u32_e32 v12, 21, v15
	v_lshlrev_b64 v[12:13], v12, -1
	v_add_u32_e32 v14, 20, v15
	v_lshrrev_b64 v[24:25], v15, v[50:51]
	v_not_b32_e32 v13, v13
	v_not_b32_e32 v12, v12
	v_lshlrev_b64 v[16:17], v14, 1
	v_lshrrev_b32_e32 v14, 23, v24
	v_and_b32_e32 v13, 0, v13
	v_and_b32_e32 v12, v50, v12
	v_add3_u32 v15, v15, v7, v14
	v_bfe_u32 v7, v24, 21, 1
	v_add_u32_e32 v7, -1, v7
	v_cmp_eq_u64_e32 vcc, v[12:13], v[16:17]
	v_cndmask_b32_e32 v7, 0, v7, vcc
	v_add_u32_e32 v7, v7, v24
	v_and_b32_e32 v7, 0x1fffff, v7
	v_add_co_u32_e32 v12, vcc, v7, v24
	v_add_u32_e32 v14, 14, v15
	v_addc_co_u32_e32 v13, vcc, 0, v25, vcc
	v_cmp_ne_u32_e32 vcc, 0, v14
                                        ; implicit-def: $vgpr7
	s_and_saveexec_b64 s[30:31], vcc
	s_xor_b64 s[30:31], exec, s[30:31]
; %bb.1612:                             ;   in Loop: Header=BB2_564 Depth=4
	v_add_u32_e32 v7, 15, v15
	v_cmp_lt_u64_e32 vcc, s[56:57], v[12:13]
	v_cndmask_b32_e32 v7, v14, v7, vcc
	v_cndmask_b32_e64 v14, 0, 1, vcc
	v_lshrrev_b64 v[12:13], v14, v[12:13]
; %bb.1613:                             ;   in Loop: Header=BB2_564 Depth=4
	s_andn2_saveexec_b64 vcc, s[30:31]
; %bb.1614:                             ;   in Loop: Header=BB2_564 Depth=4
	v_bfe_u32 v7, v12, 23, 1
; %bb.1615:                             ;   in Loop: Header=BB2_564 Depth=4
	s_or_b64 exec, exec, vcc
	v_lshrrev_b64 v[12:13], 21, v[12:13]
	v_cmp_gt_i32_e32 vcc, 32, v7
	v_cndmask_b32_e32 v13, 0, v13, vcc
	v_cndmask_b32_e32 v12, 3, v12, vcc
	v_cmp_eq_u32_e32 vcc, 0, v7
	v_min_i32_e32 v7, 31, v7
	v_cmp_eq_u64_e64 s[30:31], 0, v[12:13]
	v_lshlrev_b32_e32 v7, 2, v7
	v_and_or_b32 v7, v12, 3, v7
	s_and_b64 vcc, vcc, s[30:31]
	v_cndmask_b32_e64 v7, v7, 0, vcc
	v_or_b32_e32 v16, v7, v0
.LBB2_1616:                             ;   in Loop: Header=BB2_564 Depth=4
	s_or_b64 exec, exec, s[72:73]
.LBB2_1617:                             ;   in Loop: Header=BB2_564 Depth=4
	s_or_b64 exec, exec, s[70:71]
                                        ; implicit-def: $vgpr7
.LBB2_1618:                             ;   in Loop: Header=BB2_564 Depth=4
	s_andn2_saveexec_b64 s[30:31], s[68:69]
; %bb.1619:                             ;   in Loop: Header=BB2_564 Depth=4
	v_or_b32_sdwa v0, v7, s39 dst_sel:DWORD dst_unused:UNUSED_PAD src0_sel:BYTE_3 src1_sel:DWORD
	v_cmp_eq_u64_e32 vcc, 0, v[50:51]
	v_cndmask_b32_e32 v16, v0, v16, vcc
; %bb.1620:                             ;   in Loop: Header=BB2_564 Depth=4
	s_or_b64 exec, exec, s[30:31]
	v_lshrrev_b32_e32 v14, 16, v27
	v_lshrrev_b32_e32 v12, 16, v9
	s_and_b64 vcc, exec, s[28:29]
	v_cmp_ne_u16_sdwa s[30:31], v14, v51 src0_sel:BYTE_0 src1_sel:DWORD
	s_cbranch_vccnz .LBB2_1638
; %bb.1621:                             ;   in Loop: Header=BB2_564 Depth=4
	v_mov_b32_e32 v7, 0
	v_mov_b32_e32 v0, 0
	s_and_saveexec_b64 s[68:69], s[30:31]
	s_cbranch_execz .LBB2_1629
; %bb.1622:                             ;   in Loop: Header=BB2_564 Depth=4
	v_cmp_ne_u16_sdwa vcc, v14, s97 src0_sel:BYTE_0 src1_sel:DWORD
	v_bfrev_b32_e32 v0, 1
	s_and_saveexec_b64 s[70:71], vcc
	s_cbranch_execz .LBB2_1628
; %bb.1623:                             ;   in Loop: Header=BB2_564 Depth=4
	v_and_b32_e32 v0, 0x7c0000, v27
	v_bfe_u32 v13, v27, 16, 2
	v_cmp_ne_u32_e32 vcc, s36, v0
                                        ; implicit-def: $vgpr0
	s_and_saveexec_b64 s[72:73], vcc
	s_xor_b64 s[72:73], exec, s[72:73]
	s_cbranch_execz .LBB2_1625
; %bb.1624:                             ;   in Loop: Header=BB2_564 Depth=4
	v_ffbh_u32_e32 v15, v13
	v_min_u32_e32 v15, 32, v15
	v_subrev_u32_e32 v17, 29, v15
	v_bfe_u32 v0, v27, 18, 5
	v_lshlrev_b64 v[24:25], v17, v[14:15]
	v_sub_u32_e32 v15, 30, v15
	v_and_b32_e32 v17, 3, v24
	v_cmp_eq_u32_e32 vcc, 0, v0
	v_cndmask_b32_e32 v0, v0, v15, vcc
	v_cndmask_b32_e32 v13, v13, v17, vcc
	v_bfrev_b32_e32 v17, 28
	v_lshlrev_b32_e32 v15, 24, v14
	v_lshl_add_u32 v0, v0, 23, v17
	v_and_or_b32 v0, v15, s96, v0
	v_lshl_or_b32 v0, v13, 21, v0
                                        ; implicit-def: $vgpr13
.LBB2_1625:                             ;   in Loop: Header=BB2_564 Depth=4
	s_andn2_saveexec_b64 s[72:73], s[72:73]
; %bb.1626:                             ;   in Loop: Header=BB2_564 Depth=4
	v_mov_b32_e32 v0, -1
	v_cmp_gt_i16_sdwa vcc, sext(v14), v0 src0_sel:BYTE_0 src1_sel:DWORD
	v_mov_b32_e32 v0, 0xc7600000
	v_mov_b32_e32 v15, 0x47600000
	v_cndmask_b32_e32 v0, v0, v15, vcc
	v_cmp_eq_u32_e32 vcc, 0, v13
	v_mov_b32_e32 v13, 0x7f800001
	v_cndmask_b32_e32 v0, v13, v0, vcc
; %bb.1627:                             ;   in Loop: Header=BB2_564 Depth=4
	s_or_b64 exec, exec, s[72:73]
.LBB2_1628:                             ;   in Loop: Header=BB2_564 Depth=4
	s_or_b64 exec, exec, s[70:71]
.LBB2_1629:                             ;   in Loop: Header=BB2_564 Depth=4
	s_or_b64 exec, exec, s[68:69]
	v_cmp_ne_u16_sdwa vcc, v12, v51 src0_sel:BYTE_0 src1_sel:DWORD
	s_and_saveexec_b64 s[68:69], vcc
	s_cbranch_execz .LBB2_1637
; %bb.1630:                             ;   in Loop: Header=BB2_564 Depth=4
	v_cmp_ne_u16_sdwa vcc, v12, s97 src0_sel:BYTE_0 src1_sel:DWORD
	v_bfrev_b32_e32 v7, 1
	s_and_saveexec_b64 s[70:71], vcc
	s_cbranch_execz .LBB2_1636
; %bb.1631:                             ;   in Loop: Header=BB2_564 Depth=4
	v_and_b32_e32 v7, 0x7c0000, v9
	v_bfe_u32 v13, v9, 16, 2
	v_cmp_ne_u32_e32 vcc, s36, v7
                                        ; implicit-def: $vgpr7
	s_and_saveexec_b64 s[72:73], vcc
	s_xor_b64 s[72:73], exec, s[72:73]
	s_cbranch_execz .LBB2_1633
; %bb.1632:                             ;   in Loop: Header=BB2_564 Depth=4
	v_ffbh_u32_e32 v15, v13
	v_min_u32_e32 v15, 32, v15
	v_subrev_u32_e32 v17, 29, v15
	v_bfe_u32 v7, v9, 18, 5
	v_lshlrev_b64 v[24:25], v17, v[12:13]
	v_sub_u32_e32 v15, 30, v15
	v_and_b32_e32 v17, 3, v24
	v_cmp_eq_u32_e32 vcc, 0, v7
	v_cndmask_b32_e32 v7, v7, v15, vcc
	v_cndmask_b32_e32 v13, v13, v17, vcc
	v_bfrev_b32_e32 v17, 28
	v_lshlrev_b32_e32 v15, 24, v12
	v_lshl_add_u32 v7, v7, 23, v17
	v_and_or_b32 v7, v15, s96, v7
	v_lshl_or_b32 v7, v13, 21, v7
                                        ; implicit-def: $vgpr13
.LBB2_1633:                             ;   in Loop: Header=BB2_564 Depth=4
	s_andn2_saveexec_b64 s[72:73], s[72:73]
; %bb.1634:                             ;   in Loop: Header=BB2_564 Depth=4
	v_mov_b32_e32 v7, -1
	v_cmp_gt_i16_sdwa vcc, sext(v12), v7 src0_sel:BYTE_0 src1_sel:DWORD
	v_mov_b32_e32 v7, 0xc7600000
	v_mov_b32_e32 v15, 0x47600000
	v_cndmask_b32_e32 v7, v7, v15, vcc
	v_cmp_eq_u32_e32 vcc, 0, v13
	v_mov_b32_e32 v13, 0x7f800001
	v_cndmask_b32_e32 v7, v13, v7, vcc
; %bb.1635:                             ;   in Loop: Header=BB2_564 Depth=4
	s_or_b64 exec, exec, s[72:73]
.LBB2_1636:                             ;   in Loop: Header=BB2_564 Depth=4
	s_or_b64 exec, exec, s[70:71]
.LBB2_1637:                             ;   in Loop: Header=BB2_564 Depth=4
	s_or_b64 exec, exec, s[68:69]
	v_max_f32_e32 v7, v7, v7
	v_max_f32_e32 v0, v0, v0
	;; [unrolled: 1-line block ×3, first 2 shown]
	s_branch .LBB2_1656
.LBB2_1638:                             ;   in Loop: Header=BB2_564 Depth=4
                                        ; implicit-def: $vgpr7
	s_cbranch_execz .LBB2_1656
; %bb.1639:                             ;   in Loop: Header=BB2_564 Depth=4
	v_mov_b32_e32 v7, 0
	v_mov_b32_e32 v0, 0
	s_and_saveexec_b64 s[68:69], s[30:31]
	s_cbranch_execz .LBB2_1647
; %bb.1640:                             ;   in Loop: Header=BB2_564 Depth=4
	v_cmp_ne_u16_sdwa vcc, v14, s97 src0_sel:BYTE_0 src1_sel:DWORD
	v_bfrev_b32_e32 v0, 1
	s_and_saveexec_b64 s[30:31], vcc
	s_cbranch_execz .LBB2_1646
; %bb.1641:                             ;   in Loop: Header=BB2_564 Depth=4
	v_and_b32_e32 v0, 0x7c0000, v27
	v_bfe_u32 v13, v27, 16, 2
	v_cmp_ne_u32_e32 vcc, s36, v0
                                        ; implicit-def: $vgpr0
	s_and_saveexec_b64 s[70:71], vcc
	s_xor_b64 s[70:71], exec, s[70:71]
	s_cbranch_execz .LBB2_1643
; %bb.1642:                             ;   in Loop: Header=BB2_564 Depth=4
	v_ffbh_u32_e32 v15, v13
	v_min_u32_e32 v15, 32, v15
	v_bfe_u32 v0, v27, 18, 5
	v_subrev_u32_e32 v17, 29, v15
	v_lshlrev_b64 v[24:25], v17, v[14:15]
	v_sub_u32_e32 v15, 30, v15
	v_cmp_eq_u32_e32 vcc, 0, v0
	v_cndmask_b32_e32 v0, v0, v15, vcc
	v_bfrev_b32_e32 v15, 28
	v_and_b32_e32 v17, 3, v24
	v_lshlrev_b32_e32 v14, 24, v14
	v_lshl_add_u32 v0, v0, 23, v15
	v_cndmask_b32_e32 v13, v13, v17, vcc
	v_and_or_b32 v0, v14, s96, v0
	v_lshl_or_b32 v0, v13, 21, v0
                                        ; implicit-def: $vgpr13
                                        ; implicit-def: $vgpr14
.LBB2_1643:                             ;   in Loop: Header=BB2_564 Depth=4
	s_andn2_saveexec_b64 s[70:71], s[70:71]
; %bb.1644:                             ;   in Loop: Header=BB2_564 Depth=4
	v_mov_b32_e32 v0, -1
	v_cmp_gt_i16_sdwa vcc, sext(v14), v0 src0_sel:BYTE_0 src1_sel:DWORD
	v_mov_b32_e32 v0, 0xc7600000
	v_mov_b32_e32 v14, 0x47600000
	v_cndmask_b32_e32 v0, v0, v14, vcc
	v_cmp_eq_u32_e32 vcc, 0, v13
	v_mov_b32_e32 v13, 0x7f800001
	v_cndmask_b32_e32 v0, v13, v0, vcc
; %bb.1645:                             ;   in Loop: Header=BB2_564 Depth=4
	s_or_b64 exec, exec, s[70:71]
.LBB2_1646:                             ;   in Loop: Header=BB2_564 Depth=4
	s_or_b64 exec, exec, s[30:31]
.LBB2_1647:                             ;   in Loop: Header=BB2_564 Depth=4
	s_or_b64 exec, exec, s[68:69]
	v_cmp_ne_u16_sdwa vcc, v12, v51 src0_sel:BYTE_0 src1_sel:DWORD
	s_and_saveexec_b64 s[30:31], vcc
	s_cbranch_execz .LBB2_1655
; %bb.1648:                             ;   in Loop: Header=BB2_564 Depth=4
	v_cmp_ne_u16_sdwa vcc, v12, s97 src0_sel:BYTE_0 src1_sel:DWORD
	v_bfrev_b32_e32 v7, 1
	s_and_saveexec_b64 s[68:69], vcc
	s_cbranch_execz .LBB2_1654
; %bb.1649:                             ;   in Loop: Header=BB2_564 Depth=4
	v_and_b32_e32 v7, 0x7c0000, v9
	v_bfe_u32 v13, v9, 16, 2
	v_cmp_ne_u32_e32 vcc, s36, v7
                                        ; implicit-def: $vgpr7
	s_and_saveexec_b64 s[70:71], vcc
	s_xor_b64 s[70:71], exec, s[70:71]
	s_cbranch_execz .LBB2_1651
; %bb.1650:                             ;   in Loop: Header=BB2_564 Depth=4
	v_ffbh_u32_e32 v14, v13
	v_min_u32_e32 v17, 32, v14
	v_subrev_u32_e32 v14, 29, v17
	v_bfe_u32 v7, v9, 18, 5
	v_lshlrev_b64 v[14:15], v14, v[12:13]
	v_sub_u32_e32 v15, 30, v17
	v_and_b32_e32 v14, 3, v14
	v_cmp_eq_u32_e32 vcc, 0, v7
	v_cndmask_b32_e32 v7, v7, v15, vcc
	v_cndmask_b32_e32 v13, v13, v14, vcc
	v_bfrev_b32_e32 v14, 28
	v_lshlrev_b32_e32 v12, 24, v12
	v_lshl_add_u32 v7, v7, 23, v14
	v_and_or_b32 v7, v12, s96, v7
	v_lshl_or_b32 v7, v13, 21, v7
                                        ; implicit-def: $vgpr13
                                        ; implicit-def: $vgpr12
.LBB2_1651:                             ;   in Loop: Header=BB2_564 Depth=4
	s_andn2_saveexec_b64 s[70:71], s[70:71]
; %bb.1652:                             ;   in Loop: Header=BB2_564 Depth=4
	v_mov_b32_e32 v7, -1
	v_cmp_gt_i16_sdwa vcc, sext(v12), v7 src0_sel:BYTE_0 src1_sel:DWORD
	v_mov_b32_e32 v7, 0xc7600000
	v_mov_b32_e32 v12, 0x47600000
	v_cndmask_b32_e32 v7, v7, v12, vcc
	v_cmp_eq_u32_e32 vcc, 0, v13
	v_mov_b32_e32 v12, 0x7f800001
	v_cndmask_b32_e32 v7, v12, v7, vcc
; %bb.1653:                             ;   in Loop: Header=BB2_564 Depth=4
	s_or_b64 exec, exec, s[70:71]
.LBB2_1654:                             ;   in Loop: Header=BB2_564 Depth=4
	s_or_b64 exec, exec, s[68:69]
.LBB2_1655:                             ;   in Loop: Header=BB2_564 Depth=4
	s_or_b64 exec, exec, s[30:31]
	v_max_f32_e32 v7, v7, v7
	v_max_f32_e32 v0, v0, v0
	v_min_f32_e32 v7, v0, v7
.LBB2_1656:                             ;   in Loop: Header=BB2_564 Depth=4
	v_and_b32_sdwa v0, v7, s97 dst_sel:DWORD dst_unused:UNUSED_PAD src0_sel:BYTE_3 src1_sel:DWORD
	v_and_b32_e32 v12, 0x7f800000, v7
	v_mov_b32_e32 v13, v51
	v_and_b32_e32 v50, 0x7fffff, v7
	v_or_b32_e32 v17, 0x7b, v0
	v_cmp_ne_u64_e32 vcc, s[52:53], v[12:13]
	s_and_saveexec_b64 s[30:31], vcc
	s_xor_b64 s[68:69], exec, s[30:31]
	s_cbranch_execz .LBB2_1666
; %bb.1657:                             ;   in Loop: Header=BB2_564 Depth=4
	v_and_b32_e32 v12, 0x7fffffff, v7
	v_mov_b32_e32 v13, v51
	v_cmp_gt_u64_e32 vcc, s[54:55], v[12:13]
	s_and_saveexec_b64 s[70:71], vcc
	s_cbranch_execz .LBB2_1665
; %bb.1658:                             ;   in Loop: Header=BB2_564 Depth=4
	v_cmp_ne_u32_e32 vcc, 0, v7
	v_mov_b32_e32 v17, 0
	s_and_saveexec_b64 s[72:73], vcc
	s_cbranch_execz .LBB2_1664
; %bb.1659:                             ;   in Loop: Header=BB2_564 Depth=4
	v_bfe_u32 v7, v7, 23, 8
	v_sub_u32_e32 v13, 0x71, v7
	v_cmp_gt_u32_e32 vcc, s38, v7
	v_add_u32_e32 v12, 0xffffff81, v7
	v_cndmask_b32_e32 v13, 0, v13, vcc
	v_cmp_eq_u32_e32 vcc, 0, v7
	v_mov_b32_e32 v7, 0xffffff82
	v_cndmask_b32_e32 v7, v12, v7, vcc
	v_mov_b32_e32 v12, 0x70
	v_or_b32_e32 v14, 0x800000, v50
	v_cndmask_b32_e32 v15, v13, v12, vcc
	v_cndmask_b32_e32 v50, v14, v50, vcc
	v_add_u32_e32 v12, 21, v15
	v_lshlrev_b64 v[12:13], v12, -1
	v_add_u32_e32 v14, 20, v15
	v_lshrrev_b64 v[46:47], v15, v[50:51]
	v_not_b32_e32 v13, v13
	v_not_b32_e32 v12, v12
	v_lshlrev_b64 v[24:25], v14, 1
	v_lshrrev_b32_e32 v14, 23, v46
	v_and_b32_e32 v13, 0, v13
	v_and_b32_e32 v12, v50, v12
	v_add3_u32 v15, v15, v7, v14
	v_bfe_u32 v7, v46, 21, 1
	v_add_u32_e32 v7, -1, v7
	v_cmp_eq_u64_e32 vcc, v[12:13], v[24:25]
	v_cndmask_b32_e32 v7, 0, v7, vcc
	v_add_u32_e32 v7, v7, v46
	v_and_b32_e32 v7, 0x1fffff, v7
	v_add_co_u32_e32 v12, vcc, v7, v46
	v_add_u32_e32 v14, 14, v15
	v_addc_co_u32_e32 v13, vcc, 0, v47, vcc
	v_cmp_ne_u32_e32 vcc, 0, v14
                                        ; implicit-def: $vgpr7
	s_and_saveexec_b64 s[30:31], vcc
	s_xor_b64 s[30:31], exec, s[30:31]
; %bb.1660:                             ;   in Loop: Header=BB2_564 Depth=4
	v_add_u32_e32 v7, 15, v15
	v_cmp_lt_u64_e32 vcc, s[56:57], v[12:13]
	v_cndmask_b32_e32 v7, v14, v7, vcc
	v_cndmask_b32_e64 v14, 0, 1, vcc
	v_lshrrev_b64 v[12:13], v14, v[12:13]
; %bb.1661:                             ;   in Loop: Header=BB2_564 Depth=4
	s_andn2_saveexec_b64 vcc, s[30:31]
; %bb.1662:                             ;   in Loop: Header=BB2_564 Depth=4
	v_bfe_u32 v7, v12, 23, 1
; %bb.1663:                             ;   in Loop: Header=BB2_564 Depth=4
	s_or_b64 exec, exec, vcc
	v_lshrrev_b64 v[12:13], 21, v[12:13]
	v_cmp_gt_i32_e32 vcc, 32, v7
	v_cndmask_b32_e32 v13, 0, v13, vcc
	v_cndmask_b32_e32 v12, 3, v12, vcc
	v_cmp_eq_u32_e32 vcc, 0, v7
	v_min_i32_e32 v7, 31, v7
	v_cmp_eq_u64_e64 s[30:31], 0, v[12:13]
	v_lshlrev_b32_e32 v7, 2, v7
	v_and_or_b32 v7, v12, 3, v7
	s_and_b64 vcc, vcc, s[30:31]
	v_cndmask_b32_e64 v7, v7, 0, vcc
	v_or_b32_e32 v17, v7, v0
.LBB2_1664:                             ;   in Loop: Header=BB2_564 Depth=4
	s_or_b64 exec, exec, s[72:73]
.LBB2_1665:                             ;   in Loop: Header=BB2_564 Depth=4
	s_or_b64 exec, exec, s[70:71]
                                        ; implicit-def: $vgpr7
.LBB2_1666:                             ;   in Loop: Header=BB2_564 Depth=4
	s_andn2_saveexec_b64 s[30:31], s[68:69]
; %bb.1667:                             ;   in Loop: Header=BB2_564 Depth=4
	v_or_b32_sdwa v0, v7, s39 dst_sel:DWORD dst_unused:UNUSED_PAD src0_sel:BYTE_3 src1_sel:DWORD
	v_cmp_eq_u64_e32 vcc, 0, v[50:51]
	v_cndmask_b32_e32 v17, v0, v17, vcc
; %bb.1668:                             ;   in Loop: Header=BB2_564 Depth=4
	s_or_b64 exec, exec, s[30:31]
	v_lshrrev_b32_e32 v14, 24, v27
	v_lshrrev_b32_e32 v12, 24, v9
	s_and_b64 vcc, exec, s[28:29]
	v_cmp_lt_u64_e64 s[30:31], s[42:43], v[26:27]
	s_cbranch_vccnz .LBB2_1686
; %bb.1669:                             ;   in Loop: Header=BB2_564 Depth=4
	v_mov_b32_e32 v7, 0
	v_mov_b32_e32 v0, 0
	s_and_saveexec_b64 s[68:69], s[30:31]
	s_cbranch_execz .LBB2_1677
; %bb.1670:                             ;   in Loop: Header=BB2_564 Depth=4
	v_cmp_ne_u32_e32 vcc, s97, v14
	v_bfrev_b32_e32 v0, 1
	s_and_saveexec_b64 s[70:71], vcc
	s_cbranch_execz .LBB2_1676
; %bb.1671:                             ;   in Loop: Header=BB2_564 Depth=4
	v_and_b32_e32 v0, 0x7c000000, v27
	v_bfe_u32 v13, v27, 24, 2
	v_cmp_ne_u32_e32 vcc, s37, v0
                                        ; implicit-def: $vgpr0
	s_and_saveexec_b64 s[72:73], vcc
	s_xor_b64 s[72:73], exec, s[72:73]
	s_cbranch_execz .LBB2_1673
; %bb.1672:                             ;   in Loop: Header=BB2_564 Depth=4
	v_ffbh_u32_e32 v15, v13
	v_min_u32_e32 v15, 32, v15
	v_bfe_u32 v0, v27, 26, 5
	v_subrev_u32_e32 v24, 29, v15
	v_lshlrev_b64 v[24:25], v24, v[14:15]
	v_sub_u32_e32 v15, 30, v15
	v_cmp_eq_u32_e32 vcc, 0, v0
	v_cndmask_b32_e32 v0, v0, v15, vcc
	v_bfrev_b32_e32 v15, 28
	v_and_b32_e32 v24, 3, v24
	v_lshl_add_u32 v0, v0, 23, v15
	v_cndmask_b32_e32 v13, v13, v24, vcc
	v_and_or_b32 v0, v27, s96, v0
	v_lshl_or_b32 v0, v13, 21, v0
                                        ; implicit-def: $vgpr13
.LBB2_1673:                             ;   in Loop: Header=BB2_564 Depth=4
	s_andn2_saveexec_b64 s[72:73], s[72:73]
; %bb.1674:                             ;   in Loop: Header=BB2_564 Depth=4
	v_cmp_lt_i64_e32 vcc, -1, v[26:27]
	v_mov_b32_e32 v0, 0xc7600000
	v_mov_b32_e32 v15, 0x47600000
	v_cndmask_b32_e32 v0, v0, v15, vcc
	v_cmp_eq_u32_e32 vcc, 0, v13
	v_mov_b32_e32 v13, 0x7f800001
	v_cndmask_b32_e32 v0, v13, v0, vcc
; %bb.1675:                             ;   in Loop: Header=BB2_564 Depth=4
	s_or_b64 exec, exec, s[72:73]
.LBB2_1676:                             ;   in Loop: Header=BB2_564 Depth=4
	s_or_b64 exec, exec, s[70:71]
.LBB2_1677:                             ;   in Loop: Header=BB2_564 Depth=4
	s_or_b64 exec, exec, s[68:69]
	v_cmp_lt_u64_e32 vcc, s[42:43], v[8:9]
	s_and_saveexec_b64 s[68:69], vcc
	s_cbranch_execz .LBB2_1685
; %bb.1678:                             ;   in Loop: Header=BB2_564 Depth=4
	v_cmp_ne_u32_e32 vcc, s97, v12
	v_bfrev_b32_e32 v7, 1
	s_and_saveexec_b64 s[70:71], vcc
	s_cbranch_execz .LBB2_1684
; %bb.1679:                             ;   in Loop: Header=BB2_564 Depth=4
	v_and_b32_e32 v7, 0x7c000000, v9
	v_bfe_u32 v13, v9, 24, 2
	v_cmp_ne_u32_e32 vcc, s37, v7
                                        ; implicit-def: $vgpr7
	s_and_saveexec_b64 s[72:73], vcc
	s_xor_b64 s[72:73], exec, s[72:73]
	s_cbranch_execz .LBB2_1681
; %bb.1680:                             ;   in Loop: Header=BB2_564 Depth=4
	v_ffbh_u32_e32 v15, v13
	v_bfe_u32 v7, v9, 26, 5
	v_min_u32_e32 v15, 32, v15
	v_subrev_u32_e32 v24, 29, v15
	v_sub_u32_e32 v15, 30, v15
	v_cmp_eq_u32_e32 vcc, 0, v7
	v_lshlrev_b64 v[24:25], v24, v[12:13]
	v_cndmask_b32_e32 v7, v7, v15, vcc
	v_bfrev_b32_e32 v15, 28
	v_and_b32_e32 v24, 3, v24
	v_lshl_add_u32 v7, v7, 23, v15
	v_cndmask_b32_e32 v13, v13, v24, vcc
	v_and_or_b32 v7, v9, s96, v7
	v_lshl_or_b32 v7, v13, 21, v7
                                        ; implicit-def: $vgpr13
.LBB2_1681:                             ;   in Loop: Header=BB2_564 Depth=4
	s_andn2_saveexec_b64 s[72:73], s[72:73]
; %bb.1682:                             ;   in Loop: Header=BB2_564 Depth=4
	v_cmp_lt_i64_e32 vcc, -1, v[8:9]
	v_mov_b32_e32 v7, 0xc7600000
	v_mov_b32_e32 v15, 0x47600000
	v_cndmask_b32_e32 v7, v7, v15, vcc
	v_cmp_eq_u32_e32 vcc, 0, v13
	v_mov_b32_e32 v13, 0x7f800001
	v_cndmask_b32_e32 v7, v13, v7, vcc
; %bb.1683:                             ;   in Loop: Header=BB2_564 Depth=4
	s_or_b64 exec, exec, s[72:73]
.LBB2_1684:                             ;   in Loop: Header=BB2_564 Depth=4
	s_or_b64 exec, exec, s[70:71]
.LBB2_1685:                             ;   in Loop: Header=BB2_564 Depth=4
	s_or_b64 exec, exec, s[68:69]
	v_max_f32_e32 v7, v7, v7
	v_max_f32_e32 v0, v0, v0
	;; [unrolled: 1-line block ×3, first 2 shown]
	s_branch .LBB2_1704
.LBB2_1686:                             ;   in Loop: Header=BB2_564 Depth=4
                                        ; implicit-def: $vgpr7
	s_cbranch_execz .LBB2_1704
; %bb.1687:                             ;   in Loop: Header=BB2_564 Depth=4
	v_mov_b32_e32 v7, 0
	v_mov_b32_e32 v0, 0
	s_and_saveexec_b64 s[68:69], s[30:31]
	s_cbranch_execz .LBB2_1695
; %bb.1688:                             ;   in Loop: Header=BB2_564 Depth=4
	v_cmp_ne_u32_e32 vcc, s97, v14
	v_bfrev_b32_e32 v0, 1
	s_and_saveexec_b64 s[30:31], vcc
	s_cbranch_execz .LBB2_1694
; %bb.1689:                             ;   in Loop: Header=BB2_564 Depth=4
	v_and_b32_e32 v0, 0x7c000000, v27
	v_bfe_u32 v13, v27, 24, 2
	v_cmp_ne_u32_e32 vcc, s37, v0
                                        ; implicit-def: $vgpr0
	s_and_saveexec_b64 s[70:71], vcc
	s_xor_b64 s[70:71], exec, s[70:71]
	s_cbranch_execz .LBB2_1691
; %bb.1690:                             ;   in Loop: Header=BB2_564 Depth=4
	v_ffbh_u32_e32 v15, v13
	v_min_u32_e32 v24, 32, v15
	v_subrev_u32_e32 v15, 29, v24
	v_bfe_u32 v0, v27, 26, 5
	v_lshlrev_b64 v[14:15], v15, v[14:15]
	v_sub_u32_e32 v15, 30, v24
	v_and_b32_e32 v14, 3, v14
	v_cmp_eq_u32_e32 vcc, 0, v0
	v_cndmask_b32_e32 v0, v0, v15, vcc
	v_cndmask_b32_e32 v13, v13, v14, vcc
	v_bfrev_b32_e32 v14, 28
	v_lshl_add_u32 v0, v0, 23, v14
	v_and_or_b32 v0, v27, s96, v0
	v_lshl_or_b32 v0, v13, 21, v0
                                        ; implicit-def: $vgpr13
.LBB2_1691:                             ;   in Loop: Header=BB2_564 Depth=4
	s_andn2_saveexec_b64 s[70:71], s[70:71]
; %bb.1692:                             ;   in Loop: Header=BB2_564 Depth=4
	v_cmp_lt_i64_e32 vcc, -1, v[26:27]
	v_mov_b32_e32 v0, 0xc7600000
	v_mov_b32_e32 v14, 0x47600000
	v_cndmask_b32_e32 v0, v0, v14, vcc
	v_cmp_eq_u32_e32 vcc, 0, v13
	v_mov_b32_e32 v13, 0x7f800001
	v_cndmask_b32_e32 v0, v13, v0, vcc
; %bb.1693:                             ;   in Loop: Header=BB2_564 Depth=4
	s_or_b64 exec, exec, s[70:71]
.LBB2_1694:                             ;   in Loop: Header=BB2_564 Depth=4
	s_or_b64 exec, exec, s[30:31]
.LBB2_1695:                             ;   in Loop: Header=BB2_564 Depth=4
	s_or_b64 exec, exec, s[68:69]
	v_cmp_lt_u64_e32 vcc, s[42:43], v[8:9]
	s_and_saveexec_b64 s[30:31], vcc
	s_cbranch_execz .LBB2_1703
; %bb.1696:                             ;   in Loop: Header=BB2_564 Depth=4
	v_cmp_ne_u32_e32 vcc, s97, v12
	v_bfrev_b32_e32 v7, 1
	s_and_saveexec_b64 s[68:69], vcc
	s_cbranch_execz .LBB2_1702
; %bb.1697:                             ;   in Loop: Header=BB2_564 Depth=4
	v_and_b32_e32 v7, 0x7c000000, v9
	v_bfe_u32 v13, v9, 24, 2
	v_cmp_ne_u32_e32 vcc, s37, v7
                                        ; implicit-def: $vgpr7
	s_and_saveexec_b64 s[70:71], vcc
	s_xor_b64 s[70:71], exec, s[70:71]
	s_cbranch_execz .LBB2_1699
; %bb.1698:                             ;   in Loop: Header=BB2_564 Depth=4
	v_ffbh_u32_e32 v8, v13
	v_min_u32_e32 v8, 32, v8
	v_subrev_u32_e32 v14, 29, v8
	v_bfe_u32 v7, v9, 26, 5
	v_lshlrev_b64 v[14:15], v14, v[12:13]
	v_sub_u32_e32 v8, 30, v8
	v_and_b32_e32 v12, 3, v14
	v_cmp_eq_u32_e32 vcc, 0, v7
	v_cndmask_b32_e32 v7, v7, v8, vcc
	v_cndmask_b32_e32 v8, v13, v12, vcc
	v_bfrev_b32_e32 v12, 28
	v_lshl_add_u32 v7, v7, 23, v12
	v_and_or_b32 v7, v9, s96, v7
	v_lshl_or_b32 v7, v8, 21, v7
                                        ; implicit-def: $vgpr13
.LBB2_1699:                             ;   in Loop: Header=BB2_564 Depth=4
	s_andn2_saveexec_b64 s[70:71], s[70:71]
; %bb.1700:                             ;   in Loop: Header=BB2_564 Depth=4
	v_cmp_lt_i64_e32 vcc, -1, v[8:9]
	v_mov_b32_e32 v7, 0xc7600000
	v_mov_b32_e32 v8, 0x47600000
	v_cndmask_b32_e32 v7, v7, v8, vcc
	v_cmp_eq_u32_e32 vcc, 0, v13
	v_mov_b32_e32 v8, 0x7f800001
	v_cndmask_b32_e32 v7, v8, v7, vcc
; %bb.1701:                             ;   in Loop: Header=BB2_564 Depth=4
	s_or_b64 exec, exec, s[70:71]
.LBB2_1702:                             ;   in Loop: Header=BB2_564 Depth=4
	s_or_b64 exec, exec, s[68:69]
.LBB2_1703:                             ;   in Loop: Header=BB2_564 Depth=4
	s_or_b64 exec, exec, s[30:31]
	v_max_f32_e32 v7, v7, v7
	v_max_f32_e32 v0, v0, v0
	v_min_f32_e32 v7, v0, v7
.LBB2_1704:                             ;   in Loop: Header=BB2_564 Depth=4
	v_and_b32_sdwa v0, v7, s97 dst_sel:DWORD dst_unused:UNUSED_PAD src0_sel:BYTE_3 src1_sel:DWORD
	v_and_b32_e32 v8, 0x7f800000, v7
	v_mov_b32_e32 v9, v51
	v_and_b32_e32 v50, 0x7fffff, v7
	v_or_b32_e32 v26, 0x7b, v0
	v_cmp_ne_u64_e32 vcc, s[52:53], v[8:9]
	s_and_saveexec_b64 s[30:31], vcc
	s_xor_b64 s[68:69], exec, s[30:31]
	s_cbranch_execz .LBB2_1732
; %bb.1705:                             ;   in Loop: Header=BB2_564 Depth=4
	v_and_b32_e32 v8, 0x7fffffff, v7
	v_mov_b32_e32 v9, v51
	v_cmp_gt_u64_e32 vcc, s[54:55], v[8:9]
	s_and_saveexec_b64 s[70:71], vcc
	s_cbranch_execz .LBB2_1713
; %bb.1706:                             ;   in Loop: Header=BB2_564 Depth=4
	v_cmp_ne_u32_e32 vcc, 0, v7
	v_mov_b32_e32 v26, 0
	s_and_saveexec_b64 s[72:73], vcc
	s_cbranch_execz .LBB2_1712
; %bb.1707:                             ;   in Loop: Header=BB2_564 Depth=4
	v_bfe_u32 v7, v7, 23, 8
	v_sub_u32_e32 v9, 0x71, v7
	v_cmp_gt_u32_e32 vcc, s38, v7
	v_add_u32_e32 v8, 0xffffff81, v7
	v_cndmask_b32_e32 v9, 0, v9, vcc
	v_cmp_eq_u32_e32 vcc, 0, v7
	v_mov_b32_e32 v7, 0xffffff82
	v_cndmask_b32_e32 v7, v8, v7, vcc
	v_mov_b32_e32 v8, 0x70
	v_or_b32_e32 v12, 0x800000, v50
	v_cndmask_b32_e32 v13, v9, v8, vcc
	v_cndmask_b32_e32 v50, v12, v50, vcc
	v_add_u32_e32 v8, 21, v13
	v_lshlrev_b64 v[8:9], v8, -1
	v_add_u32_e32 v12, 20, v13
	v_lshrrev_b64 v[24:25], v13, v[50:51]
	v_not_b32_e32 v9, v9
	v_not_b32_e32 v8, v8
	v_lshlrev_b64 v[14:15], v12, 1
	v_lshrrev_b32_e32 v12, 23, v24
	v_and_b32_e32 v9, 0, v9
	v_and_b32_e32 v8, v50, v8
	v_add3_u32 v13, v13, v7, v12
	v_bfe_u32 v7, v24, 21, 1
	v_add_u32_e32 v7, -1, v7
	v_cmp_eq_u64_e32 vcc, v[8:9], v[14:15]
	v_cndmask_b32_e32 v7, 0, v7, vcc
	v_add_u32_e32 v7, v7, v24
	v_and_b32_e32 v7, 0x1fffff, v7
	v_add_co_u32_e32 v8, vcc, v7, v24
	v_add_u32_e32 v12, 14, v13
	v_addc_co_u32_e32 v9, vcc, 0, v25, vcc
	v_cmp_ne_u32_e32 vcc, 0, v12
                                        ; implicit-def: $vgpr7
	s_and_saveexec_b64 s[30:31], vcc
	s_xor_b64 s[30:31], exec, s[30:31]
; %bb.1708:                             ;   in Loop: Header=BB2_564 Depth=4
	v_add_u32_e32 v7, 15, v13
	v_cmp_lt_u64_e32 vcc, s[56:57], v[8:9]
	v_cndmask_b32_e32 v7, v12, v7, vcc
	v_cndmask_b32_e64 v12, 0, 1, vcc
	v_lshrrev_b64 v[8:9], v12, v[8:9]
; %bb.1709:                             ;   in Loop: Header=BB2_564 Depth=4
	s_andn2_saveexec_b64 vcc, s[30:31]
; %bb.1710:                             ;   in Loop: Header=BB2_564 Depth=4
	v_bfe_u32 v7, v8, 23, 1
; %bb.1711:                             ;   in Loop: Header=BB2_564 Depth=4
	s_or_b64 exec, exec, vcc
	v_lshrrev_b64 v[8:9], 21, v[8:9]
	v_cmp_gt_i32_e32 vcc, 32, v7
	v_cndmask_b32_e32 v9, 0, v9, vcc
	v_cndmask_b32_e32 v8, 3, v8, vcc
	v_cmp_eq_u32_e32 vcc, 0, v7
	v_min_i32_e32 v7, 31, v7
	v_lshlrev_b32_e32 v7, 2, v7
	v_cmp_eq_u64_e64 s[30:31], 0, v[8:9]
	v_and_b32_e32 v7, 0xfc, v7
	v_and_or_b32 v7, v8, 3, v7
	s_and_b64 vcc, vcc, s[30:31]
	v_cndmask_b32_e64 v7, v7, 0, vcc
	v_or_b32_e32 v26, v7, v0
.LBB2_1712:                             ;   in Loop: Header=BB2_564 Depth=4
	s_or_b64 exec, exec, s[72:73]
.LBB2_1713:                             ;   in Loop: Header=BB2_564 Depth=4
	s_or_b64 exec, exec, s[70:71]
                                        ; implicit-def: $vgpr7
	s_andn2_saveexec_b64 s[30:31], s[68:69]
	s_cbranch_execnz .LBB2_1733
.LBB2_1714:                             ;   in Loop: Header=BB2_564 Depth=4
	s_or_b64 exec, exec, s[30:31]
	s_and_b64 vcc, exec, s[28:29]
	v_cmp_ne_u16_sdwa s[30:31], v28, v51 src0_sel:BYTE_0 src1_sel:DWORD
	s_cbranch_vccnz .LBB2_1734
.LBB2_1715:                             ;   in Loop: Header=BB2_564 Depth=4
	v_mov_b32_e32 v7, 0
	v_mov_b32_e32 v0, 0
	s_and_saveexec_b64 s[68:69], s[30:31]
	s_cbranch_execz .LBB2_1723
; %bb.1716:                             ;   in Loop: Header=BB2_564 Depth=4
	v_cmp_ne_u16_sdwa vcc, sext(v28), s94 src0_sel:BYTE_0 src1_sel:DWORD
	v_bfrev_b32_e32 v0, 1
	s_and_saveexec_b64 s[70:71], vcc
	s_cbranch_execz .LBB2_1722
; %bb.1717:                             ;   in Loop: Header=BB2_564 Depth=4
	v_and_b32_e32 v0, 0x7c, v28
	v_and_b32_e32 v8, 3, v28
	v_cmp_ne_u32_e32 vcc, s95, v0
                                        ; implicit-def: $vgpr0
	s_and_saveexec_b64 s[72:73], vcc
	s_xor_b64 s[72:73], exec, s[72:73]
	s_cbranch_execz .LBB2_1719
; %bb.1718:                             ;   in Loop: Header=BB2_564 Depth=4
	v_ffbh_u32_e32 v9, v8
	v_min_u32_e32 v9, 32, v9
	v_subrev_u32_e32 v12, 29, v9
	v_bfe_u32 v0, v28, 2, 5
	v_lshlrev_b64 v[12:13], v12, v[28:29]
	v_sub_u32_e32 v9, 30, v9
	v_and_b32_e32 v12, 3, v12
	v_cmp_eq_u32_e32 vcc, 0, v0
	v_cndmask_b32_e32 v0, v0, v9, vcc
	v_cndmask_b32_e32 v8, v8, v12, vcc
	v_bfrev_b32_e32 v12, 28
	v_lshlrev_b32_e32 v9, 24, v28
	v_lshl_add_u32 v0, v0, 23, v12
	v_and_or_b32 v0, v9, s96, v0
	v_lshl_or_b32 v0, v8, 21, v0
                                        ; implicit-def: $vgpr8
.LBB2_1719:                             ;   in Loop: Header=BB2_564 Depth=4
	s_andn2_saveexec_b64 s[72:73], s[72:73]
; %bb.1720:                             ;   in Loop: Header=BB2_564 Depth=4
	v_mov_b32_e32 v0, -1
	v_cmp_gt_i16_sdwa vcc, sext(v28), v0 src0_sel:BYTE_0 src1_sel:DWORD
	v_mov_b32_e32 v0, 0xc7600000
	v_mov_b32_e32 v9, 0x47600000
	v_cndmask_b32_e32 v0, v0, v9, vcc
	v_cmp_eq_u32_e32 vcc, 0, v8
	v_mov_b32_e32 v8, 0x7f800001
	v_cndmask_b32_e32 v0, v8, v0, vcc
; %bb.1721:                             ;   in Loop: Header=BB2_564 Depth=4
	s_or_b64 exec, exec, s[72:73]
.LBB2_1722:                             ;   in Loop: Header=BB2_564 Depth=4
	s_or_b64 exec, exec, s[70:71]
.LBB2_1723:                             ;   in Loop: Header=BB2_564 Depth=4
	s_or_b64 exec, exec, s[68:69]
	v_cmp_ne_u16_sdwa vcc, sext(v10), v51 src0_sel:BYTE_0 src1_sel:DWORD
	s_and_saveexec_b64 s[68:69], vcc
	s_cbranch_execz .LBB2_1731
; %bb.1724:                             ;   in Loop: Header=BB2_564 Depth=4
	v_cmp_ne_u16_sdwa vcc, sext(v10), s94 src0_sel:BYTE_0 src1_sel:DWORD
	v_bfrev_b32_e32 v7, 1
	s_and_saveexec_b64 s[70:71], vcc
	s_cbranch_execz .LBB2_1730
; %bb.1725:                             ;   in Loop: Header=BB2_564 Depth=4
	v_and_b32_e32 v7, 0x7c, v10
	v_and_b32_e32 v8, 3, v10
	v_cmp_ne_u32_e32 vcc, s95, v7
                                        ; implicit-def: $vgpr7
	s_and_saveexec_b64 s[72:73], vcc
	s_xor_b64 s[72:73], exec, s[72:73]
	s_cbranch_execz .LBB2_1727
; %bb.1726:                             ;   in Loop: Header=BB2_564 Depth=4
	v_ffbh_u32_e32 v9, v8
	v_min_u32_e32 v9, 32, v9
	v_subrev_u32_e32 v12, 29, v9
	v_bfe_u32 v7, v10, 2, 5
	v_lshlrev_b64 v[12:13], v12, v[10:11]
	v_sub_u32_e32 v9, 30, v9
	v_and_b32_e32 v12, 3, v12
	v_cmp_eq_u32_e32 vcc, 0, v7
	v_cndmask_b32_e32 v7, v7, v9, vcc
	v_cndmask_b32_e32 v8, v8, v12, vcc
	v_bfrev_b32_e32 v12, 28
	v_lshlrev_b32_e32 v9, 24, v10
	v_lshl_add_u32 v7, v7, 23, v12
	v_and_or_b32 v7, v9, s96, v7
	v_lshl_or_b32 v7, v8, 21, v7
                                        ; implicit-def: $vgpr8
.LBB2_1727:                             ;   in Loop: Header=BB2_564 Depth=4
	s_andn2_saveexec_b64 s[72:73], s[72:73]
; %bb.1728:                             ;   in Loop: Header=BB2_564 Depth=4
	v_mov_b32_e32 v7, -1
	v_cmp_gt_i16_sdwa vcc, sext(v10), v7 src0_sel:BYTE_0 src1_sel:DWORD
	v_mov_b32_e32 v7, 0xc7600000
	v_mov_b32_e32 v9, 0x47600000
	v_cndmask_b32_e32 v7, v7, v9, vcc
	v_cmp_eq_u32_e32 vcc, 0, v8
	v_mov_b32_e32 v8, 0x7f800001
	v_cndmask_b32_e32 v7, v8, v7, vcc
; %bb.1729:                             ;   in Loop: Header=BB2_564 Depth=4
	s_or_b64 exec, exec, s[72:73]
.LBB2_1730:                             ;   in Loop: Header=BB2_564 Depth=4
	s_or_b64 exec, exec, s[70:71]
.LBB2_1731:                             ;   in Loop: Header=BB2_564 Depth=4
	s_or_b64 exec, exec, s[68:69]
	v_max_f32_e32 v7, v7, v7
	v_max_f32_e32 v0, v0, v0
	;; [unrolled: 1-line block ×3, first 2 shown]
	s_branch .LBB2_1752
.LBB2_1732:                             ;   in Loop: Header=BB2_564 Depth=4
	s_andn2_saveexec_b64 s[30:31], s[68:69]
	s_cbranch_execz .LBB2_1714
.LBB2_1733:                             ;   in Loop: Header=BB2_564 Depth=4
	v_or_b32_sdwa v0, v7, s39 dst_sel:DWORD dst_unused:UNUSED_PAD src0_sel:BYTE_3 src1_sel:DWORD
	v_cmp_eq_u64_e32 vcc, 0, v[50:51]
	v_cndmask_b32_e32 v26, v0, v26, vcc
	s_or_b64 exec, exec, s[30:31]
	s_and_b64 vcc, exec, s[28:29]
	v_cmp_ne_u16_sdwa s[30:31], v28, v51 src0_sel:BYTE_0 src1_sel:DWORD
	s_cbranch_vccz .LBB2_1715
.LBB2_1734:                             ;   in Loop: Header=BB2_564 Depth=4
                                        ; implicit-def: $vgpr7
	s_cbranch_execz .LBB2_1752
; %bb.1735:                             ;   in Loop: Header=BB2_564 Depth=4
	v_mov_b32_e32 v7, 0
	v_mov_b32_e32 v0, 0
	s_and_saveexec_b64 s[68:69], s[30:31]
	s_cbranch_execz .LBB2_1743
; %bb.1736:                             ;   in Loop: Header=BB2_564 Depth=4
	v_cmp_ne_u16_sdwa vcc, sext(v28), s94 src0_sel:BYTE_0 src1_sel:DWORD
	v_bfrev_b32_e32 v0, 1
	s_and_saveexec_b64 s[30:31], vcc
	s_cbranch_execz .LBB2_1742
; %bb.1737:                             ;   in Loop: Header=BB2_564 Depth=4
	v_and_b32_e32 v0, 0x7c, v28
	v_and_b32_e32 v8, 3, v28
	v_cmp_ne_u32_e32 vcc, s95, v0
                                        ; implicit-def: $vgpr0
	s_and_saveexec_b64 s[70:71], vcc
	s_xor_b64 s[70:71], exec, s[70:71]
	s_cbranch_execz .LBB2_1739
; %bb.1738:                             ;   in Loop: Header=BB2_564 Depth=4
	v_ffbh_u32_e32 v9, v8
	v_min_u32_e32 v9, 32, v9
	v_subrev_u32_e32 v12, 29, v9
	v_bfe_u32 v0, v28, 2, 5
	v_lshlrev_b64 v[12:13], v12, v[28:29]
	v_sub_u32_e32 v9, 30, v9
	v_and_b32_e32 v12, 3, v12
	v_cmp_eq_u32_e32 vcc, 0, v0
	v_cndmask_b32_e32 v0, v0, v9, vcc
	v_cndmask_b32_e32 v8, v8, v12, vcc
	v_bfrev_b32_e32 v12, 28
	v_lshlrev_b32_e32 v9, 24, v28
	v_lshl_add_u32 v0, v0, 23, v12
	v_and_or_b32 v0, v9, s96, v0
	v_lshl_or_b32 v0, v8, 21, v0
                                        ; implicit-def: $vgpr8
.LBB2_1739:                             ;   in Loop: Header=BB2_564 Depth=4
	s_andn2_saveexec_b64 s[70:71], s[70:71]
; %bb.1740:                             ;   in Loop: Header=BB2_564 Depth=4
	v_mov_b32_e32 v0, -1
	v_cmp_gt_i16_sdwa vcc, sext(v28), v0 src0_sel:BYTE_0 src1_sel:DWORD
	v_mov_b32_e32 v0, 0xc7600000
	v_mov_b32_e32 v9, 0x47600000
	v_cndmask_b32_e32 v0, v0, v9, vcc
	v_cmp_eq_u32_e32 vcc, 0, v8
	v_mov_b32_e32 v8, 0x7f800001
	v_cndmask_b32_e32 v0, v8, v0, vcc
; %bb.1741:                             ;   in Loop: Header=BB2_564 Depth=4
	s_or_b64 exec, exec, s[70:71]
.LBB2_1742:                             ;   in Loop: Header=BB2_564 Depth=4
	s_or_b64 exec, exec, s[30:31]
.LBB2_1743:                             ;   in Loop: Header=BB2_564 Depth=4
	s_or_b64 exec, exec, s[68:69]
	v_cmp_ne_u16_sdwa vcc, sext(v10), v51 src0_sel:BYTE_0 src1_sel:DWORD
	s_and_saveexec_b64 s[30:31], vcc
	s_cbranch_execz .LBB2_1751
; %bb.1744:                             ;   in Loop: Header=BB2_564 Depth=4
	v_cmp_ne_u16_sdwa vcc, sext(v10), s94 src0_sel:BYTE_0 src1_sel:DWORD
	v_bfrev_b32_e32 v7, 1
	s_and_saveexec_b64 s[68:69], vcc
	s_cbranch_execz .LBB2_1750
; %bb.1745:                             ;   in Loop: Header=BB2_564 Depth=4
	v_and_b32_e32 v7, 0x7c, v10
	v_and_b32_e32 v8, 3, v10
	v_cmp_ne_u32_e32 vcc, s95, v7
                                        ; implicit-def: $vgpr7
	s_and_saveexec_b64 s[70:71], vcc
	s_xor_b64 s[70:71], exec, s[70:71]
	s_cbranch_execz .LBB2_1747
; %bb.1746:                             ;   in Loop: Header=BB2_564 Depth=4
	v_ffbh_u32_e32 v9, v8
	v_min_u32_e32 v9, 32, v9
	v_subrev_u32_e32 v12, 29, v9
	v_bfe_u32 v7, v10, 2, 5
	v_lshlrev_b64 v[12:13], v12, v[10:11]
	v_sub_u32_e32 v9, 30, v9
	v_and_b32_e32 v12, 3, v12
	v_cmp_eq_u32_e32 vcc, 0, v7
	v_cndmask_b32_e32 v7, v7, v9, vcc
	v_cndmask_b32_e32 v8, v8, v12, vcc
	v_bfrev_b32_e32 v12, 28
	v_lshlrev_b32_e32 v9, 24, v10
	v_lshl_add_u32 v7, v7, 23, v12
	v_and_or_b32 v7, v9, s96, v7
	v_lshl_or_b32 v7, v8, 21, v7
                                        ; implicit-def: $vgpr8
.LBB2_1747:                             ;   in Loop: Header=BB2_564 Depth=4
	s_andn2_saveexec_b64 s[70:71], s[70:71]
; %bb.1748:                             ;   in Loop: Header=BB2_564 Depth=4
	v_mov_b32_e32 v7, -1
	v_cmp_gt_i16_sdwa vcc, sext(v10), v7 src0_sel:BYTE_0 src1_sel:DWORD
	v_mov_b32_e32 v7, 0xc7600000
	v_mov_b32_e32 v9, 0x47600000
	v_cndmask_b32_e32 v7, v7, v9, vcc
	v_cmp_eq_u32_e32 vcc, 0, v8
	v_mov_b32_e32 v8, 0x7f800001
	v_cndmask_b32_e32 v7, v8, v7, vcc
; %bb.1749:                             ;   in Loop: Header=BB2_564 Depth=4
	s_or_b64 exec, exec, s[70:71]
.LBB2_1750:                             ;   in Loop: Header=BB2_564 Depth=4
	s_or_b64 exec, exec, s[68:69]
.LBB2_1751:                             ;   in Loop: Header=BB2_564 Depth=4
	s_or_b64 exec, exec, s[30:31]
	v_max_f32_e32 v7, v7, v7
	v_max_f32_e32 v0, v0, v0
	v_min_f32_e32 v7, v0, v7
.LBB2_1752:                             ;   in Loop: Header=BB2_564 Depth=4
	v_and_b32_sdwa v0, v7, s97 dst_sel:DWORD dst_unused:UNUSED_PAD src0_sel:BYTE_3 src1_sel:DWORD
	v_and_b32_e32 v8, 0x7f800000, v7
	v_mov_b32_e32 v9, v51
	v_and_b32_e32 v50, 0x7fffff, v7
	v_or_b32_e32 v27, 0x7b, v0
	v_cmp_ne_u64_e32 vcc, s[52:53], v[8:9]
	s_and_saveexec_b64 s[30:31], vcc
	s_xor_b64 s[68:69], exec, s[30:31]
	s_cbranch_execz .LBB2_1762
; %bb.1753:                             ;   in Loop: Header=BB2_564 Depth=4
	v_and_b32_e32 v8, 0x7fffffff, v7
	v_mov_b32_e32 v9, v51
	v_cmp_gt_u64_e32 vcc, s[54:55], v[8:9]
	s_and_saveexec_b64 s[70:71], vcc
	s_cbranch_execz .LBB2_1761
; %bb.1754:                             ;   in Loop: Header=BB2_564 Depth=4
	v_cmp_ne_u32_e32 vcc, 0, v7
	v_mov_b32_e32 v27, 0
	s_and_saveexec_b64 s[72:73], vcc
	s_cbranch_execz .LBB2_1760
; %bb.1755:                             ;   in Loop: Header=BB2_564 Depth=4
	v_bfe_u32 v7, v7, 23, 8
	v_sub_u32_e32 v9, 0x71, v7
	v_cmp_gt_u32_e32 vcc, s38, v7
	v_add_u32_e32 v8, 0xffffff81, v7
	v_cndmask_b32_e32 v9, 0, v9, vcc
	v_cmp_eq_u32_e32 vcc, 0, v7
	v_mov_b32_e32 v7, 0xffffff82
	v_cndmask_b32_e32 v7, v8, v7, vcc
	v_mov_b32_e32 v8, 0x70
	v_or_b32_e32 v12, 0x800000, v50
	v_cndmask_b32_e32 v13, v9, v8, vcc
	v_cndmask_b32_e32 v50, v12, v50, vcc
	v_add_u32_e32 v8, 21, v13
	v_lshlrev_b64 v[8:9], v8, -1
	v_add_u32_e32 v12, 20, v13
	v_lshrrev_b64 v[24:25], v13, v[50:51]
	v_not_b32_e32 v9, v9
	v_not_b32_e32 v8, v8
	v_lshlrev_b64 v[14:15], v12, 1
	v_lshrrev_b32_e32 v12, 23, v24
	v_and_b32_e32 v9, 0, v9
	v_and_b32_e32 v8, v50, v8
	v_add3_u32 v13, v13, v7, v12
	v_bfe_u32 v7, v24, 21, 1
	v_add_u32_e32 v7, -1, v7
	v_cmp_eq_u64_e32 vcc, v[8:9], v[14:15]
	v_cndmask_b32_e32 v7, 0, v7, vcc
	v_add_u32_e32 v7, v7, v24
	v_and_b32_e32 v7, 0x1fffff, v7
	v_add_co_u32_e32 v8, vcc, v7, v24
	v_add_u32_e32 v12, 14, v13
	v_addc_co_u32_e32 v9, vcc, 0, v25, vcc
	v_cmp_ne_u32_e32 vcc, 0, v12
                                        ; implicit-def: $vgpr7
	s_and_saveexec_b64 s[30:31], vcc
	s_xor_b64 s[30:31], exec, s[30:31]
; %bb.1756:                             ;   in Loop: Header=BB2_564 Depth=4
	v_add_u32_e32 v7, 15, v13
	v_cmp_lt_u64_e32 vcc, s[56:57], v[8:9]
	v_cndmask_b32_e32 v7, v12, v7, vcc
	v_cndmask_b32_e64 v12, 0, 1, vcc
	v_lshrrev_b64 v[8:9], v12, v[8:9]
; %bb.1757:                             ;   in Loop: Header=BB2_564 Depth=4
	s_andn2_saveexec_b64 vcc, s[30:31]
; %bb.1758:                             ;   in Loop: Header=BB2_564 Depth=4
	v_bfe_u32 v7, v8, 23, 1
; %bb.1759:                             ;   in Loop: Header=BB2_564 Depth=4
	s_or_b64 exec, exec, vcc
	v_lshrrev_b64 v[8:9], 21, v[8:9]
	v_cmp_gt_i32_e32 vcc, 32, v7
	v_cndmask_b32_e32 v9, 0, v9, vcc
	v_cndmask_b32_e32 v8, 3, v8, vcc
	v_cmp_eq_u32_e32 vcc, 0, v7
	v_min_i32_e32 v7, 31, v7
	v_cmp_eq_u64_e64 s[30:31], 0, v[8:9]
	v_lshlrev_b32_e32 v7, 2, v7
	v_and_or_b32 v7, v8, 3, v7
	s_and_b64 vcc, vcc, s[30:31]
	v_cndmask_b32_e64 v7, v7, 0, vcc
	v_or_b32_e32 v27, v7, v0
.LBB2_1760:                             ;   in Loop: Header=BB2_564 Depth=4
	s_or_b64 exec, exec, s[72:73]
.LBB2_1761:                             ;   in Loop: Header=BB2_564 Depth=4
	s_or_b64 exec, exec, s[70:71]
                                        ; implicit-def: $vgpr7
.LBB2_1762:                             ;   in Loop: Header=BB2_564 Depth=4
	s_andn2_saveexec_b64 s[30:31], s[68:69]
; %bb.1763:                             ;   in Loop: Header=BB2_564 Depth=4
	v_or_b32_sdwa v0, v7, s39 dst_sel:DWORD dst_unused:UNUSED_PAD src0_sel:BYTE_3 src1_sel:DWORD
	v_cmp_eq_u64_e32 vcc, 0, v[50:51]
	v_cndmask_b32_e32 v27, v0, v27, vcc
; %bb.1764:                             ;   in Loop: Header=BB2_564 Depth=4
	s_or_b64 exec, exec, s[30:31]
	v_lshrrev_b16_e32 v50, 8, v28
	v_lshrrev_b16_e32 v8, 8, v10
	s_and_b64 vcc, exec, s[28:29]
	v_cmp_ne_u16_e64 s[30:31], 0, v50
	s_cbranch_vccnz .LBB2_1782
; %bb.1765:                             ;   in Loop: Header=BB2_564 Depth=4
	v_mov_b32_e32 v7, 0
	v_mov_b32_e32 v0, 0
	s_and_saveexec_b64 s[68:69], s[30:31]
	s_cbranch_execz .LBB2_1773
; %bb.1766:                             ;   in Loop: Header=BB2_564 Depth=4
	v_cmp_ne_u16_e32 vcc, s97, v50
	v_bfrev_b32_e32 v0, 1
	s_and_saveexec_b64 s[70:71], vcc
	s_cbranch_execz .LBB2_1772
; %bb.1767:                             ;   in Loop: Header=BB2_564 Depth=4
	v_and_b32_e32 v0, 0x7c, v50
	v_and_b32_e32 v9, 3, v50
	v_cmp_ne_u32_e32 vcc, s95, v0
                                        ; implicit-def: $vgpr0
	s_and_saveexec_b64 s[72:73], vcc
	s_xor_b64 s[72:73], exec, s[72:73]
	s_cbranch_execz .LBB2_1769
; %bb.1768:                             ;   in Loop: Header=BB2_564 Depth=4
	v_ffbh_u32_e32 v12, v9
	v_min_u32_e32 v14, 32, v12
	v_subrev_u32_e32 v12, 29, v14
	v_bfe_u32 v0, v50, 2, 5
	v_lshlrev_b64 v[12:13], v12, v[50:51]
	v_sub_u32_e32 v13, 30, v14
	v_cmp_eq_u32_e32 vcc, 0, v0
	v_and_b32_e32 v12, 3, v12
	v_cndmask_b32_e32 v0, v0, v13, vcc
	v_bfrev_b32_e32 v13, 28
	v_cndmask_b32_e32 v9, v9, v12, vcc
	v_lshlrev_b32_e32 v12, 16, v28
	v_lshl_add_u32 v0, v0, 23, v13
	v_and_or_b32 v0, v12, s96, v0
	v_lshl_or_b32 v0, v9, 21, v0
                                        ; implicit-def: $vgpr9
.LBB2_1769:                             ;   in Loop: Header=BB2_564 Depth=4
	s_andn2_saveexec_b64 s[72:73], s[72:73]
; %bb.1770:                             ;   in Loop: Header=BB2_564 Depth=4
	v_cmp_lt_i16_e32 vcc, -1, v28
	v_mov_b32_e32 v0, 0xc7600000
	v_mov_b32_e32 v12, 0x47600000
	v_cndmask_b32_e32 v0, v0, v12, vcc
	v_cmp_eq_u32_e32 vcc, 0, v9
	v_mov_b32_e32 v9, 0x7f800001
	v_cndmask_b32_e32 v0, v9, v0, vcc
; %bb.1771:                             ;   in Loop: Header=BB2_564 Depth=4
	s_or_b64 exec, exec, s[72:73]
.LBB2_1772:                             ;   in Loop: Header=BB2_564 Depth=4
	s_or_b64 exec, exec, s[70:71]
.LBB2_1773:                             ;   in Loop: Header=BB2_564 Depth=4
	s_or_b64 exec, exec, s[68:69]
	v_cmp_ne_u16_e32 vcc, 0, v8
	s_and_saveexec_b64 s[68:69], vcc
	s_cbranch_execz .LBB2_1781
; %bb.1774:                             ;   in Loop: Header=BB2_564 Depth=4
	v_cmp_ne_u16_e32 vcc, s97, v8
	v_bfrev_b32_e32 v7, 1
	s_and_saveexec_b64 s[70:71], vcc
	s_cbranch_execz .LBB2_1780
; %bb.1775:                             ;   in Loop: Header=BB2_564 Depth=4
	v_and_b32_e32 v7, 0x7c, v8
	v_and_b32_e32 v12, 3, v8
	v_cmp_ne_u32_e32 vcc, s95, v7
                                        ; implicit-def: $vgpr7
	s_and_saveexec_b64 s[72:73], vcc
	s_xor_b64 s[72:73], exec, s[72:73]
	s_cbranch_execz .LBB2_1777
; %bb.1776:                             ;   in Loop: Header=BB2_564 Depth=4
	v_ffbh_u32_e32 v13, v12
	v_min_u32_e32 v13, 32, v13
	v_mov_b32_e32 v9, v51
	v_subrev_u32_e32 v14, 29, v13
	v_bfe_u32 v7, v8, 2, 5
	v_lshlrev_b64 v[14:15], v14, v[8:9]
	v_sub_u32_e32 v9, 30, v13
	v_and_b32_e32 v13, 3, v14
	v_cmp_eq_u32_e32 vcc, 0, v7
	v_cndmask_b32_e32 v7, v7, v9, vcc
	v_cndmask_b32_e32 v9, v12, v13, vcc
	v_bfrev_b32_e32 v13, 28
	v_lshlrev_b32_e32 v12, 16, v10
	v_lshl_add_u32 v7, v7, 23, v13
	v_and_or_b32 v7, v12, s96, v7
	v_lshl_or_b32 v7, v9, 21, v7
                                        ; implicit-def: $vgpr12
.LBB2_1777:                             ;   in Loop: Header=BB2_564 Depth=4
	s_andn2_saveexec_b64 s[72:73], s[72:73]
; %bb.1778:                             ;   in Loop: Header=BB2_564 Depth=4
	v_cmp_lt_i16_e32 vcc, -1, v10
	v_mov_b32_e32 v7, 0xc7600000
	v_mov_b32_e32 v9, 0x47600000
	v_cndmask_b32_e32 v7, v7, v9, vcc
	v_cmp_eq_u32_e32 vcc, 0, v12
	v_mov_b32_e32 v9, 0x7f800001
	v_cndmask_b32_e32 v7, v9, v7, vcc
; %bb.1779:                             ;   in Loop: Header=BB2_564 Depth=4
	s_or_b64 exec, exec, s[72:73]
.LBB2_1780:                             ;   in Loop: Header=BB2_564 Depth=4
	s_or_b64 exec, exec, s[70:71]
.LBB2_1781:                             ;   in Loop: Header=BB2_564 Depth=4
	s_or_b64 exec, exec, s[68:69]
	v_max_f32_e32 v7, v7, v7
	v_max_f32_e32 v0, v0, v0
	v_max_f32_e32 v9, v0, v7
	s_branch .LBB2_1800
.LBB2_1782:                             ;   in Loop: Header=BB2_564 Depth=4
                                        ; implicit-def: $vgpr9
	s_cbranch_execz .LBB2_1800
; %bb.1783:                             ;   in Loop: Header=BB2_564 Depth=4
	v_mov_b32_e32 v7, 0
	v_mov_b32_e32 v0, 0
	s_and_saveexec_b64 s[68:69], s[30:31]
	s_cbranch_execz .LBB2_1791
; %bb.1784:                             ;   in Loop: Header=BB2_564 Depth=4
	v_cmp_ne_u16_e32 vcc, s97, v50
	v_bfrev_b32_e32 v0, 1
	s_and_saveexec_b64 s[30:31], vcc
	s_cbranch_execz .LBB2_1790
; %bb.1785:                             ;   in Loop: Header=BB2_564 Depth=4
	v_and_b32_e32 v0, 0x7c, v50
	v_and_b32_e32 v9, 3, v50
	v_cmp_ne_u32_e32 vcc, s95, v0
                                        ; implicit-def: $vgpr0
	s_and_saveexec_b64 s[70:71], vcc
	s_xor_b64 s[70:71], exec, s[70:71]
	s_cbranch_execz .LBB2_1787
; %bb.1786:                             ;   in Loop: Header=BB2_564 Depth=4
	v_ffbh_u32_e32 v12, v9
	v_min_u32_e32 v14, 32, v12
	v_subrev_u32_e32 v12, 29, v14
	v_bfe_u32 v0, v50, 2, 5
	v_lshlrev_b64 v[12:13], v12, v[50:51]
	v_sub_u32_e32 v13, 30, v14
	v_cmp_eq_u32_e32 vcc, 0, v0
	v_and_b32_e32 v12, 3, v12
	v_cndmask_b32_e32 v0, v0, v13, vcc
	v_bfrev_b32_e32 v13, 28
	v_cndmask_b32_e32 v9, v9, v12, vcc
	v_lshlrev_b32_e32 v12, 16, v28
	v_lshl_add_u32 v0, v0, 23, v13
	v_and_or_b32 v0, v12, s96, v0
	v_lshl_or_b32 v0, v9, 21, v0
                                        ; implicit-def: $vgpr9
.LBB2_1787:                             ;   in Loop: Header=BB2_564 Depth=4
	s_andn2_saveexec_b64 s[70:71], s[70:71]
; %bb.1788:                             ;   in Loop: Header=BB2_564 Depth=4
	v_cmp_lt_i16_e32 vcc, -1, v28
	v_mov_b32_e32 v0, 0xc7600000
	v_mov_b32_e32 v12, 0x47600000
	v_cndmask_b32_e32 v0, v0, v12, vcc
	v_cmp_eq_u32_e32 vcc, 0, v9
	v_mov_b32_e32 v9, 0x7f800001
	v_cndmask_b32_e32 v0, v9, v0, vcc
; %bb.1789:                             ;   in Loop: Header=BB2_564 Depth=4
	s_or_b64 exec, exec, s[70:71]
.LBB2_1790:                             ;   in Loop: Header=BB2_564 Depth=4
	s_or_b64 exec, exec, s[30:31]
.LBB2_1791:                             ;   in Loop: Header=BB2_564 Depth=4
	s_or_b64 exec, exec, s[68:69]
	v_cmp_ne_u16_e32 vcc, 0, v8
	s_and_saveexec_b64 s[30:31], vcc
	s_cbranch_execz .LBB2_1799
; %bb.1792:                             ;   in Loop: Header=BB2_564 Depth=4
	v_cmp_ne_u16_e32 vcc, s97, v8
	v_bfrev_b32_e32 v7, 1
	s_and_saveexec_b64 s[68:69], vcc
	s_cbranch_execz .LBB2_1798
; %bb.1793:                             ;   in Loop: Header=BB2_564 Depth=4
	v_and_b32_e32 v7, 0x7c, v8
	v_and_b32_e32 v12, 3, v8
	v_cmp_ne_u32_e32 vcc, s95, v7
                                        ; implicit-def: $vgpr7
	s_and_saveexec_b64 s[70:71], vcc
	s_xor_b64 s[70:71], exec, s[70:71]
	s_cbranch_execz .LBB2_1795
; %bb.1794:                             ;   in Loop: Header=BB2_564 Depth=4
	v_ffbh_u32_e32 v13, v12
	v_min_u32_e32 v13, 32, v13
	v_mov_b32_e32 v9, v51
	v_subrev_u32_e32 v14, 29, v13
	v_bfe_u32 v7, v8, 2, 5
	v_lshlrev_b64 v[8:9], v14, v[8:9]
	v_sub_u32_e32 v9, 30, v13
	v_and_b32_e32 v8, 3, v8
	v_cmp_eq_u32_e32 vcc, 0, v7
	v_cndmask_b32_e32 v7, v7, v9, vcc
	v_cndmask_b32_e32 v8, v12, v8, vcc
	v_bfrev_b32_e32 v12, 28
	v_lshlrev_b32_e32 v9, 16, v10
	v_lshl_add_u32 v7, v7, 23, v12
	v_and_or_b32 v7, v9, s96, v7
	v_lshl_or_b32 v7, v8, 21, v7
                                        ; implicit-def: $vgpr12
.LBB2_1795:                             ;   in Loop: Header=BB2_564 Depth=4
	s_andn2_saveexec_b64 s[70:71], s[70:71]
; %bb.1796:                             ;   in Loop: Header=BB2_564 Depth=4
	v_cmp_lt_i16_e32 vcc, -1, v10
	v_mov_b32_e32 v7, 0xc7600000
	v_mov_b32_e32 v8, 0x47600000
	v_cndmask_b32_e32 v7, v7, v8, vcc
	v_cmp_eq_u32_e32 vcc, 0, v12
	v_mov_b32_e32 v8, 0x7f800001
	v_cndmask_b32_e32 v7, v8, v7, vcc
; %bb.1797:                             ;   in Loop: Header=BB2_564 Depth=4
	s_or_b64 exec, exec, s[70:71]
.LBB2_1798:                             ;   in Loop: Header=BB2_564 Depth=4
	s_or_b64 exec, exec, s[68:69]
.LBB2_1799:                             ;   in Loop: Header=BB2_564 Depth=4
	s_or_b64 exec, exec, s[30:31]
	v_max_f32_e32 v7, v7, v7
	v_max_f32_e32 v0, v0, v0
	v_min_f32_e32 v9, v0, v7
.LBB2_1800:                             ;   in Loop: Header=BB2_564 Depth=4
	v_and_b32_sdwa v0, v9, s97 dst_sel:DWORD dst_unused:UNUSED_PAD src0_sel:BYTE_3 src1_sel:DWORD
	v_and_b32_e32 v12, 0x7f800000, v9
	v_mov_b32_e32 v13, v51
	v_and_b32_e32 v50, 0x7fffff, v9
	v_or_b32_e32 v7, 0x7b, v0
	v_cmp_ne_u64_e32 vcc, s[52:53], v[12:13]
	s_and_saveexec_b64 s[30:31], vcc
	s_xor_b64 s[68:69], exec, s[30:31]
	s_cbranch_execz .LBB2_1810
; %bb.1801:                             ;   in Loop: Header=BB2_564 Depth=4
	v_and_b32_e32 v12, 0x7fffffff, v9
	v_mov_b32_e32 v13, v51
	v_cmp_gt_u64_e32 vcc, s[54:55], v[12:13]
	s_and_saveexec_b64 s[70:71], vcc
	s_cbranch_execz .LBB2_1809
; %bb.1802:                             ;   in Loop: Header=BB2_564 Depth=4
	v_cmp_ne_u32_e32 vcc, 0, v9
	v_mov_b32_e32 v7, 0
	s_and_saveexec_b64 s[72:73], vcc
	s_cbranch_execz .LBB2_1808
; %bb.1803:                             ;   in Loop: Header=BB2_564 Depth=4
	v_bfe_u32 v7, v9, 23, 8
	v_sub_u32_e32 v9, 0x71, v7
	v_cmp_gt_u32_e32 vcc, s38, v7
	v_add_u32_e32 v8, 0xffffff81, v7
	v_cndmask_b32_e32 v9, 0, v9, vcc
	v_cmp_eq_u32_e32 vcc, 0, v7
	v_mov_b32_e32 v7, 0xffffff82
	v_cndmask_b32_e32 v7, v8, v7, vcc
	v_mov_b32_e32 v8, 0x70
	v_or_b32_e32 v12, 0x800000, v50
	v_cndmask_b32_e32 v13, v9, v8, vcc
	v_cndmask_b32_e32 v50, v12, v50, vcc
	v_add_u32_e32 v8, 21, v13
	v_lshlrev_b64 v[8:9], v8, -1
	v_add_u32_e32 v12, 20, v13
	v_lshrrev_b64 v[24:25], v13, v[50:51]
	v_not_b32_e32 v9, v9
	v_not_b32_e32 v8, v8
	v_lshlrev_b64 v[14:15], v12, 1
	v_lshrrev_b32_e32 v12, 23, v24
	v_and_b32_e32 v9, 0, v9
	v_and_b32_e32 v8, v50, v8
	v_add3_u32 v13, v13, v7, v12
	v_bfe_u32 v7, v24, 21, 1
	v_add_u32_e32 v7, -1, v7
	v_cmp_eq_u64_e32 vcc, v[8:9], v[14:15]
	v_cndmask_b32_e32 v7, 0, v7, vcc
	v_add_u32_e32 v7, v7, v24
	v_and_b32_e32 v7, 0x1fffff, v7
	v_add_co_u32_e32 v8, vcc, v7, v24
	v_add_u32_e32 v12, 14, v13
	v_addc_co_u32_e32 v9, vcc, 0, v25, vcc
	v_cmp_ne_u32_e32 vcc, 0, v12
                                        ; implicit-def: $vgpr7
	s_and_saveexec_b64 s[30:31], vcc
	s_xor_b64 s[30:31], exec, s[30:31]
; %bb.1804:                             ;   in Loop: Header=BB2_564 Depth=4
	v_add_u32_e32 v7, 15, v13
	v_cmp_lt_u64_e32 vcc, s[56:57], v[8:9]
	v_cndmask_b32_e32 v7, v12, v7, vcc
	v_cndmask_b32_e64 v12, 0, 1, vcc
	v_lshrrev_b64 v[8:9], v12, v[8:9]
; %bb.1805:                             ;   in Loop: Header=BB2_564 Depth=4
	s_andn2_saveexec_b64 vcc, s[30:31]
; %bb.1806:                             ;   in Loop: Header=BB2_564 Depth=4
	v_bfe_u32 v7, v8, 23, 1
; %bb.1807:                             ;   in Loop: Header=BB2_564 Depth=4
	s_or_b64 exec, exec, vcc
	v_lshrrev_b64 v[8:9], 21, v[8:9]
	v_cmp_gt_i32_e32 vcc, 32, v7
	v_cndmask_b32_e32 v9, 0, v9, vcc
	v_cndmask_b32_e32 v8, 3, v8, vcc
	v_cmp_eq_u32_e32 vcc, 0, v7
	v_min_i32_e32 v7, 31, v7
	v_cmp_eq_u64_e64 s[30:31], 0, v[8:9]
	v_lshlrev_b32_e32 v7, 2, v7
	v_and_or_b32 v7, v8, 3, v7
	s_and_b64 vcc, vcc, s[30:31]
	v_cndmask_b32_e64 v7, v7, 0, vcc
	v_or_b32_e32 v7, v7, v0
.LBB2_1808:                             ;   in Loop: Header=BB2_564 Depth=4
	s_or_b64 exec, exec, s[72:73]
.LBB2_1809:                             ;   in Loop: Header=BB2_564 Depth=4
	s_or_b64 exec, exec, s[70:71]
                                        ; implicit-def: $vgpr9
.LBB2_1810:                             ;   in Loop: Header=BB2_564 Depth=4
	s_andn2_saveexec_b64 s[30:31], s[68:69]
; %bb.1811:                             ;   in Loop: Header=BB2_564 Depth=4
	v_or_b32_sdwa v0, v9, s39 dst_sel:DWORD dst_unused:UNUSED_PAD src0_sel:BYTE_3 src1_sel:DWORD
	v_cmp_eq_u64_e32 vcc, 0, v[50:51]
	v_cndmask_b32_e32 v7, v0, v7, vcc
; %bb.1812:                             ;   in Loop: Header=BB2_564 Depth=4
	s_or_b64 exec, exec, s[30:31]
	v_lshrrev_b32_e32 v12, 16, v28
	v_lshrrev_b32_e32 v8, 16, v10
	s_and_b64 vcc, exec, s[28:29]
	v_cmp_ne_u16_sdwa s[30:31], v12, v51 src0_sel:BYTE_0 src1_sel:DWORD
	s_cbranch_vccnz .LBB2_1830
; %bb.1813:                             ;   in Loop: Header=BB2_564 Depth=4
	v_mov_b32_e32 v9, 0
	v_mov_b32_e32 v0, 0
	s_and_saveexec_b64 s[68:69], s[30:31]
	s_cbranch_execz .LBB2_1821
; %bb.1814:                             ;   in Loop: Header=BB2_564 Depth=4
	v_cmp_ne_u16_sdwa vcc, v12, s97 src0_sel:BYTE_0 src1_sel:DWORD
	v_bfrev_b32_e32 v0, 1
	s_and_saveexec_b64 s[70:71], vcc
	s_cbranch_execz .LBB2_1820
; %bb.1815:                             ;   in Loop: Header=BB2_564 Depth=4
	v_and_b32_e32 v0, 0x7c0000, v28
	v_bfe_u32 v13, v28, 16, 2
	v_cmp_ne_u32_e32 vcc, s36, v0
                                        ; implicit-def: $vgpr0
	s_and_saveexec_b64 s[72:73], vcc
	s_xor_b64 s[72:73], exec, s[72:73]
	s_cbranch_execz .LBB2_1817
; %bb.1816:                             ;   in Loop: Header=BB2_564 Depth=4
	v_ffbh_u32_e32 v14, v13
	v_min_u32_e32 v24, 32, v14
	v_subrev_u32_e32 v14, 29, v24
	v_bfe_u32 v0, v28, 18, 5
	v_lshlrev_b64 v[14:15], v14, v[12:13]
	v_sub_u32_e32 v15, 30, v24
	v_cmp_eq_u32_e32 vcc, 0, v0
	v_and_b32_e32 v14, 3, v14
	v_cndmask_b32_e32 v0, v0, v15, vcc
	v_bfrev_b32_e32 v15, 28
	v_cndmask_b32_e32 v13, v13, v14, vcc
	v_lshlrev_b32_e32 v14, 24, v12
	v_lshl_add_u32 v0, v0, 23, v15
	v_and_or_b32 v0, v14, s96, v0
	v_lshl_or_b32 v0, v13, 21, v0
                                        ; implicit-def: $vgpr13
.LBB2_1817:                             ;   in Loop: Header=BB2_564 Depth=4
	s_andn2_saveexec_b64 s[72:73], s[72:73]
; %bb.1818:                             ;   in Loop: Header=BB2_564 Depth=4
	v_mov_b32_e32 v0, -1
	v_cmp_gt_i16_sdwa vcc, sext(v12), v0 src0_sel:BYTE_0 src1_sel:DWORD
	v_mov_b32_e32 v0, 0xc7600000
	v_mov_b32_e32 v14, 0x47600000
	v_cndmask_b32_e32 v0, v0, v14, vcc
	v_cmp_eq_u32_e32 vcc, 0, v13
	v_mov_b32_e32 v13, 0x7f800001
	v_cndmask_b32_e32 v0, v13, v0, vcc
; %bb.1819:                             ;   in Loop: Header=BB2_564 Depth=4
	s_or_b64 exec, exec, s[72:73]
.LBB2_1820:                             ;   in Loop: Header=BB2_564 Depth=4
	s_or_b64 exec, exec, s[70:71]
.LBB2_1821:                             ;   in Loop: Header=BB2_564 Depth=4
	s_or_b64 exec, exec, s[68:69]
	v_cmp_ne_u16_sdwa vcc, v8, v51 src0_sel:BYTE_0 src1_sel:DWORD
	s_and_saveexec_b64 s[68:69], vcc
	s_cbranch_execz .LBB2_1829
; %bb.1822:                             ;   in Loop: Header=BB2_564 Depth=4
	v_cmp_ne_u16_sdwa vcc, v8, s97 src0_sel:BYTE_0 src1_sel:DWORD
	v_bfrev_b32_e32 v9, 1
	s_and_saveexec_b64 s[70:71], vcc
	s_cbranch_execz .LBB2_1828
; %bb.1823:                             ;   in Loop: Header=BB2_564 Depth=4
	v_and_b32_e32 v9, 0x7c0000, v10
	v_bfe_u32 v13, v10, 16, 2
	v_cmp_ne_u32_e32 vcc, s36, v9
                                        ; implicit-def: $vgpr9
	s_and_saveexec_b64 s[72:73], vcc
	s_xor_b64 s[72:73], exec, s[72:73]
	s_cbranch_execz .LBB2_1825
; %bb.1824:                             ;   in Loop: Header=BB2_564 Depth=4
	v_ffbh_u32_e32 v14, v13
	v_min_u32_e32 v24, 32, v14
	v_bfe_u32 v9, v10, 18, 5
	v_subrev_u32_e32 v14, 29, v24
	v_lshlrev_b64 v[14:15], v14, v[8:9]
	v_sub_u32_e32 v15, 30, v24
	v_cmp_eq_u32_e32 vcc, 0, v9
	v_and_b32_e32 v14, 3, v14
	v_cndmask_b32_e32 v9, v9, v15, vcc
	v_bfrev_b32_e32 v15, 28
	v_cndmask_b32_e32 v13, v13, v14, vcc
	v_lshlrev_b32_e32 v14, 24, v8
	v_lshl_add_u32 v9, v9, 23, v15
	v_and_or_b32 v9, v14, s96, v9
	v_lshl_or_b32 v9, v13, 21, v9
                                        ; implicit-def: $vgpr13
.LBB2_1825:                             ;   in Loop: Header=BB2_564 Depth=4
	s_andn2_saveexec_b64 s[72:73], s[72:73]
; %bb.1826:                             ;   in Loop: Header=BB2_564 Depth=4
	v_mov_b32_e32 v9, -1
	v_cmp_gt_i16_sdwa vcc, sext(v8), v9 src0_sel:BYTE_0 src1_sel:DWORD
	v_mov_b32_e32 v9, 0xc7600000
	v_mov_b32_e32 v14, 0x47600000
	v_cndmask_b32_e32 v9, v9, v14, vcc
	v_cmp_eq_u32_e32 vcc, 0, v13
	v_mov_b32_e32 v13, 0x7f800001
	v_cndmask_b32_e32 v9, v13, v9, vcc
; %bb.1827:                             ;   in Loop: Header=BB2_564 Depth=4
	s_or_b64 exec, exec, s[72:73]
.LBB2_1828:                             ;   in Loop: Header=BB2_564 Depth=4
	s_or_b64 exec, exec, s[70:71]
.LBB2_1829:                             ;   in Loop: Header=BB2_564 Depth=4
	s_or_b64 exec, exec, s[68:69]
	v_max_f32_e32 v9, v9, v9
	v_max_f32_e32 v0, v0, v0
	;; [unrolled: 1-line block ×3, first 2 shown]
	s_branch .LBB2_1848
.LBB2_1830:                             ;   in Loop: Header=BB2_564 Depth=4
                                        ; implicit-def: $vgpr9
	s_cbranch_execz .LBB2_1848
; %bb.1831:                             ;   in Loop: Header=BB2_564 Depth=4
	v_mov_b32_e32 v9, 0
	v_mov_b32_e32 v0, 0
	s_and_saveexec_b64 s[68:69], s[30:31]
	s_cbranch_execz .LBB2_1839
; %bb.1832:                             ;   in Loop: Header=BB2_564 Depth=4
	v_cmp_ne_u16_sdwa vcc, v12, s97 src0_sel:BYTE_0 src1_sel:DWORD
	v_bfrev_b32_e32 v0, 1
	s_and_saveexec_b64 s[30:31], vcc
	s_cbranch_execz .LBB2_1838
; %bb.1833:                             ;   in Loop: Header=BB2_564 Depth=4
	v_and_b32_e32 v0, 0x7c0000, v28
	v_bfe_u32 v13, v28, 16, 2
	v_cmp_ne_u32_e32 vcc, s36, v0
                                        ; implicit-def: $vgpr0
	s_and_saveexec_b64 s[70:71], vcc
	s_xor_b64 s[70:71], exec, s[70:71]
	s_cbranch_execz .LBB2_1835
; %bb.1834:                             ;   in Loop: Header=BB2_564 Depth=4
	v_ffbh_u32_e32 v14, v13
	v_min_u32_e32 v24, 32, v14
	v_subrev_u32_e32 v14, 29, v24
	v_bfe_u32 v0, v28, 18, 5
	v_lshlrev_b64 v[14:15], v14, v[12:13]
	v_sub_u32_e32 v15, 30, v24
	v_and_b32_e32 v14, 3, v14
	v_cmp_eq_u32_e32 vcc, 0, v0
	v_cndmask_b32_e32 v0, v0, v15, vcc
	v_cndmask_b32_e32 v13, v13, v14, vcc
	v_bfrev_b32_e32 v14, 28
	v_lshlrev_b32_e32 v12, 24, v12
	v_lshl_add_u32 v0, v0, 23, v14
	v_and_or_b32 v0, v12, s96, v0
	v_lshl_or_b32 v0, v13, 21, v0
                                        ; implicit-def: $vgpr13
                                        ; implicit-def: $vgpr12
.LBB2_1835:                             ;   in Loop: Header=BB2_564 Depth=4
	s_andn2_saveexec_b64 s[70:71], s[70:71]
; %bb.1836:                             ;   in Loop: Header=BB2_564 Depth=4
	v_mov_b32_e32 v0, -1
	v_cmp_gt_i16_sdwa vcc, sext(v12), v0 src0_sel:BYTE_0 src1_sel:DWORD
	v_mov_b32_e32 v0, 0xc7600000
	v_mov_b32_e32 v12, 0x47600000
	v_cndmask_b32_e32 v0, v0, v12, vcc
	v_cmp_eq_u32_e32 vcc, 0, v13
	v_mov_b32_e32 v12, 0x7f800001
	v_cndmask_b32_e32 v0, v12, v0, vcc
; %bb.1837:                             ;   in Loop: Header=BB2_564 Depth=4
	s_or_b64 exec, exec, s[70:71]
.LBB2_1838:                             ;   in Loop: Header=BB2_564 Depth=4
	s_or_b64 exec, exec, s[30:31]
.LBB2_1839:                             ;   in Loop: Header=BB2_564 Depth=4
	s_or_b64 exec, exec, s[68:69]
	v_cmp_ne_u16_sdwa vcc, v8, v51 src0_sel:BYTE_0 src1_sel:DWORD
	s_and_saveexec_b64 s[30:31], vcc
	s_cbranch_execz .LBB2_1847
; %bb.1840:                             ;   in Loop: Header=BB2_564 Depth=4
	v_cmp_ne_u16_sdwa vcc, v8, s97 src0_sel:BYTE_0 src1_sel:DWORD
	v_bfrev_b32_e32 v9, 1
	s_and_saveexec_b64 s[68:69], vcc
	s_cbranch_execz .LBB2_1846
; %bb.1841:                             ;   in Loop: Header=BB2_564 Depth=4
	v_and_b32_e32 v9, 0x7c0000, v10
	v_bfe_u32 v12, v10, 16, 2
	v_cmp_ne_u32_e32 vcc, s36, v9
                                        ; implicit-def: $vgpr9
	s_and_saveexec_b64 s[70:71], vcc
	s_xor_b64 s[70:71], exec, s[70:71]
	s_cbranch_execz .LBB2_1843
; %bb.1842:                             ;   in Loop: Header=BB2_564 Depth=4
	v_ffbh_u32_e32 v13, v12
	v_bfe_u32 v9, v10, 18, 5
	v_min_u32_e32 v13, 32, v13
	v_subrev_u32_e32 v14, 29, v13
	v_sub_u32_e32 v13, 30, v13
	v_cmp_eq_u32_e32 vcc, 0, v9
	v_lshlrev_b64 v[14:15], v14, v[8:9]
	v_cndmask_b32_e32 v9, v9, v13, vcc
	v_bfrev_b32_e32 v13, 28
	v_and_b32_e32 v14, 3, v14
	v_lshlrev_b32_e32 v8, 24, v8
	v_lshl_add_u32 v9, v9, 23, v13
	v_cndmask_b32_e32 v12, v12, v14, vcc
	v_and_or_b32 v8, v8, s96, v9
	v_lshl_or_b32 v9, v12, 21, v8
                                        ; implicit-def: $vgpr12
                                        ; implicit-def: $vgpr8
.LBB2_1843:                             ;   in Loop: Header=BB2_564 Depth=4
	s_andn2_saveexec_b64 s[70:71], s[70:71]
; %bb.1844:                             ;   in Loop: Header=BB2_564 Depth=4
	v_mov_b32_e32 v9, -1
	v_cmp_gt_i16_sdwa vcc, sext(v8), v9 src0_sel:BYTE_0 src1_sel:DWORD
	v_mov_b32_e32 v8, 0xc7600000
	v_mov_b32_e32 v9, 0x47600000
	v_cndmask_b32_e32 v8, v8, v9, vcc
	v_cmp_eq_u32_e32 vcc, 0, v12
	v_mov_b32_e32 v9, 0x7f800001
	v_cndmask_b32_e32 v9, v9, v8, vcc
; %bb.1845:                             ;   in Loop: Header=BB2_564 Depth=4
	s_or_b64 exec, exec, s[70:71]
.LBB2_1846:                             ;   in Loop: Header=BB2_564 Depth=4
	s_or_b64 exec, exec, s[68:69]
.LBB2_1847:                             ;   in Loop: Header=BB2_564 Depth=4
	s_or_b64 exec, exec, s[30:31]
	v_max_f32_e32 v8, v9, v9
	v_max_f32_e32 v0, v0, v0
	v_min_f32_e32 v9, v0, v8
.LBB2_1848:                             ;   in Loop: Header=BB2_564 Depth=4
	v_and_b32_sdwa v0, v9, s97 dst_sel:DWORD dst_unused:UNUSED_PAD src0_sel:BYTE_3 src1_sel:DWORD
	v_and_b32_e32 v12, 0x7f800000, v9
	v_mov_b32_e32 v13, v51
	v_and_b32_e32 v50, 0x7fffff, v9
	v_or_b32_e32 v30, 0x7b, v0
	v_cmp_ne_u64_e32 vcc, s[52:53], v[12:13]
	s_and_saveexec_b64 s[30:31], vcc
	s_xor_b64 s[68:69], exec, s[30:31]
	s_cbranch_execz .LBB2_1858
; %bb.1849:                             ;   in Loop: Header=BB2_564 Depth=4
	v_and_b32_e32 v12, 0x7fffffff, v9
	v_mov_b32_e32 v13, v51
	v_cmp_gt_u64_e32 vcc, s[54:55], v[12:13]
	s_and_saveexec_b64 s[70:71], vcc
	s_cbranch_execz .LBB2_1857
; %bb.1850:                             ;   in Loop: Header=BB2_564 Depth=4
	v_cmp_ne_u32_e32 vcc, 0, v9
	v_mov_b32_e32 v30, 0
	s_and_saveexec_b64 s[72:73], vcc
	s_cbranch_execz .LBB2_1856
; %bb.1851:                             ;   in Loop: Header=BB2_564 Depth=4
	v_bfe_u32 v8, v9, 23, 8
	v_sub_u32_e32 v12, 0x71, v8
	v_cmp_gt_u32_e32 vcc, s38, v8
	v_add_u32_e32 v9, 0xffffff81, v8
	v_cndmask_b32_e32 v12, 0, v12, vcc
	v_cmp_eq_u32_e32 vcc, 0, v8
	v_mov_b32_e32 v8, 0xffffff82
	v_cndmask_b32_e32 v14, v9, v8, vcc
	v_mov_b32_e32 v8, 0x70
	v_or_b32_e32 v13, 0x800000, v50
	v_cndmask_b32_e32 v12, v12, v8, vcc
	v_cndmask_b32_e32 v50, v13, v50, vcc
	v_add_u32_e32 v8, 21, v12
	v_lshlrev_b64 v[8:9], v8, -1
	v_add_u32_e32 v13, 20, v12
	v_lshrrev_b64 v[46:47], v12, v[50:51]
	v_not_b32_e32 v9, v9
	v_not_b32_e32 v8, v8
	v_lshlrev_b64 v[24:25], v13, 1
	v_lshrrev_b32_e32 v13, 23, v46
	v_and_b32_e32 v9, 0, v9
	v_and_b32_e32 v8, v50, v8
	v_add3_u32 v14, v12, v14, v13
	v_bfe_u32 v12, v46, 21, 1
	v_add_u32_e32 v12, -1, v12
	v_cmp_eq_u64_e32 vcc, v[8:9], v[24:25]
	v_cndmask_b32_e32 v8, 0, v12, vcc
	v_add_u32_e32 v8, v8, v46
	v_and_b32_e32 v8, 0x1fffff, v8
	v_add_co_u32_e32 v8, vcc, v8, v46
	v_add_u32_e32 v13, 14, v14
	v_addc_co_u32_e32 v9, vcc, 0, v47, vcc
	v_cmp_ne_u32_e32 vcc, 0, v13
                                        ; implicit-def: $vgpr12
	s_and_saveexec_b64 s[30:31], vcc
	s_xor_b64 s[30:31], exec, s[30:31]
; %bb.1852:                             ;   in Loop: Header=BB2_564 Depth=4
	v_add_u32_e32 v12, 15, v14
	v_cmp_lt_u64_e32 vcc, s[56:57], v[8:9]
	v_cndmask_b32_e32 v12, v13, v12, vcc
	v_cndmask_b32_e64 v13, 0, 1, vcc
	v_lshrrev_b64 v[8:9], v13, v[8:9]
; %bb.1853:                             ;   in Loop: Header=BB2_564 Depth=4
	s_andn2_saveexec_b64 vcc, s[30:31]
; %bb.1854:                             ;   in Loop: Header=BB2_564 Depth=4
	v_bfe_u32 v12, v8, 23, 1
; %bb.1855:                             ;   in Loop: Header=BB2_564 Depth=4
	s_or_b64 exec, exec, vcc
	v_lshrrev_b64 v[8:9], 21, v[8:9]
	v_cmp_gt_i32_e32 vcc, 32, v12
	v_cndmask_b32_e32 v9, 0, v9, vcc
	v_cndmask_b32_e32 v8, 3, v8, vcc
	v_cmp_eq_u64_e64 s[30:31], 0, v[8:9]
	v_min_i32_e32 v9, 31, v12
	v_cmp_eq_u32_e32 vcc, 0, v12
	v_lshlrev_b32_e32 v9, 2, v9
	v_and_or_b32 v8, v8, 3, v9
	s_and_b64 vcc, vcc, s[30:31]
	v_cndmask_b32_e64 v8, v8, 0, vcc
	v_or_b32_e32 v30, v8, v0
.LBB2_1856:                             ;   in Loop: Header=BB2_564 Depth=4
	s_or_b64 exec, exec, s[72:73]
.LBB2_1857:                             ;   in Loop: Header=BB2_564 Depth=4
	s_or_b64 exec, exec, s[70:71]
                                        ; implicit-def: $vgpr9
.LBB2_1858:                             ;   in Loop: Header=BB2_564 Depth=4
	s_andn2_saveexec_b64 s[30:31], s[68:69]
; %bb.1859:                             ;   in Loop: Header=BB2_564 Depth=4
	v_or_b32_sdwa v0, v9, s39 dst_sel:DWORD dst_unused:UNUSED_PAD src0_sel:BYTE_3 src1_sel:DWORD
	v_cmp_eq_u64_e32 vcc, 0, v[50:51]
	v_cndmask_b32_e32 v30, v0, v30, vcc
; %bb.1860:                             ;   in Loop: Header=BB2_564 Depth=4
	s_or_b64 exec, exec, s[30:31]
	v_lshrrev_b32_e32 v12, 24, v28
	v_lshrrev_b32_e32 v8, 24, v10
	s_and_b64 vcc, exec, s[28:29]
	v_cmp_lt_u32_e64 s[30:31], s43, v28
	s_cbranch_vccnz .LBB2_1878
; %bb.1861:                             ;   in Loop: Header=BB2_564 Depth=4
	v_mov_b32_e32 v9, 0
	v_mov_b32_e32 v0, 0
	s_and_saveexec_b64 s[68:69], s[30:31]
	s_cbranch_execz .LBB2_1869
; %bb.1862:                             ;   in Loop: Header=BB2_564 Depth=4
	v_cmp_ne_u32_e32 vcc, s97, v12
	v_bfrev_b32_e32 v0, 1
	s_and_saveexec_b64 s[70:71], vcc
	s_cbranch_execz .LBB2_1868
; %bb.1863:                             ;   in Loop: Header=BB2_564 Depth=4
	v_and_b32_e32 v0, 0x7c000000, v28
	v_bfe_u32 v13, v28, 24, 2
	v_cmp_ne_u32_e32 vcc, s37, v0
                                        ; implicit-def: $vgpr0
	s_and_saveexec_b64 s[72:73], vcc
	s_xor_b64 s[72:73], exec, s[72:73]
	s_cbranch_execz .LBB2_1865
; %bb.1864:                             ;   in Loop: Header=BB2_564 Depth=4
	v_ffbh_u32_e32 v14, v13
	v_min_u32_e32 v24, 32, v14
	v_subrev_u32_e32 v14, 29, v24
	v_bfe_u32 v0, v28, 26, 5
	v_lshlrev_b64 v[14:15], v14, v[12:13]
	v_sub_u32_e32 v15, 30, v24
	v_and_b32_e32 v14, 3, v14
	v_cmp_eq_u32_e32 vcc, 0, v0
	v_cndmask_b32_e32 v0, v0, v15, vcc
	v_cndmask_b32_e32 v13, v13, v14, vcc
	v_bfrev_b32_e32 v14, 28
	v_lshl_add_u32 v0, v0, 23, v14
	v_and_or_b32 v0, v28, s96, v0
	v_lshl_or_b32 v0, v13, 21, v0
                                        ; implicit-def: $vgpr13
.LBB2_1865:                             ;   in Loop: Header=BB2_564 Depth=4
	s_andn2_saveexec_b64 s[72:73], s[72:73]
; %bb.1866:                             ;   in Loop: Header=BB2_564 Depth=4
	v_cmp_lt_i32_e32 vcc, -1, v28
	v_mov_b32_e32 v0, 0xc7600000
	v_mov_b32_e32 v14, 0x47600000
	v_cndmask_b32_e32 v0, v0, v14, vcc
	v_cmp_eq_u32_e32 vcc, 0, v13
	v_mov_b32_e32 v13, 0x7f800001
	v_cndmask_b32_e32 v0, v13, v0, vcc
; %bb.1867:                             ;   in Loop: Header=BB2_564 Depth=4
	s_or_b64 exec, exec, s[72:73]
.LBB2_1868:                             ;   in Loop: Header=BB2_564 Depth=4
	s_or_b64 exec, exec, s[70:71]
.LBB2_1869:                             ;   in Loop: Header=BB2_564 Depth=4
	s_or_b64 exec, exec, s[68:69]
	v_cmp_lt_u32_e32 vcc, s43, v10
	s_and_saveexec_b64 s[68:69], vcc
	s_cbranch_execz .LBB2_1877
; %bb.1870:                             ;   in Loop: Header=BB2_564 Depth=4
	v_cmp_ne_u32_e32 vcc, s97, v8
	v_bfrev_b32_e32 v9, 1
	s_and_saveexec_b64 s[70:71], vcc
	s_cbranch_execz .LBB2_1876
; %bb.1871:                             ;   in Loop: Header=BB2_564 Depth=4
	v_and_b32_e32 v9, 0x7c000000, v10
	v_bfe_u32 v13, v10, 24, 2
	v_cmp_ne_u32_e32 vcc, s37, v9
                                        ; implicit-def: $vgpr9
	s_and_saveexec_b64 s[72:73], vcc
	s_xor_b64 s[72:73], exec, s[72:73]
	s_cbranch_execz .LBB2_1873
; %bb.1872:                             ;   in Loop: Header=BB2_564 Depth=4
	v_ffbh_u32_e32 v14, v13
	v_min_u32_e32 v24, 32, v14
	v_bfe_u32 v9, v10, 26, 5
	v_subrev_u32_e32 v14, 29, v24
	v_lshlrev_b64 v[14:15], v14, v[8:9]
	v_sub_u32_e32 v15, 30, v24
	v_and_b32_e32 v14, 3, v14
	v_cmp_eq_u32_e32 vcc, 0, v9
	v_cndmask_b32_e32 v9, v9, v15, vcc
	v_cndmask_b32_e32 v13, v13, v14, vcc
	v_bfrev_b32_e32 v14, 28
	v_lshl_add_u32 v9, v9, 23, v14
	v_and_or_b32 v9, v10, s96, v9
	v_lshl_or_b32 v9, v13, 21, v9
                                        ; implicit-def: $vgpr13
.LBB2_1873:                             ;   in Loop: Header=BB2_564 Depth=4
	s_andn2_saveexec_b64 s[72:73], s[72:73]
; %bb.1874:                             ;   in Loop: Header=BB2_564 Depth=4
	v_cmp_lt_i32_e32 vcc, -1, v10
	v_mov_b32_e32 v9, 0xc7600000
	v_mov_b32_e32 v14, 0x47600000
	v_cndmask_b32_e32 v9, v9, v14, vcc
	v_cmp_eq_u32_e32 vcc, 0, v13
	v_mov_b32_e32 v13, 0x7f800001
	v_cndmask_b32_e32 v9, v13, v9, vcc
; %bb.1875:                             ;   in Loop: Header=BB2_564 Depth=4
	s_or_b64 exec, exec, s[72:73]
.LBB2_1876:                             ;   in Loop: Header=BB2_564 Depth=4
	s_or_b64 exec, exec, s[70:71]
.LBB2_1877:                             ;   in Loop: Header=BB2_564 Depth=4
	s_or_b64 exec, exec, s[68:69]
	v_max_f32_e32 v9, v9, v9
	v_max_f32_e32 v0, v0, v0
	;; [unrolled: 1-line block ×3, first 2 shown]
	s_branch .LBB2_1896
.LBB2_1878:                             ;   in Loop: Header=BB2_564 Depth=4
                                        ; implicit-def: $vgpr9
	s_cbranch_execz .LBB2_1896
; %bb.1879:                             ;   in Loop: Header=BB2_564 Depth=4
	v_mov_b32_e32 v9, 0
	v_mov_b32_e32 v0, 0
	s_and_saveexec_b64 s[68:69], s[30:31]
	s_cbranch_execz .LBB2_1887
; %bb.1880:                             ;   in Loop: Header=BB2_564 Depth=4
	v_cmp_ne_u32_e32 vcc, s97, v12
	v_bfrev_b32_e32 v0, 1
	s_and_saveexec_b64 s[30:31], vcc
	s_cbranch_execz .LBB2_1886
; %bb.1881:                             ;   in Loop: Header=BB2_564 Depth=4
	v_and_b32_e32 v0, 0x7c000000, v28
	v_bfe_u32 v13, v28, 24, 2
	v_cmp_ne_u32_e32 vcc, s37, v0
                                        ; implicit-def: $vgpr0
	s_and_saveexec_b64 s[70:71], vcc
	s_xor_b64 s[70:71], exec, s[70:71]
	s_cbranch_execz .LBB2_1883
; %bb.1882:                             ;   in Loop: Header=BB2_564 Depth=4
	v_ffbh_u32_e32 v14, v13
	v_min_u32_e32 v24, 32, v14
	v_subrev_u32_e32 v14, 29, v24
	v_bfe_u32 v0, v28, 26, 5
	v_lshlrev_b64 v[14:15], v14, v[12:13]
	v_sub_u32_e32 v12, 30, v24
	v_and_b32_e32 v14, 3, v14
	v_cmp_eq_u32_e32 vcc, 0, v0
	v_cndmask_b32_e32 v0, v0, v12, vcc
	v_cndmask_b32_e32 v12, v13, v14, vcc
	v_bfrev_b32_e32 v13, 28
	v_lshl_add_u32 v0, v0, 23, v13
	v_and_or_b32 v0, v28, s96, v0
	v_lshl_or_b32 v0, v12, 21, v0
                                        ; implicit-def: $vgpr13
.LBB2_1883:                             ;   in Loop: Header=BB2_564 Depth=4
	s_andn2_saveexec_b64 s[70:71], s[70:71]
; %bb.1884:                             ;   in Loop: Header=BB2_564 Depth=4
	v_cmp_lt_i32_e32 vcc, -1, v28
	v_mov_b32_e32 v0, 0xc7600000
	v_mov_b32_e32 v12, 0x47600000
	v_cndmask_b32_e32 v0, v0, v12, vcc
	v_cmp_eq_u32_e32 vcc, 0, v13
	v_mov_b32_e32 v12, 0x7f800001
	v_cndmask_b32_e32 v0, v12, v0, vcc
; %bb.1885:                             ;   in Loop: Header=BB2_564 Depth=4
	s_or_b64 exec, exec, s[70:71]
.LBB2_1886:                             ;   in Loop: Header=BB2_564 Depth=4
	s_or_b64 exec, exec, s[30:31]
.LBB2_1887:                             ;   in Loop: Header=BB2_564 Depth=4
	s_or_b64 exec, exec, s[68:69]
	v_cmp_lt_u32_e32 vcc, s43, v10
	s_and_saveexec_b64 s[30:31], vcc
	s_cbranch_execz .LBB2_1895
; %bb.1888:                             ;   in Loop: Header=BB2_564 Depth=4
	v_cmp_ne_u32_e32 vcc, s97, v8
	v_bfrev_b32_e32 v9, 1
	s_and_saveexec_b64 s[68:69], vcc
	s_cbranch_execz .LBB2_1894
; %bb.1889:                             ;   in Loop: Header=BB2_564 Depth=4
	v_and_b32_e32 v9, 0x7c000000, v10
	v_bfe_u32 v12, v10, 24, 2
	v_cmp_ne_u32_e32 vcc, s37, v9
                                        ; implicit-def: $vgpr9
	s_and_saveexec_b64 s[70:71], vcc
	s_xor_b64 s[70:71], exec, s[70:71]
	s_cbranch_execz .LBB2_1891
; %bb.1890:                             ;   in Loop: Header=BB2_564 Depth=4
	v_ffbh_u32_e32 v9, v12
	v_min_u32_e32 v14, 32, v9
	v_subrev_u32_e32 v9, 29, v14
	v_bfe_u32 v13, v10, 26, 5
	v_lshlrev_b64 v[8:9], v9, v[8:9]
	v_sub_u32_e32 v9, 30, v14
	v_and_b32_e32 v8, 3, v8
	v_cmp_eq_u32_e32 vcc, 0, v13
	v_cndmask_b32_e32 v9, v13, v9, vcc
	v_cndmask_b32_e32 v8, v12, v8, vcc
	v_bfrev_b32_e32 v12, 28
	v_lshl_add_u32 v9, v9, 23, v12
	v_and_or_b32 v9, v10, s96, v9
	v_lshl_or_b32 v9, v8, 21, v9
                                        ; implicit-def: $vgpr12
.LBB2_1891:                             ;   in Loop: Header=BB2_564 Depth=4
	s_andn2_saveexec_b64 s[70:71], s[70:71]
; %bb.1892:                             ;   in Loop: Header=BB2_564 Depth=4
	v_cmp_lt_i32_e32 vcc, -1, v10
	v_mov_b32_e32 v8, 0xc7600000
	v_mov_b32_e32 v9, 0x47600000
	v_cndmask_b32_e32 v8, v8, v9, vcc
	v_cmp_eq_u32_e32 vcc, 0, v12
	v_mov_b32_e32 v9, 0x7f800001
	v_cndmask_b32_e32 v9, v9, v8, vcc
; %bb.1893:                             ;   in Loop: Header=BB2_564 Depth=4
	s_or_b64 exec, exec, s[70:71]
.LBB2_1894:                             ;   in Loop: Header=BB2_564 Depth=4
	s_or_b64 exec, exec, s[68:69]
.LBB2_1895:                             ;   in Loop: Header=BB2_564 Depth=4
	s_or_b64 exec, exec, s[30:31]
	v_max_f32_e32 v8, v9, v9
	v_max_f32_e32 v0, v0, v0
	v_min_f32_e32 v9, v0, v8
.LBB2_1896:                             ;   in Loop: Header=BB2_564 Depth=4
	v_and_b32_sdwa v12, v9, s97 dst_sel:DWORD dst_unused:UNUSED_PAD src0_sel:BYTE_3 src1_sel:DWORD
	v_and_b32_e32 v14, 0x7f800000, v9
	v_mov_b32_e32 v15, v51
	v_and_b32_e32 v50, 0x7fffff, v9
	v_or_b32_e32 v0, 0x7b, v12
	v_cmp_ne_u64_e32 vcc, s[52:53], v[14:15]
	s_and_saveexec_b64 s[30:31], vcc
	s_xor_b64 s[68:69], exec, s[30:31]
	s_cbranch_execz .LBB2_1906
; %bb.1897:                             ;   in Loop: Header=BB2_564 Depth=4
	v_and_b32_e32 v14, 0x7fffffff, v9
	v_mov_b32_e32 v15, v51
	v_cmp_gt_u64_e32 vcc, s[54:55], v[14:15]
	s_and_saveexec_b64 s[70:71], vcc
	s_cbranch_execz .LBB2_1905
; %bb.1898:                             ;   in Loop: Header=BB2_564 Depth=4
	v_cmp_ne_u32_e32 vcc, 0, v9
	v_mov_b32_e32 v0, 0
	s_and_saveexec_b64 s[72:73], vcc
	s_cbranch_execz .LBB2_1904
; %bb.1899:                             ;   in Loop: Header=BB2_564 Depth=4
	v_bfe_u32 v0, v9, 23, 8
	v_cmp_eq_u32_e32 vcc, 0, v0
	v_add_u32_e32 v8, 0xffffff81, v0
	v_cmp_gt_u32_e64 s[30:31], s38, v0
	v_sub_u32_e32 v0, 0x71, v0
	v_mov_b32_e32 v13, 0xffffff82
	v_cndmask_b32_e64 v0, 0, v0, s[30:31]
	v_cndmask_b32_e32 v13, v8, v13, vcc
	v_mov_b32_e32 v8, 0x70
	v_cndmask_b32_e32 v0, v0, v8, vcc
	v_or_b32_e32 v9, 0x800000, v50
	v_add_u32_e32 v8, 21, v0
	v_cndmask_b32_e32 v50, v9, v50, vcc
	v_lshlrev_b64 v[8:9], v8, -1
	v_not_b32_e32 v9, v9
	v_not_b32_e32 v8, v8
	v_add_u32_e32 v14, 20, v0
	v_and_b32_e32 v9, 0, v9
	v_and_b32_e32 v8, v50, v8
	v_lshlrev_b64 v[14:15], v14, 1
	v_cmp_eq_u64_e32 vcc, v[8:9], v[14:15]
	v_lshrrev_b64 v[8:9], v0, v[50:51]
	v_lshrrev_b32_e32 v14, 23, v8
	v_add3_u32 v14, v0, v13, v14
	v_bfe_u32 v0, v8, 21, 1
	v_add_u32_e32 v0, -1, v0
	v_cndmask_b32_e32 v0, 0, v0, vcc
	v_add_u32_e32 v0, v0, v8
	v_and_b32_e32 v0, 0x1fffff, v0
	v_add_co_u32_e32 v8, vcc, v0, v8
	v_add_u32_e32 v13, 14, v14
	v_addc_co_u32_e32 v9, vcc, 0, v9, vcc
	v_cmp_ne_u32_e32 vcc, 0, v13
                                        ; implicit-def: $vgpr0
	s_and_saveexec_b64 s[30:31], vcc
	s_xor_b64 s[30:31], exec, s[30:31]
; %bb.1900:                             ;   in Loop: Header=BB2_564 Depth=4
	v_add_u32_e32 v0, 15, v14
	v_cmp_lt_u64_e32 vcc, s[56:57], v[8:9]
	v_cndmask_b32_e32 v0, v13, v0, vcc
	v_cndmask_b32_e64 v13, 0, 1, vcc
	v_lshrrev_b64 v[8:9], v13, v[8:9]
; %bb.1901:                             ;   in Loop: Header=BB2_564 Depth=4
	s_andn2_saveexec_b64 vcc, s[30:31]
; %bb.1902:                             ;   in Loop: Header=BB2_564 Depth=4
	v_bfe_u32 v0, v8, 23, 1
; %bb.1903:                             ;   in Loop: Header=BB2_564 Depth=4
	s_or_b64 exec, exec, vcc
	v_lshrrev_b64 v[8:9], 21, v[8:9]
	v_cmp_gt_i32_e32 vcc, 32, v0
	v_cndmask_b32_e32 v9, 0, v9, vcc
	v_cndmask_b32_e32 v8, 3, v8, vcc
	v_cmp_eq_u32_e32 vcc, 0, v0
	v_min_i32_e32 v0, 31, v0
	v_cmp_eq_u64_e64 s[30:31], 0, v[8:9]
	v_lshlrev_b32_e32 v0, 2, v0
	v_and_or_b32 v0, v8, 3, v0
	s_and_b64 vcc, vcc, s[30:31]
	v_cndmask_b32_e64 v0, v0, 0, vcc
	v_or_b32_e32 v0, v0, v12
.LBB2_1904:                             ;   in Loop: Header=BB2_564 Depth=4
	s_or_b64 exec, exec, s[72:73]
.LBB2_1905:                             ;   in Loop: Header=BB2_564 Depth=4
	s_or_b64 exec, exec, s[70:71]
                                        ; implicit-def: $vgpr9
.LBB2_1906:                             ;   in Loop: Header=BB2_564 Depth=4
	s_andn2_saveexec_b64 s[30:31], s[68:69]
; %bb.1907:                             ;   in Loop: Header=BB2_564 Depth=4
	v_or_b32_sdwa v8, v9, s39 dst_sel:DWORD dst_unused:UNUSED_PAD src0_sel:BYTE_3 src1_sel:DWORD
	v_cmp_eq_u64_e32 vcc, 0, v[50:51]
	v_cndmask_b32_e32 v0, v8, v0, vcc
; %bb.1908:                             ;   in Loop: Header=BB2_564 Depth=4
	s_or_b64 exec, exec, s[30:31]
	v_mov_b32_e32 v50, v29
	v_mov_b32_e32 v8, v11
	;; [unrolled: 1-line block ×3, first 2 shown]
	s_and_b64 vcc, exec, s[28:29]
	v_cmp_ne_u16_sdwa s[30:31], v29, v51 src0_sel:BYTE_0 src1_sel:DWORD
	s_cbranch_vccnz .LBB2_1926
; %bb.1909:                             ;   in Loop: Header=BB2_564 Depth=4
	v_mov_b32_e32 v13, 0
	v_mov_b32_e32 v12, 0
	s_and_saveexec_b64 s[68:69], s[30:31]
	s_cbranch_execz .LBB2_1917
; %bb.1910:                             ;   in Loop: Header=BB2_564 Depth=4
	v_cmp_ne_u16_sdwa vcc, v29, s97 src0_sel:BYTE_0 src1_sel:DWORD
	v_bfrev_b32_e32 v12, 1
	s_and_saveexec_b64 s[70:71], vcc
	s_cbranch_execz .LBB2_1916
; %bb.1911:                             ;   in Loop: Header=BB2_564 Depth=4
	v_and_b32_e32 v12, 0x7c, v29
	v_and_b32_e32 v14, 3, v29
	v_cmp_ne_u32_e32 vcc, s95, v12
                                        ; implicit-def: $vgpr12
	s_and_saveexec_b64 s[72:73], vcc
	s_xor_b64 s[72:73], exec, s[72:73]
	s_cbranch_execz .LBB2_1913
; %bb.1912:                             ;   in Loop: Header=BB2_564 Depth=4
	v_ffbh_u32_e32 v15, v14
	v_min_u32_e32 v15, 32, v15
	v_subrev_u32_e32 v24, 29, v15
	v_bfe_u32 v12, v29, 2, 5
	v_lshlrev_b64 v[24:25], v24, v[50:51]
	v_sub_u32_e32 v15, 30, v15
	v_and_b32_e32 v24, 3, v24
	v_cmp_eq_u32_e32 vcc, 0, v12
	v_cndmask_b32_e32 v12, v12, v15, vcc
	v_cndmask_b32_e32 v14, v14, v24, vcc
	v_bfrev_b32_e32 v24, 28
	v_lshlrev_b32_e32 v15, 24, v29
	v_lshl_add_u32 v12, v12, 23, v24
	v_and_or_b32 v12, v15, s96, v12
	v_lshl_or_b32 v12, v14, 21, v12
                                        ; implicit-def: $vgpr14
.LBB2_1913:                             ;   in Loop: Header=BB2_564 Depth=4
	s_andn2_saveexec_b64 s[72:73], s[72:73]
; %bb.1914:                             ;   in Loop: Header=BB2_564 Depth=4
	v_mov_b32_e32 v12, -1
	v_cmp_gt_i16_sdwa vcc, sext(v29), v12 src0_sel:BYTE_0 src1_sel:DWORD
	v_mov_b32_e32 v12, 0xc7600000
	v_mov_b32_e32 v15, 0x47600000
	v_cndmask_b32_e32 v12, v12, v15, vcc
	v_cmp_eq_u32_e32 vcc, 0, v14
	v_mov_b32_e32 v14, 0x7f800001
	v_cndmask_b32_e32 v12, v14, v12, vcc
; %bb.1915:                             ;   in Loop: Header=BB2_564 Depth=4
	s_or_b64 exec, exec, s[72:73]
.LBB2_1916:                             ;   in Loop: Header=BB2_564 Depth=4
	s_or_b64 exec, exec, s[70:71]
.LBB2_1917:                             ;   in Loop: Header=BB2_564 Depth=4
	s_or_b64 exec, exec, s[68:69]
	v_cmp_ne_u16_sdwa vcc, v11, v51 src0_sel:BYTE_0 src1_sel:DWORD
	s_and_saveexec_b64 s[68:69], vcc
	s_cbranch_execz .LBB2_1925
; %bb.1918:                             ;   in Loop: Header=BB2_564 Depth=4
	v_cmp_ne_u16_sdwa vcc, v11, s97 src0_sel:BYTE_0 src1_sel:DWORD
	v_bfrev_b32_e32 v13, 1
	s_and_saveexec_b64 s[70:71], vcc
	s_cbranch_execz .LBB2_1924
; %bb.1919:                             ;   in Loop: Header=BB2_564 Depth=4
	v_and_b32_e32 v13, 0x7c, v11
	v_and_b32_e32 v14, 3, v11
	v_cmp_ne_u32_e32 vcc, s95, v13
                                        ; implicit-def: $vgpr13
	s_and_saveexec_b64 s[72:73], vcc
	s_xor_b64 s[72:73], exec, s[72:73]
	s_cbranch_execz .LBB2_1921
; %bb.1920:                             ;   in Loop: Header=BB2_564 Depth=4
	v_ffbh_u32_e32 v15, v14
	v_min_u32_e32 v15, 32, v15
	v_subrev_u32_e32 v24, 29, v15
	v_bfe_u32 v13, v11, 2, 5
	v_lshlrev_b64 v[24:25], v24, v[8:9]
	v_sub_u32_e32 v15, 30, v15
	v_and_b32_e32 v24, 3, v24
	v_cmp_eq_u32_e32 vcc, 0, v13
	v_cndmask_b32_e32 v13, v13, v15, vcc
	v_cndmask_b32_e32 v14, v14, v24, vcc
	v_bfrev_b32_e32 v24, 28
	v_lshlrev_b32_e32 v15, 24, v11
	v_lshl_add_u32 v13, v13, 23, v24
	v_and_or_b32 v13, v15, s96, v13
	v_lshl_or_b32 v13, v14, 21, v13
                                        ; implicit-def: $vgpr14
.LBB2_1921:                             ;   in Loop: Header=BB2_564 Depth=4
	s_andn2_saveexec_b64 s[72:73], s[72:73]
; %bb.1922:                             ;   in Loop: Header=BB2_564 Depth=4
	v_mov_b32_e32 v13, -1
	v_cmp_gt_i16_sdwa vcc, sext(v11), v13 src0_sel:BYTE_0 src1_sel:DWORD
	v_mov_b32_e32 v13, 0xc7600000
	v_mov_b32_e32 v15, 0x47600000
	v_cndmask_b32_e32 v13, v13, v15, vcc
	v_cmp_eq_u32_e32 vcc, 0, v14
	v_mov_b32_e32 v14, 0x7f800001
	v_cndmask_b32_e32 v13, v14, v13, vcc
; %bb.1923:                             ;   in Loop: Header=BB2_564 Depth=4
	s_or_b64 exec, exec, s[72:73]
.LBB2_1924:                             ;   in Loop: Header=BB2_564 Depth=4
	s_or_b64 exec, exec, s[70:71]
.LBB2_1925:                             ;   in Loop: Header=BB2_564 Depth=4
	s_or_b64 exec, exec, s[68:69]
	v_max_f32_e32 v13, v13, v13
	v_max_f32_e32 v12, v12, v12
	v_max_f32_e32 v14, v12, v13
	s_branch .LBB2_1944
.LBB2_1926:                             ;   in Loop: Header=BB2_564 Depth=4
                                        ; implicit-def: $vgpr14
	s_cbranch_execz .LBB2_1944
; %bb.1927:                             ;   in Loop: Header=BB2_564 Depth=4
	v_mov_b32_e32 v13, 0
	v_mov_b32_e32 v12, 0
	s_and_saveexec_b64 s[68:69], s[30:31]
	s_cbranch_execz .LBB2_1935
; %bb.1928:                             ;   in Loop: Header=BB2_564 Depth=4
	v_cmp_ne_u16_sdwa vcc, v29, s97 src0_sel:BYTE_0 src1_sel:DWORD
	v_bfrev_b32_e32 v12, 1
	s_and_saveexec_b64 s[30:31], vcc
	s_cbranch_execz .LBB2_1934
; %bb.1929:                             ;   in Loop: Header=BB2_564 Depth=4
	v_and_b32_e32 v12, 0x7c, v29
	v_and_b32_e32 v14, 3, v29
	v_cmp_ne_u32_e32 vcc, s95, v12
                                        ; implicit-def: $vgpr12
	s_and_saveexec_b64 s[70:71], vcc
	s_xor_b64 s[70:71], exec, s[70:71]
	s_cbranch_execz .LBB2_1931
; %bb.1930:                             ;   in Loop: Header=BB2_564 Depth=4
	v_ffbh_u32_e32 v15, v14
	v_min_u32_e32 v15, 32, v15
	v_subrev_u32_e32 v24, 29, v15
	v_bfe_u32 v12, v29, 2, 5
	v_lshlrev_b64 v[24:25], v24, v[50:51]
	v_sub_u32_e32 v15, 30, v15
	v_and_b32_e32 v24, 3, v24
	v_cmp_eq_u32_e32 vcc, 0, v12
	v_cndmask_b32_e32 v12, v12, v15, vcc
	v_cndmask_b32_e32 v14, v14, v24, vcc
	v_bfrev_b32_e32 v24, 28
	v_lshlrev_b32_e32 v15, 24, v29
	v_lshl_add_u32 v12, v12, 23, v24
	v_and_or_b32 v12, v15, s96, v12
	v_lshl_or_b32 v12, v14, 21, v12
                                        ; implicit-def: $vgpr14
.LBB2_1931:                             ;   in Loop: Header=BB2_564 Depth=4
	s_andn2_saveexec_b64 s[70:71], s[70:71]
; %bb.1932:                             ;   in Loop: Header=BB2_564 Depth=4
	v_mov_b32_e32 v12, -1
	v_cmp_gt_i16_sdwa vcc, sext(v29), v12 src0_sel:BYTE_0 src1_sel:DWORD
	v_mov_b32_e32 v12, 0xc7600000
	v_mov_b32_e32 v15, 0x47600000
	v_cndmask_b32_e32 v12, v12, v15, vcc
	v_cmp_eq_u32_e32 vcc, 0, v14
	v_mov_b32_e32 v14, 0x7f800001
	v_cndmask_b32_e32 v12, v14, v12, vcc
; %bb.1933:                             ;   in Loop: Header=BB2_564 Depth=4
	s_or_b64 exec, exec, s[70:71]
.LBB2_1934:                             ;   in Loop: Header=BB2_564 Depth=4
	s_or_b64 exec, exec, s[30:31]
.LBB2_1935:                             ;   in Loop: Header=BB2_564 Depth=4
	s_or_b64 exec, exec, s[68:69]
	v_cmp_ne_u16_sdwa vcc, v11, v51 src0_sel:BYTE_0 src1_sel:DWORD
	s_and_saveexec_b64 s[30:31], vcc
	s_cbranch_execz .LBB2_1943
; %bb.1936:                             ;   in Loop: Header=BB2_564 Depth=4
	v_cmp_ne_u16_sdwa vcc, v11, s97 src0_sel:BYTE_0 src1_sel:DWORD
	v_bfrev_b32_e32 v13, 1
	s_and_saveexec_b64 s[68:69], vcc
	s_cbranch_execz .LBB2_1942
; %bb.1937:                             ;   in Loop: Header=BB2_564 Depth=4
	v_and_b32_e32 v13, 0x7c, v11
	v_and_b32_e32 v14, 3, v11
	v_cmp_ne_u32_e32 vcc, s95, v13
                                        ; implicit-def: $vgpr13
	s_and_saveexec_b64 s[70:71], vcc
	s_xor_b64 s[70:71], exec, s[70:71]
	s_cbranch_execz .LBB2_1939
; %bb.1938:                             ;   in Loop: Header=BB2_564 Depth=4
	v_ffbh_u32_e32 v15, v14
	v_min_u32_e32 v15, 32, v15
	v_subrev_u32_e32 v24, 29, v15
	v_bfe_u32 v13, v11, 2, 5
	v_lshlrev_b64 v[24:25], v24, v[8:9]
	v_sub_u32_e32 v9, 30, v15
	v_and_b32_e32 v15, 3, v24
	v_cmp_eq_u32_e32 vcc, 0, v13
	v_cndmask_b32_e32 v9, v13, v9, vcc
	v_cndmask_b32_e32 v13, v14, v15, vcc
	v_bfrev_b32_e32 v15, 28
	v_lshlrev_b32_e32 v14, 24, v11
	v_lshl_add_u32 v9, v9, 23, v15
	v_and_or_b32 v9, v14, s96, v9
	v_lshl_or_b32 v13, v13, 21, v9
                                        ; implicit-def: $vgpr14
.LBB2_1939:                             ;   in Loop: Header=BB2_564 Depth=4
	s_andn2_saveexec_b64 s[70:71], s[70:71]
; %bb.1940:                             ;   in Loop: Header=BB2_564 Depth=4
	v_mov_b32_e32 v9, -1
	v_cmp_gt_i16_sdwa vcc, sext(v11), v9 src0_sel:BYTE_0 src1_sel:DWORD
	v_mov_b32_e32 v9, 0xc7600000
	v_mov_b32_e32 v13, 0x47600000
	v_cndmask_b32_e32 v9, v9, v13, vcc
	v_cmp_eq_u32_e32 vcc, 0, v14
	v_mov_b32_e32 v13, 0x7f800001
	v_cndmask_b32_e32 v13, v13, v9, vcc
; %bb.1941:                             ;   in Loop: Header=BB2_564 Depth=4
	s_or_b64 exec, exec, s[70:71]
.LBB2_1942:                             ;   in Loop: Header=BB2_564 Depth=4
	s_or_b64 exec, exec, s[68:69]
.LBB2_1943:                             ;   in Loop: Header=BB2_564 Depth=4
	s_or_b64 exec, exec, s[30:31]
	v_max_f32_e32 v9, v13, v13
	v_max_f32_e32 v12, v12, v12
	v_min_f32_e32 v14, v12, v9
.LBB2_1944:                             ;   in Loop: Header=BB2_564 Depth=4
	v_and_b32_sdwa v9, v14, s97 dst_sel:DWORD dst_unused:UNUSED_PAD src0_sel:BYTE_3 src1_sel:DWORD
	v_and_b32_e32 v24, 0x7f800000, v14
	v_mov_b32_e32 v25, v51
	v_and_b32_e32 v12, 0x7fffff, v14
	v_mov_b32_e32 v13, v51
	v_or_b32_e32 v56, 0x7b, v9
	v_cmp_ne_u64_e32 vcc, s[52:53], v[24:25]
	s_and_saveexec_b64 s[30:31], vcc
	s_xor_b64 s[68:69], exec, s[30:31]
	s_cbranch_execz .LBB2_1954
; %bb.1945:                             ;   in Loop: Header=BB2_564 Depth=4
	v_and_b32_e32 v24, 0x7fffffff, v14
	v_mov_b32_e32 v25, v51
	v_cmp_gt_u64_e32 vcc, s[54:55], v[24:25]
	s_and_saveexec_b64 s[70:71], vcc
	s_cbranch_execz .LBB2_1953
; %bb.1946:                             ;   in Loop: Header=BB2_564 Depth=4
	v_cmp_ne_u32_e32 vcc, 0, v14
	v_mov_b32_e32 v56, 0
	s_and_saveexec_b64 s[72:73], vcc
	s_cbranch_execz .LBB2_1952
; %bb.1947:                             ;   in Loop: Header=BB2_564 Depth=4
	v_bfe_u32 v14, v14, 23, 8
	v_cmp_eq_u32_e32 vcc, 0, v14
	v_add_u32_e32 v15, 0xffffff81, v14
	v_cmp_gt_u32_e64 s[30:31], s38, v14
	v_sub_u32_e32 v14, 0x71, v14
	v_mov_b32_e32 v25, 0xffffff82
	v_cndmask_b32_e64 v14, 0, v14, s[30:31]
	v_cndmask_b32_e32 v46, v15, v25, vcc
	v_mov_b32_e32 v15, 0x70
	v_cndmask_b32_e32 v47, v14, v15, vcc
	v_add_u32_e32 v14, 21, v47
	v_or_b32_e32 v24, 0x800000, v12
	v_lshlrev_b64 v[14:15], v14, -1
	v_cndmask_b32_e32 v12, v24, v12, vcc
	v_not_b32_e32 v15, v15
	v_not_b32_e32 v14, v14
	v_add_u32_e32 v24, 20, v47
	v_and_b32_e32 v15, 0, v15
	v_and_b32_e32 v14, v12, v14
	v_lshlrev_b64 v[24:25], v24, 1
	v_lshrrev_b64 v[12:13], v47, v[12:13]
	v_cmp_eq_u64_e32 vcc, v[14:15], v[24:25]
	v_lshrrev_b32_e32 v14, 23, v12
	v_add3_u32 v46, v47, v46, v14
	v_bfe_u32 v14, v12, 21, 1
	v_add_u32_e32 v14, -1, v14
	v_cndmask_b32_e32 v14, 0, v14, vcc
	v_add_u32_e32 v14, v14, v12
	v_and_b32_e32 v14, 0x1fffff, v14
	v_add_co_u32_e32 v12, vcc, v14, v12
	v_add_u32_e32 v15, 14, v46
	v_addc_co_u32_e32 v13, vcc, 0, v13, vcc
	v_cmp_ne_u32_e32 vcc, 0, v15
                                        ; implicit-def: $vgpr14
	s_and_saveexec_b64 s[30:31], vcc
	s_xor_b64 s[30:31], exec, s[30:31]
; %bb.1948:                             ;   in Loop: Header=BB2_564 Depth=4
	v_add_u32_e32 v14, 15, v46
	v_cmp_lt_u64_e32 vcc, s[56:57], v[12:13]
	v_cndmask_b32_e32 v14, v15, v14, vcc
	v_cndmask_b32_e64 v15, 0, 1, vcc
	v_lshrrev_b64 v[12:13], v15, v[12:13]
; %bb.1949:                             ;   in Loop: Header=BB2_564 Depth=4
	s_andn2_saveexec_b64 vcc, s[30:31]
; %bb.1950:                             ;   in Loop: Header=BB2_564 Depth=4
	v_bfe_u32 v14, v12, 23, 1
; %bb.1951:                             ;   in Loop: Header=BB2_564 Depth=4
	s_or_b64 exec, exec, vcc
	v_lshrrev_b64 v[12:13], 21, v[12:13]
	v_cmp_gt_i32_e32 vcc, 32, v14
	v_cndmask_b32_e32 v13, 0, v13, vcc
	v_cndmask_b32_e32 v12, 3, v12, vcc
	v_cmp_eq_u64_e64 s[30:31], 0, v[12:13]
	v_min_i32_e32 v13, 31, v14
	v_cmp_eq_u32_e32 vcc, 0, v14
	v_lshlrev_b32_e32 v13, 2, v13
	v_and_or_b32 v12, v12, 3, v13
	s_and_b64 vcc, vcc, s[30:31]
	v_cndmask_b32_e64 v12, v12, 0, vcc
	v_or_b32_e32 v56, v12, v9
.LBB2_1952:                             ;   in Loop: Header=BB2_564 Depth=4
	s_or_b64 exec, exec, s[72:73]
.LBB2_1953:                             ;   in Loop: Header=BB2_564 Depth=4
	s_or_b64 exec, exec, s[70:71]
                                        ; implicit-def: $vgpr14
                                        ; implicit-def: $vgpr12_vgpr13
.LBB2_1954:                             ;   in Loop: Header=BB2_564 Depth=4
	s_andn2_saveexec_b64 s[30:31], s[68:69]
; %bb.1955:                             ;   in Loop: Header=BB2_564 Depth=4
	v_or_b32_sdwa v9, v14, s39 dst_sel:DWORD dst_unused:UNUSED_PAD src0_sel:BYTE_3 src1_sel:DWORD
	v_cmp_eq_u64_e32 vcc, 0, v[12:13]
	v_cndmask_b32_e32 v56, v9, v56, vcc
; %bb.1956:                             ;   in Loop: Header=BB2_564 Depth=4
	s_or_b64 exec, exec, s[30:31]
	v_lshrrev_b16_e32 v14, 8, v50
	v_lshrrev_b16_e32 v12, 8, v8
	s_and_b64 vcc, exec, s[28:29]
	v_cmp_ne_u16_e64 s[30:31], 0, v14
	s_cbranch_vccnz .LBB2_1974
; %bb.1957:                             ;   in Loop: Header=BB2_564 Depth=4
	v_mov_b32_e32 v13, 0
	v_mov_b32_e32 v9, 0
	s_and_saveexec_b64 s[68:69], s[30:31]
	s_cbranch_execz .LBB2_1965
; %bb.1958:                             ;   in Loop: Header=BB2_564 Depth=4
	v_cmp_ne_u16_e32 vcc, s97, v14
	v_bfrev_b32_e32 v9, 1
	s_and_saveexec_b64 s[70:71], vcc
	s_cbranch_execz .LBB2_1964
; %bb.1959:                             ;   in Loop: Header=BB2_564 Depth=4
	v_and_b32_e32 v9, 0x7c, v14
	v_and_b32_e32 v46, 3, v14
	v_cmp_ne_u32_e32 vcc, s95, v9
                                        ; implicit-def: $vgpr9
	s_and_saveexec_b64 s[72:73], vcc
	s_xor_b64 s[72:73], exec, s[72:73]
	s_cbranch_execz .LBB2_1961
; %bb.1960:                             ;   in Loop: Header=BB2_564 Depth=4
	v_ffbh_u32_e32 v24, v46
	v_min_u32_e32 v47, 32, v24
	v_mov_b32_e32 v15, v51
	v_bfe_u32 v9, v14, 2, 5
	v_subrev_u32_e32 v24, 29, v47
	v_lshlrev_b64 v[24:25], v24, v[14:15]
	v_sub_u32_e32 v15, 30, v47
	v_cmp_eq_u32_e32 vcc, 0, v9
	v_and_b32_e32 v24, 3, v24
	v_cndmask_b32_e32 v9, v9, v15, vcc
	v_bfrev_b32_e32 v25, 28
	v_cndmask_b32_e32 v15, v46, v24, vcc
	v_lshlrev_b32_e32 v24, 16, v50
	v_lshl_add_u32 v9, v9, 23, v25
	v_and_or_b32 v9, v24, s96, v9
	v_lshl_or_b32 v9, v15, 21, v9
                                        ; implicit-def: $vgpr46
.LBB2_1961:                             ;   in Loop: Header=BB2_564 Depth=4
	s_andn2_saveexec_b64 s[72:73], s[72:73]
; %bb.1962:                             ;   in Loop: Header=BB2_564 Depth=4
	v_cmp_lt_i16_e32 vcc, -1, v50
	v_mov_b32_e32 v9, 0xc7600000
	v_mov_b32_e32 v15, 0x47600000
	v_cndmask_b32_e32 v9, v9, v15, vcc
	v_cmp_eq_u32_e32 vcc, 0, v46
	v_mov_b32_e32 v15, 0x7f800001
	v_cndmask_b32_e32 v9, v15, v9, vcc
; %bb.1963:                             ;   in Loop: Header=BB2_564 Depth=4
	s_or_b64 exec, exec, s[72:73]
.LBB2_1964:                             ;   in Loop: Header=BB2_564 Depth=4
	s_or_b64 exec, exec, s[70:71]
.LBB2_1965:                             ;   in Loop: Header=BB2_564 Depth=4
	s_or_b64 exec, exec, s[68:69]
	v_cmp_ne_u16_e32 vcc, 0, v12
	s_and_saveexec_b64 s[68:69], vcc
	s_cbranch_execz .LBB2_1973
; %bb.1966:                             ;   in Loop: Header=BB2_564 Depth=4
	v_cmp_ne_u16_e32 vcc, s97, v12
	v_bfrev_b32_e32 v13, 1
	s_and_saveexec_b64 s[70:71], vcc
	s_cbranch_execz .LBB2_1972
; %bb.1967:                             ;   in Loop: Header=BB2_564 Depth=4
	v_and_b32_e32 v13, 0x7c, v12
	v_and_b32_e32 v15, 3, v12
	v_cmp_ne_u32_e32 vcc, s95, v13
                                        ; implicit-def: $vgpr13
	s_and_saveexec_b64 s[72:73], vcc
	s_xor_b64 s[72:73], exec, s[72:73]
	s_cbranch_execz .LBB2_1969
; %bb.1968:                             ;   in Loop: Header=BB2_564 Depth=4
	v_ffbh_u32_e32 v24, v15
	v_min_u32_e32 v47, 32, v24
	v_mov_b32_e32 v13, v51
	v_bfe_u32 v46, v12, 2, 5
	v_subrev_u32_e32 v24, 29, v47
	v_lshlrev_b64 v[24:25], v24, v[12:13]
	v_sub_u32_e32 v13, 30, v47
	v_cmp_eq_u32_e32 vcc, 0, v46
	v_and_b32_e32 v24, 3, v24
	v_cndmask_b32_e32 v13, v46, v13, vcc
	v_bfrev_b32_e32 v25, 28
	v_cndmask_b32_e32 v15, v15, v24, vcc
	v_lshlrev_b32_e32 v24, 16, v8
	v_lshl_add_u32 v13, v13, 23, v25
	v_and_or_b32 v13, v24, s96, v13
	v_lshl_or_b32 v13, v15, 21, v13
                                        ; implicit-def: $vgpr15
.LBB2_1969:                             ;   in Loop: Header=BB2_564 Depth=4
	s_andn2_saveexec_b64 s[72:73], s[72:73]
; %bb.1970:                             ;   in Loop: Header=BB2_564 Depth=4
	v_cmp_lt_i16_e32 vcc, -1, v8
	v_mov_b32_e32 v13, 0xc7600000
	v_mov_b32_e32 v24, 0x47600000
	v_cndmask_b32_e32 v13, v13, v24, vcc
	v_cmp_eq_u32_e32 vcc, 0, v15
	v_mov_b32_e32 v15, 0x7f800001
	v_cndmask_b32_e32 v13, v15, v13, vcc
; %bb.1971:                             ;   in Loop: Header=BB2_564 Depth=4
	s_or_b64 exec, exec, s[72:73]
.LBB2_1972:                             ;   in Loop: Header=BB2_564 Depth=4
	s_or_b64 exec, exec, s[70:71]
.LBB2_1973:                             ;   in Loop: Header=BB2_564 Depth=4
	s_or_b64 exec, exec, s[68:69]
	v_max_f32_e32 v13, v13, v13
	v_max_f32_e32 v9, v9, v9
	;; [unrolled: 1-line block ×3, first 2 shown]
	s_branch .LBB2_1992
.LBB2_1974:                             ;   in Loop: Header=BB2_564 Depth=4
                                        ; implicit-def: $vgpr9
	s_cbranch_execz .LBB2_1992
; %bb.1975:                             ;   in Loop: Header=BB2_564 Depth=4
	v_mov_b32_e32 v13, 0
	v_mov_b32_e32 v15, 0
	s_and_saveexec_b64 s[68:69], s[30:31]
	s_cbranch_execz .LBB2_1983
; %bb.1976:                             ;   in Loop: Header=BB2_564 Depth=4
	v_cmp_ne_u16_e32 vcc, s97, v14
	v_bfrev_b32_e32 v15, 1
	s_and_saveexec_b64 s[30:31], vcc
	s_cbranch_execz .LBB2_1982
; %bb.1977:                             ;   in Loop: Header=BB2_564 Depth=4
	v_and_b32_e32 v15, 0x7c, v14
	v_and_b32_e32 v9, 3, v14
	v_cmp_ne_u32_e32 vcc, s95, v15
                                        ; implicit-def: $vgpr15
	s_and_saveexec_b64 s[70:71], vcc
	s_xor_b64 s[70:71], exec, s[70:71]
	s_cbranch_execz .LBB2_1979
; %bb.1978:                             ;   in Loop: Header=BB2_564 Depth=4
	v_ffbh_u32_e32 v25, v9
	v_min_u32_e32 v25, 32, v25
	v_mov_b32_e32 v15, v51
	v_subrev_u32_e32 v46, 29, v25
	v_bfe_u32 v24, v14, 2, 5
	v_lshlrev_b64 v[14:15], v46, v[14:15]
	v_sub_u32_e32 v15, 30, v25
	v_cmp_eq_u32_e32 vcc, 0, v24
	v_and_b32_e32 v14, 3, v14
	v_cndmask_b32_e32 v15, v24, v15, vcc
	v_bfrev_b32_e32 v24, 28
	v_cndmask_b32_e32 v9, v9, v14, vcc
	v_lshlrev_b32_e32 v14, 16, v50
	v_lshl_add_u32 v15, v15, 23, v24
	v_and_or_b32 v14, v14, s96, v15
	v_lshl_or_b32 v15, v9, 21, v14
                                        ; implicit-def: $vgpr9
.LBB2_1979:                             ;   in Loop: Header=BB2_564 Depth=4
	s_andn2_saveexec_b64 s[70:71], s[70:71]
; %bb.1980:                             ;   in Loop: Header=BB2_564 Depth=4
	v_cmp_lt_i16_e32 vcc, -1, v50
	v_mov_b32_e32 v14, 0xc7600000
	v_mov_b32_e32 v15, 0x47600000
	v_cndmask_b32_e32 v14, v14, v15, vcc
	v_cmp_eq_u32_e32 vcc, 0, v9
	v_mov_b32_e32 v9, 0x7f800001
	v_cndmask_b32_e32 v15, v9, v14, vcc
; %bb.1981:                             ;   in Loop: Header=BB2_564 Depth=4
	s_or_b64 exec, exec, s[70:71]
.LBB2_1982:                             ;   in Loop: Header=BB2_564 Depth=4
	s_or_b64 exec, exec, s[30:31]
.LBB2_1983:                             ;   in Loop: Header=BB2_564 Depth=4
	s_or_b64 exec, exec, s[68:69]
	v_cmp_ne_u16_e32 vcc, 0, v12
	s_and_saveexec_b64 s[30:31], vcc
	s_cbranch_execz .LBB2_1991
; %bb.1984:                             ;   in Loop: Header=BB2_564 Depth=4
	v_cmp_ne_u16_e32 vcc, s97, v12
	v_bfrev_b32_e32 v13, 1
	s_and_saveexec_b64 s[68:69], vcc
	s_cbranch_execz .LBB2_1990
; %bb.1985:                             ;   in Loop: Header=BB2_564 Depth=4
	v_and_b32_e32 v9, 0x7c, v12
	v_and_b32_e32 v14, 3, v12
	v_cmp_ne_u32_e32 vcc, s95, v9
                                        ; implicit-def: $vgpr13
	s_and_saveexec_b64 s[70:71], vcc
	s_xor_b64 s[70:71], exec, s[70:71]
	s_cbranch_execz .LBB2_1987
; %bb.1986:                             ;   in Loop: Header=BB2_564 Depth=4
	v_ffbh_u32_e32 v24, v14
	v_min_u32_e32 v24, 32, v24
	v_mov_b32_e32 v13, v51
	v_subrev_u32_e32 v25, 29, v24
	v_bfe_u32 v9, v12, 2, 5
	v_lshlrev_b64 v[12:13], v25, v[12:13]
	v_sub_u32_e32 v13, 30, v24
	v_cmp_eq_u32_e32 vcc, 0, v9
	v_cndmask_b32_e32 v9, v9, v13, vcc
	v_bfrev_b32_e32 v13, 28
	v_and_b32_e32 v12, 3, v12
	v_lshlrev_b32_e32 v8, 16, v8
	v_lshl_add_u32 v9, v9, 23, v13
	v_cndmask_b32_e32 v12, v14, v12, vcc
	v_and_or_b32 v8, v8, s96, v9
	v_lshl_or_b32 v13, v12, 21, v8
                                        ; implicit-def: $vgpr14
                                        ; implicit-def: $vgpr8_vgpr9
.LBB2_1987:                             ;   in Loop: Header=BB2_564 Depth=4
	s_andn2_saveexec_b64 s[70:71], s[70:71]
; %bb.1988:                             ;   in Loop: Header=BB2_564 Depth=4
	v_cmp_lt_i16_e32 vcc, -1, v8
	v_mov_b32_e32 v8, 0xc7600000
	v_mov_b32_e32 v9, 0x47600000
	v_cndmask_b32_e32 v8, v8, v9, vcc
	v_cmp_eq_u32_e32 vcc, 0, v14
	v_mov_b32_e32 v9, 0x7f800001
	v_cndmask_b32_e32 v13, v9, v8, vcc
; %bb.1989:                             ;   in Loop: Header=BB2_564 Depth=4
	s_or_b64 exec, exec, s[70:71]
.LBB2_1990:                             ;   in Loop: Header=BB2_564 Depth=4
	s_or_b64 exec, exec, s[68:69]
.LBB2_1991:                             ;   in Loop: Header=BB2_564 Depth=4
	s_or_b64 exec, exec, s[30:31]
	v_max_f32_e32 v8, v13, v13
	v_max_f32_e32 v9, v15, v15
	v_min_f32_e32 v9, v9, v8
.LBB2_1992:                             ;   in Loop: Header=BB2_564 Depth=4
	v_and_b32_sdwa v12, v9, s97 dst_sel:DWORD dst_unused:UNUSED_PAD src0_sel:BYTE_3 src1_sel:DWORD
	v_and_b32_e32 v14, 0x7f800000, v9
	v_mov_b32_e32 v15, v51
	v_and_b32_e32 v50, 0x7fffff, v9
	v_or_b32_e32 v13, 0x7b, v12
	v_cmp_ne_u64_e32 vcc, s[52:53], v[14:15]
	s_and_saveexec_b64 s[30:31], vcc
	s_xor_b64 s[68:69], exec, s[30:31]
	s_cbranch_execz .LBB2_2002
; %bb.1993:                             ;   in Loop: Header=BB2_564 Depth=4
	v_and_b32_e32 v14, 0x7fffffff, v9
	v_mov_b32_e32 v15, v51
	v_cmp_gt_u64_e32 vcc, s[54:55], v[14:15]
	s_and_saveexec_b64 s[70:71], vcc
	s_cbranch_execz .LBB2_2001
; %bb.1994:                             ;   in Loop: Header=BB2_564 Depth=4
	v_cmp_ne_u32_e32 vcc, 0, v9
	v_mov_b32_e32 v13, 0
	s_and_saveexec_b64 s[72:73], vcc
	s_cbranch_execz .LBB2_2000
; %bb.1995:                             ;   in Loop: Header=BB2_564 Depth=4
	v_bfe_u32 v8, v9, 23, 8
	v_cmp_eq_u32_e32 vcc, 0, v8
	v_add_u32_e32 v9, 0xffffff81, v8
	v_cmp_gt_u32_e64 s[30:31], s38, v8
	v_sub_u32_e32 v8, 0x71, v8
	v_mov_b32_e32 v14, 0xffffff82
	v_cndmask_b32_e64 v8, 0, v8, s[30:31]
	v_cndmask_b32_e32 v24, v9, v14, vcc
	v_mov_b32_e32 v9, 0x70
	v_cndmask_b32_e32 v25, v8, v9, vcc
	v_add_u32_e32 v8, 21, v25
	v_or_b32_e32 v13, 0x800000, v50
	v_lshlrev_b64 v[8:9], v8, -1
	v_cndmask_b32_e32 v50, v13, v50, vcc
	v_not_b32_e32 v9, v9
	v_not_b32_e32 v8, v8
	v_add_u32_e32 v13, 20, v25
	v_and_b32_e32 v9, 0, v9
	v_and_b32_e32 v8, v50, v8
	v_lshlrev_b64 v[14:15], v13, 1
	v_cmp_eq_u64_e32 vcc, v[8:9], v[14:15]
	v_lshrrev_b64 v[8:9], v25, v[50:51]
	v_lshrrev_b32_e32 v13, 23, v8
	v_add3_u32 v15, v25, v24, v13
	v_bfe_u32 v13, v8, 21, 1
	v_add_u32_e32 v13, -1, v13
	v_cndmask_b32_e32 v13, 0, v13, vcc
	v_add_u32_e32 v13, v13, v8
	v_and_b32_e32 v13, 0x1fffff, v13
	v_add_co_u32_e32 v8, vcc, v13, v8
	v_add_u32_e32 v14, 14, v15
	v_addc_co_u32_e32 v9, vcc, 0, v9, vcc
	v_cmp_ne_u32_e32 vcc, 0, v14
                                        ; implicit-def: $vgpr13
	s_and_saveexec_b64 s[30:31], vcc
	s_xor_b64 s[30:31], exec, s[30:31]
; %bb.1996:                             ;   in Loop: Header=BB2_564 Depth=4
	v_add_u32_e32 v13, 15, v15
	v_cmp_lt_u64_e32 vcc, s[56:57], v[8:9]
	v_cndmask_b32_e32 v13, v14, v13, vcc
	v_cndmask_b32_e64 v14, 0, 1, vcc
	v_lshrrev_b64 v[8:9], v14, v[8:9]
; %bb.1997:                             ;   in Loop: Header=BB2_564 Depth=4
	s_andn2_saveexec_b64 vcc, s[30:31]
; %bb.1998:                             ;   in Loop: Header=BB2_564 Depth=4
	v_bfe_u32 v13, v8, 23, 1
; %bb.1999:                             ;   in Loop: Header=BB2_564 Depth=4
	s_or_b64 exec, exec, vcc
	v_lshrrev_b64 v[8:9], 21, v[8:9]
	v_cmp_gt_i32_e32 vcc, 32, v13
	v_cndmask_b32_e32 v9, 0, v9, vcc
	v_cndmask_b32_e32 v8, 3, v8, vcc
	v_cmp_eq_u64_e64 s[30:31], 0, v[8:9]
	v_min_i32_e32 v9, 31, v13
	v_cmp_eq_u32_e32 vcc, 0, v13
	v_lshlrev_b32_e32 v9, 2, v9
	v_and_or_b32 v8, v8, 3, v9
	s_and_b64 vcc, vcc, s[30:31]
	v_cndmask_b32_e64 v8, v8, 0, vcc
	v_or_b32_e32 v13, v8, v12
.LBB2_2000:                             ;   in Loop: Header=BB2_564 Depth=4
	s_or_b64 exec, exec, s[72:73]
.LBB2_2001:                             ;   in Loop: Header=BB2_564 Depth=4
	s_or_b64 exec, exec, s[70:71]
                                        ; implicit-def: $vgpr9
.LBB2_2002:                             ;   in Loop: Header=BB2_564 Depth=4
	s_andn2_saveexec_b64 s[30:31], s[68:69]
; %bb.2003:                             ;   in Loop: Header=BB2_564 Depth=4
	v_or_b32_sdwa v8, v9, s39 dst_sel:DWORD dst_unused:UNUSED_PAD src0_sel:BYTE_3 src1_sel:DWORD
	v_cmp_eq_u64_e32 vcc, 0, v[50:51]
	v_cndmask_b32_e32 v13, v8, v13, vcc
; %bb.2004:                             ;   in Loop: Header=BB2_564 Depth=4
	s_or_b64 exec, exec, s[30:31]
	v_lshrrev_b32_e32 v12, 16, v29
	v_lshrrev_b32_e32 v8, 16, v11
	s_and_b64 vcc, exec, s[28:29]
	v_cmp_ne_u16_sdwa s[30:31], v12, v51 src0_sel:BYTE_0 src1_sel:DWORD
	s_cbranch_vccnz .LBB2_2022
; %bb.2005:                             ;   in Loop: Header=BB2_564 Depth=4
	v_mov_b32_e32 v14, 0
	v_mov_b32_e32 v9, 0
	s_and_saveexec_b64 s[68:69], s[30:31]
	s_cbranch_execz .LBB2_2013
; %bb.2006:                             ;   in Loop: Header=BB2_564 Depth=4
	v_cmp_ne_u16_sdwa vcc, v12, s97 src0_sel:BYTE_0 src1_sel:DWORD
	v_bfrev_b32_e32 v9, 1
	s_and_saveexec_b64 s[70:71], vcc
	s_cbranch_execz .LBB2_2012
; %bb.2007:                             ;   in Loop: Header=BB2_564 Depth=4
	v_and_b32_e32 v9, 0x7c0000, v29
	v_bfe_u32 v15, v29, 16, 2
	v_cmp_ne_u32_e32 vcc, s36, v9
                                        ; implicit-def: $vgpr9
	s_and_saveexec_b64 s[72:73], vcc
	s_xor_b64 s[72:73], exec, s[72:73]
	s_cbranch_execz .LBB2_2009
; %bb.2008:                             ;   in Loop: Header=BB2_564 Depth=4
	v_ffbh_u32_e32 v24, v15
	v_min_u32_e32 v50, 32, v24
	v_subrev_u32_e32 v24, 29, v50
	v_bfe_u32 v9, v29, 18, 5
	v_lshlrev_b64 v[24:25], v24, v[12:13]
	v_sub_u32_e32 v25, 30, v50
	v_cmp_eq_u32_e32 vcc, 0, v9
	v_and_b32_e32 v24, 3, v24
	v_cndmask_b32_e32 v9, v9, v25, vcc
	v_bfrev_b32_e32 v25, 28
	v_cndmask_b32_e32 v15, v15, v24, vcc
	v_lshlrev_b32_e32 v24, 24, v12
	v_lshl_add_u32 v9, v9, 23, v25
	v_and_or_b32 v9, v24, s96, v9
	v_lshl_or_b32 v9, v15, 21, v9
                                        ; implicit-def: $vgpr15
.LBB2_2009:                             ;   in Loop: Header=BB2_564 Depth=4
	s_andn2_saveexec_b64 s[72:73], s[72:73]
; %bb.2010:                             ;   in Loop: Header=BB2_564 Depth=4
	v_mov_b32_e32 v9, -1
	v_cmp_gt_i16_sdwa vcc, sext(v12), v9 src0_sel:BYTE_0 src1_sel:DWORD
	v_mov_b32_e32 v9, 0xc7600000
	v_mov_b32_e32 v24, 0x47600000
	v_cndmask_b32_e32 v9, v9, v24, vcc
	v_cmp_eq_u32_e32 vcc, 0, v15
	v_mov_b32_e32 v15, 0x7f800001
	v_cndmask_b32_e32 v9, v15, v9, vcc
; %bb.2011:                             ;   in Loop: Header=BB2_564 Depth=4
	s_or_b64 exec, exec, s[72:73]
.LBB2_2012:                             ;   in Loop: Header=BB2_564 Depth=4
	s_or_b64 exec, exec, s[70:71]
.LBB2_2013:                             ;   in Loop: Header=BB2_564 Depth=4
	s_or_b64 exec, exec, s[68:69]
	v_cmp_ne_u16_sdwa vcc, v8, v51 src0_sel:BYTE_0 src1_sel:DWORD
	s_and_saveexec_b64 s[68:69], vcc
	s_cbranch_execz .LBB2_2021
; %bb.2014:                             ;   in Loop: Header=BB2_564 Depth=4
	v_cmp_ne_u16_sdwa vcc, v8, s97 src0_sel:BYTE_0 src1_sel:DWORD
	v_bfrev_b32_e32 v14, 1
	s_and_saveexec_b64 s[70:71], vcc
	s_cbranch_execz .LBB2_2020
; %bb.2015:                             ;   in Loop: Header=BB2_564 Depth=4
	v_and_b32_e32 v14, 0x7c0000, v11
	v_bfe_u32 v15, v11, 16, 2
	v_cmp_ne_u32_e32 vcc, s36, v14
                                        ; implicit-def: $vgpr14
	s_and_saveexec_b64 s[72:73], vcc
	s_xor_b64 s[72:73], exec, s[72:73]
	s_cbranch_execz .LBB2_2017
; %bb.2016:                             ;   in Loop: Header=BB2_564 Depth=4
	v_ffbh_u32_e32 v24, v15
	v_min_u32_e32 v50, 32, v24
	v_subrev_u32_e32 v24, 29, v50
	v_bfe_u32 v14, v11, 18, 5
	v_lshlrev_b64 v[24:25], v24, v[8:9]
	v_sub_u32_e32 v25, 30, v50
	v_cmp_eq_u32_e32 vcc, 0, v14
	v_and_b32_e32 v24, 3, v24
	v_cndmask_b32_e32 v14, v14, v25, vcc
	v_bfrev_b32_e32 v25, 28
	v_cndmask_b32_e32 v15, v15, v24, vcc
	v_lshlrev_b32_e32 v24, 24, v8
	v_lshl_add_u32 v14, v14, 23, v25
	v_and_or_b32 v14, v24, s96, v14
	v_lshl_or_b32 v14, v15, 21, v14
                                        ; implicit-def: $vgpr15
.LBB2_2017:                             ;   in Loop: Header=BB2_564 Depth=4
	s_andn2_saveexec_b64 s[72:73], s[72:73]
; %bb.2018:                             ;   in Loop: Header=BB2_564 Depth=4
	v_mov_b32_e32 v14, -1
	v_cmp_gt_i16_sdwa vcc, sext(v8), v14 src0_sel:BYTE_0 src1_sel:DWORD
	v_mov_b32_e32 v14, 0xc7600000
	v_mov_b32_e32 v24, 0x47600000
	v_cndmask_b32_e32 v14, v14, v24, vcc
	v_cmp_eq_u32_e32 vcc, 0, v15
	v_mov_b32_e32 v15, 0x7f800001
	v_cndmask_b32_e32 v14, v15, v14, vcc
; %bb.2019:                             ;   in Loop: Header=BB2_564 Depth=4
	s_or_b64 exec, exec, s[72:73]
.LBB2_2020:                             ;   in Loop: Header=BB2_564 Depth=4
	s_or_b64 exec, exec, s[70:71]
.LBB2_2021:                             ;   in Loop: Header=BB2_564 Depth=4
	s_or_b64 exec, exec, s[68:69]
	v_max_f32_e32 v14, v14, v14
	v_max_f32_e32 v9, v9, v9
	;; [unrolled: 1-line block ×3, first 2 shown]
	s_branch .LBB2_2040
.LBB2_2022:                             ;   in Loop: Header=BB2_564 Depth=4
                                        ; implicit-def: $vgpr9
	s_cbranch_execz .LBB2_2040
; %bb.2023:                             ;   in Loop: Header=BB2_564 Depth=4
	v_mov_b32_e32 v14, 0
	v_mov_b32_e32 v9, 0
	s_and_saveexec_b64 s[68:69], s[30:31]
	s_cbranch_execz .LBB2_2031
; %bb.2024:                             ;   in Loop: Header=BB2_564 Depth=4
	v_cmp_ne_u16_sdwa vcc, v12, s97 src0_sel:BYTE_0 src1_sel:DWORD
	v_bfrev_b32_e32 v9, 1
	s_and_saveexec_b64 s[30:31], vcc
	s_cbranch_execz .LBB2_2030
; %bb.2025:                             ;   in Loop: Header=BB2_564 Depth=4
	v_and_b32_e32 v9, 0x7c0000, v29
	v_bfe_u32 v15, v29, 16, 2
	v_cmp_ne_u32_e32 vcc, s36, v9
                                        ; implicit-def: $vgpr9
	s_and_saveexec_b64 s[70:71], vcc
	s_xor_b64 s[70:71], exec, s[70:71]
	s_cbranch_execz .LBB2_2027
; %bb.2026:                             ;   in Loop: Header=BB2_564 Depth=4
	v_ffbh_u32_e32 v24, v15
	v_min_u32_e32 v50, 32, v24
	v_subrev_u32_e32 v24, 29, v50
	v_bfe_u32 v9, v29, 18, 5
	v_lshlrev_b64 v[24:25], v24, v[12:13]
	v_sub_u32_e32 v25, 30, v50
	v_and_b32_e32 v24, 3, v24
	v_cmp_eq_u32_e32 vcc, 0, v9
	v_cndmask_b32_e32 v9, v9, v25, vcc
	v_cndmask_b32_e32 v15, v15, v24, vcc
	v_bfrev_b32_e32 v24, 28
	v_lshlrev_b32_e32 v12, 24, v12
	v_lshl_add_u32 v9, v9, 23, v24
	v_and_or_b32 v9, v12, s96, v9
	v_lshl_or_b32 v9, v15, 21, v9
                                        ; implicit-def: $vgpr15
                                        ; implicit-def: $vgpr12
.LBB2_2027:                             ;   in Loop: Header=BB2_564 Depth=4
	s_andn2_saveexec_b64 s[70:71], s[70:71]
; %bb.2028:                             ;   in Loop: Header=BB2_564 Depth=4
	v_mov_b32_e32 v9, -1
	v_cmp_gt_i16_sdwa vcc, sext(v12), v9 src0_sel:BYTE_0 src1_sel:DWORD
	v_mov_b32_e32 v9, 0xc7600000
	v_mov_b32_e32 v12, 0x47600000
	v_cndmask_b32_e32 v9, v9, v12, vcc
	v_cmp_eq_u32_e32 vcc, 0, v15
	v_mov_b32_e32 v12, 0x7f800001
	v_cndmask_b32_e32 v9, v12, v9, vcc
; %bb.2029:                             ;   in Loop: Header=BB2_564 Depth=4
	s_or_b64 exec, exec, s[70:71]
.LBB2_2030:                             ;   in Loop: Header=BB2_564 Depth=4
	s_or_b64 exec, exec, s[30:31]
.LBB2_2031:                             ;   in Loop: Header=BB2_564 Depth=4
	s_or_b64 exec, exec, s[68:69]
	v_cmp_ne_u16_sdwa vcc, v8, v51 src0_sel:BYTE_0 src1_sel:DWORD
	s_and_saveexec_b64 s[30:31], vcc
	s_cbranch_execz .LBB2_2039
; %bb.2032:                             ;   in Loop: Header=BB2_564 Depth=4
	v_cmp_ne_u16_sdwa vcc, v8, s97 src0_sel:BYTE_0 src1_sel:DWORD
	v_bfrev_b32_e32 v14, 1
	s_and_saveexec_b64 s[68:69], vcc
	s_cbranch_execz .LBB2_2038
; %bb.2033:                             ;   in Loop: Header=BB2_564 Depth=4
	v_and_b32_e32 v14, 0x7c0000, v11
	v_bfe_u32 v12, v11, 16, 2
	v_cmp_ne_u32_e32 vcc, s36, v14
                                        ; implicit-def: $vgpr14
	s_and_saveexec_b64 s[70:71], vcc
	s_xor_b64 s[70:71], exec, s[70:71]
	s_cbranch_execz .LBB2_2035
; %bb.2034:                             ;   in Loop: Header=BB2_564 Depth=4
	v_ffbh_u32_e32 v14, v12
	v_min_u32_e32 v25, 32, v14
	v_subrev_u32_e32 v14, 29, v25
	v_bfe_u32 v24, v11, 18, 5
	v_lshlrev_b64 v[14:15], v14, v[8:9]
	v_sub_u32_e32 v15, 30, v25
	v_and_b32_e32 v14, 3, v14
	v_cmp_eq_u32_e32 vcc, 0, v24
	v_cndmask_b32_e32 v15, v24, v15, vcc
	v_cndmask_b32_e32 v12, v12, v14, vcc
	v_bfrev_b32_e32 v14, 28
	v_lshlrev_b32_e32 v8, 24, v8
	v_lshl_add_u32 v14, v15, 23, v14
	v_and_or_b32 v8, v8, s96, v14
	v_lshl_or_b32 v14, v12, 21, v8
                                        ; implicit-def: $vgpr12
                                        ; implicit-def: $vgpr8
.LBB2_2035:                             ;   in Loop: Header=BB2_564 Depth=4
	s_andn2_saveexec_b64 s[70:71], s[70:71]
; %bb.2036:                             ;   in Loop: Header=BB2_564 Depth=4
	v_mov_b32_e32 v14, -1
	v_cmp_gt_i16_sdwa vcc, sext(v8), v14 src0_sel:BYTE_0 src1_sel:DWORD
	v_mov_b32_e32 v8, 0xc7600000
	v_mov_b32_e32 v14, 0x47600000
	v_cndmask_b32_e32 v8, v8, v14, vcc
	v_cmp_eq_u32_e32 vcc, 0, v12
	v_mov_b32_e32 v12, 0x7f800001
	v_cndmask_b32_e32 v14, v12, v8, vcc
; %bb.2037:                             ;   in Loop: Header=BB2_564 Depth=4
	s_or_b64 exec, exec, s[70:71]
.LBB2_2038:                             ;   in Loop: Header=BB2_564 Depth=4
	s_or_b64 exec, exec, s[68:69]
.LBB2_2039:                             ;   in Loop: Header=BB2_564 Depth=4
	s_or_b64 exec, exec, s[30:31]
	v_max_f32_e32 v8, v14, v14
	v_max_f32_e32 v9, v9, v9
	v_min_f32_e32 v9, v9, v8
.LBB2_2040:                             ;   in Loop: Header=BB2_564 Depth=4
	v_and_b32_sdwa v12, v9, s97 dst_sel:DWORD dst_unused:UNUSED_PAD src0_sel:BYTE_3 src1_sel:DWORD
	v_and_b32_e32 v24, 0x7f800000, v9
	v_mov_b32_e32 v25, v51
	v_and_b32_e32 v50, 0x7fffff, v9
	v_or_b32_e32 v14, 0x7b, v12
	v_cmp_ne_u64_e32 vcc, s[52:53], v[24:25]
	s_and_saveexec_b64 s[30:31], vcc
	s_xor_b64 s[68:69], exec, s[30:31]
	s_cbranch_execz .LBB2_2050
; %bb.2041:                             ;   in Loop: Header=BB2_564 Depth=4
	v_and_b32_e32 v24, 0x7fffffff, v9
	v_mov_b32_e32 v25, v51
	v_cmp_gt_u64_e32 vcc, s[54:55], v[24:25]
	s_and_saveexec_b64 s[70:71], vcc
	s_cbranch_execz .LBB2_2049
; %bb.2042:                             ;   in Loop: Header=BB2_564 Depth=4
	v_cmp_ne_u32_e32 vcc, 0, v9
	v_mov_b32_e32 v14, 0
	s_and_saveexec_b64 s[72:73], vcc
	s_cbranch_execz .LBB2_2048
; %bb.2043:                             ;   in Loop: Header=BB2_564 Depth=4
	v_bfe_u32 v8, v9, 23, 8
	v_cmp_eq_u32_e32 vcc, 0, v8
	v_add_u32_e32 v9, 0xffffff81, v8
	v_cmp_gt_u32_e64 s[30:31], s38, v8
	v_sub_u32_e32 v8, 0x71, v8
	v_mov_b32_e32 v15, 0xffffff82
	v_cndmask_b32_e64 v8, 0, v8, s[30:31]
	v_cndmask_b32_e32 v24, v9, v15, vcc
	v_mov_b32_e32 v9, 0x70
	v_cndmask_b32_e32 v25, v8, v9, vcc
	v_add_u32_e32 v8, 21, v25
	v_or_b32_e32 v14, 0x800000, v50
	v_lshlrev_b64 v[8:9], v8, -1
	v_cndmask_b32_e32 v50, v14, v50, vcc
	v_not_b32_e32 v9, v9
	v_not_b32_e32 v8, v8
	v_add_u32_e32 v14, 20, v25
	v_and_b32_e32 v9, 0, v9
	v_and_b32_e32 v8, v50, v8
	v_lshlrev_b64 v[14:15], v14, 1
	v_cmp_eq_u64_e32 vcc, v[8:9], v[14:15]
	v_lshrrev_b64 v[8:9], v25, v[50:51]
	v_lshrrev_b32_e32 v14, 23, v8
	v_add3_u32 v24, v25, v24, v14
	v_bfe_u32 v14, v8, 21, 1
	v_add_u32_e32 v14, -1, v14
	v_cndmask_b32_e32 v14, 0, v14, vcc
	v_add_u32_e32 v14, v14, v8
	v_and_b32_e32 v14, 0x1fffff, v14
	v_add_co_u32_e32 v8, vcc, v14, v8
	v_add_u32_e32 v15, 14, v24
	v_addc_co_u32_e32 v9, vcc, 0, v9, vcc
	v_cmp_ne_u32_e32 vcc, 0, v15
                                        ; implicit-def: $vgpr14
	s_and_saveexec_b64 s[30:31], vcc
	s_xor_b64 s[30:31], exec, s[30:31]
; %bb.2044:                             ;   in Loop: Header=BB2_564 Depth=4
	v_add_u32_e32 v14, 15, v24
	v_cmp_lt_u64_e32 vcc, s[56:57], v[8:9]
	v_cndmask_b32_e32 v14, v15, v14, vcc
	v_cndmask_b32_e64 v15, 0, 1, vcc
	v_lshrrev_b64 v[8:9], v15, v[8:9]
; %bb.2045:                             ;   in Loop: Header=BB2_564 Depth=4
	s_andn2_saveexec_b64 vcc, s[30:31]
; %bb.2046:                             ;   in Loop: Header=BB2_564 Depth=4
	v_bfe_u32 v14, v8, 23, 1
; %bb.2047:                             ;   in Loop: Header=BB2_564 Depth=4
	s_or_b64 exec, exec, vcc
	v_lshrrev_b64 v[8:9], 21, v[8:9]
	v_cmp_gt_i32_e32 vcc, 32, v14
	v_cndmask_b32_e32 v9, 0, v9, vcc
	v_cndmask_b32_e32 v8, 3, v8, vcc
	v_cmp_eq_u64_e64 s[30:31], 0, v[8:9]
	v_min_i32_e32 v9, 31, v14
	v_cmp_eq_u32_e32 vcc, 0, v14
	v_lshlrev_b32_e32 v9, 2, v9
	v_and_or_b32 v8, v8, 3, v9
	s_and_b64 vcc, vcc, s[30:31]
	v_cndmask_b32_e64 v8, v8, 0, vcc
	v_or_b32_e32 v14, v8, v12
.LBB2_2048:                             ;   in Loop: Header=BB2_564 Depth=4
	s_or_b64 exec, exec, s[72:73]
.LBB2_2049:                             ;   in Loop: Header=BB2_564 Depth=4
	s_or_b64 exec, exec, s[70:71]
                                        ; implicit-def: $vgpr9
.LBB2_2050:                             ;   in Loop: Header=BB2_564 Depth=4
	s_andn2_saveexec_b64 s[30:31], s[68:69]
; %bb.2051:                             ;   in Loop: Header=BB2_564 Depth=4
	v_or_b32_sdwa v8, v9, s39 dst_sel:DWORD dst_unused:UNUSED_PAD src0_sel:BYTE_3 src1_sel:DWORD
	v_cmp_eq_u64_e32 vcc, 0, v[50:51]
	v_cndmask_b32_e32 v14, v8, v14, vcc
; %bb.2052:                             ;   in Loop: Header=BB2_564 Depth=4
	s_or_b64 exec, exec, s[30:31]
	v_lshrrev_b32_e32 v12, 24, v29
	v_lshrrev_b32_e32 v8, 24, v11
	s_and_b64 vcc, exec, s[28:29]
	v_cmp_lt_u64_e64 s[28:29], s[42:43], v[28:29]
	s_cbranch_vccnz .LBB2_2070
; %bb.2053:                             ;   in Loop: Header=BB2_564 Depth=4
	v_mov_b32_e32 v15, 0
	v_mov_b32_e32 v9, 0
	s_and_saveexec_b64 s[30:31], s[28:29]
	s_cbranch_execz .LBB2_2061
; %bb.2054:                             ;   in Loop: Header=BB2_564 Depth=4
	v_cmp_ne_u32_e32 vcc, s97, v12
	v_bfrev_b32_e32 v9, 1
	s_and_saveexec_b64 s[68:69], vcc
	s_cbranch_execz .LBB2_2060
; %bb.2055:                             ;   in Loop: Header=BB2_564 Depth=4
	v_and_b32_e32 v9, 0x7c000000, v29
	v_bfe_u32 v24, v29, 24, 2
	v_cmp_ne_u32_e32 vcc, s37, v9
                                        ; implicit-def: $vgpr9
	s_and_saveexec_b64 s[70:71], vcc
	s_xor_b64 s[70:71], exec, s[70:71]
	s_cbranch_execz .LBB2_2057
; %bb.2056:                             ;   in Loop: Header=BB2_564 Depth=4
	v_ffbh_u32_e32 v25, v24
	v_bfe_u32 v9, v29, 26, 5
	v_min_u32_e32 v25, 32, v25
	v_subrev_u32_e32 v50, 29, v25
	v_sub_u32_e32 v25, 30, v25
	v_cmp_eq_u32_e32 vcc, 0, v9
	v_lshlrev_b64 v[46:47], v50, v[12:13]
	v_cndmask_b32_e32 v9, v9, v25, vcc
	v_bfrev_b32_e32 v25, 28
	v_and_b32_e32 v50, 3, v46
	v_lshl_add_u32 v9, v9, 23, v25
	v_cndmask_b32_e32 v24, v24, v50, vcc
	v_and_or_b32 v9, v29, s96, v9
	v_lshl_or_b32 v9, v24, 21, v9
                                        ; implicit-def: $vgpr24
.LBB2_2057:                             ;   in Loop: Header=BB2_564 Depth=4
	s_andn2_saveexec_b64 s[70:71], s[70:71]
; %bb.2058:                             ;   in Loop: Header=BB2_564 Depth=4
	v_cmp_lt_i64_e32 vcc, -1, v[28:29]
	v_mov_b32_e32 v9, 0xc7600000
	v_mov_b32_e32 v25, 0x47600000
	v_cndmask_b32_e32 v9, v9, v25, vcc
	v_cmp_eq_u32_e32 vcc, 0, v24
	v_mov_b32_e32 v24, 0x7f800001
	v_cndmask_b32_e32 v9, v24, v9, vcc
; %bb.2059:                             ;   in Loop: Header=BB2_564 Depth=4
	s_or_b64 exec, exec, s[70:71]
.LBB2_2060:                             ;   in Loop: Header=BB2_564 Depth=4
	s_or_b64 exec, exec, s[68:69]
.LBB2_2061:                             ;   in Loop: Header=BB2_564 Depth=4
	s_or_b64 exec, exec, s[30:31]
	v_cmp_lt_u64_e32 vcc, s[42:43], v[10:11]
	s_and_saveexec_b64 s[30:31], vcc
	s_cbranch_execz .LBB2_2069
; %bb.2062:                             ;   in Loop: Header=BB2_564 Depth=4
	v_cmp_ne_u32_e32 vcc, s97, v8
	v_bfrev_b32_e32 v15, 1
	s_and_saveexec_b64 s[68:69], vcc
	s_cbranch_execz .LBB2_2068
; %bb.2063:                             ;   in Loop: Header=BB2_564 Depth=4
	v_and_b32_e32 v15, 0x7c000000, v11
	v_bfe_u32 v24, v11, 24, 2
	v_cmp_ne_u32_e32 vcc, s37, v15
                                        ; implicit-def: $vgpr15
	s_and_saveexec_b64 s[70:71], vcc
	s_xor_b64 s[70:71], exec, s[70:71]
	s_cbranch_execz .LBB2_2065
; %bb.2064:                             ;   in Loop: Header=BB2_564 Depth=4
	v_ffbh_u32_e32 v25, v24
	v_bfe_u32 v15, v11, 26, 5
	v_min_u32_e32 v25, 32, v25
	v_subrev_u32_e32 v50, 29, v25
	v_sub_u32_e32 v25, 30, v25
	v_cmp_eq_u32_e32 vcc, 0, v15
	v_lshlrev_b64 v[46:47], v50, v[8:9]
	v_cndmask_b32_e32 v15, v15, v25, vcc
	v_bfrev_b32_e32 v25, 28
	v_and_b32_e32 v50, 3, v46
	v_lshl_add_u32 v15, v15, 23, v25
	v_cndmask_b32_e32 v24, v24, v50, vcc
	v_and_or_b32 v15, v11, s96, v15
	v_lshl_or_b32 v15, v24, 21, v15
                                        ; implicit-def: $vgpr24
.LBB2_2065:                             ;   in Loop: Header=BB2_564 Depth=4
	s_andn2_saveexec_b64 s[70:71], s[70:71]
; %bb.2066:                             ;   in Loop: Header=BB2_564 Depth=4
	v_cmp_lt_i64_e32 vcc, -1, v[10:11]
	v_mov_b32_e32 v15, 0xc7600000
	v_mov_b32_e32 v25, 0x47600000
	v_cndmask_b32_e32 v15, v15, v25, vcc
	v_cmp_eq_u32_e32 vcc, 0, v24
	v_mov_b32_e32 v24, 0x7f800001
	v_cndmask_b32_e32 v15, v24, v15, vcc
; %bb.2067:                             ;   in Loop: Header=BB2_564 Depth=4
	s_or_b64 exec, exec, s[70:71]
.LBB2_2068:                             ;   in Loop: Header=BB2_564 Depth=4
	s_or_b64 exec, exec, s[68:69]
.LBB2_2069:                             ;   in Loop: Header=BB2_564 Depth=4
	s_or_b64 exec, exec, s[30:31]
	v_max_f32_e32 v15, v15, v15
	v_max_f32_e32 v9, v9, v9
	;; [unrolled: 1-line block ×3, first 2 shown]
	s_branch .LBB2_2088
.LBB2_2070:                             ;   in Loop: Header=BB2_564 Depth=4
                                        ; implicit-def: $vgpr9
	s_cbranch_execz .LBB2_2088
; %bb.2071:                             ;   in Loop: Header=BB2_564 Depth=4
	v_mov_b32_e32 v15, 0
	v_mov_b32_e32 v9, 0
	s_and_saveexec_b64 s[30:31], s[28:29]
	s_cbranch_execz .LBB2_2079
; %bb.2072:                             ;   in Loop: Header=BB2_564 Depth=4
	v_cmp_ne_u32_e32 vcc, s97, v12
	v_bfrev_b32_e32 v9, 1
	s_and_saveexec_b64 s[28:29], vcc
	s_cbranch_execz .LBB2_2078
; %bb.2073:                             ;   in Loop: Header=BB2_564 Depth=4
	v_and_b32_e32 v9, 0x7c000000, v29
	v_bfe_u32 v24, v29, 24, 2
	v_cmp_ne_u32_e32 vcc, s37, v9
                                        ; implicit-def: $vgpr9
	s_and_saveexec_b64 s[68:69], vcc
	s_xor_b64 s[68:69], exec, s[68:69]
	s_cbranch_execz .LBB2_2075
; %bb.2074:                             ;   in Loop: Header=BB2_564 Depth=4
	v_ffbh_u32_e32 v25, v24
	v_min_u32_e32 v25, 32, v25
	v_subrev_u32_e32 v28, 29, v25
	v_bfe_u32 v9, v29, 26, 5
	v_lshlrev_b64 v[46:47], v28, v[12:13]
	v_sub_u32_e32 v12, 30, v25
	v_and_b32_e32 v25, 3, v46
	v_cmp_eq_u32_e32 vcc, 0, v9
	v_cndmask_b32_e32 v9, v9, v12, vcc
	v_cndmask_b32_e32 v12, v24, v25, vcc
	v_bfrev_b32_e32 v24, 28
	v_lshl_add_u32 v9, v9, 23, v24
	v_and_or_b32 v9, v29, s96, v9
	v_lshl_or_b32 v9, v12, 21, v9
                                        ; implicit-def: $vgpr24
                                        ; implicit-def: $vgpr28_vgpr29
.LBB2_2075:                             ;   in Loop: Header=BB2_564 Depth=4
	s_andn2_saveexec_b64 s[68:69], s[68:69]
; %bb.2076:                             ;   in Loop: Header=BB2_564 Depth=4
	v_cmp_lt_i64_e32 vcc, -1, v[28:29]
	v_mov_b32_e32 v9, 0xc7600000
	v_mov_b32_e32 v12, 0x47600000
	v_cndmask_b32_e32 v9, v9, v12, vcc
	v_cmp_eq_u32_e32 vcc, 0, v24
	v_mov_b32_e32 v12, 0x7f800001
	v_cndmask_b32_e32 v9, v12, v9, vcc
; %bb.2077:                             ;   in Loop: Header=BB2_564 Depth=4
	s_or_b64 exec, exec, s[68:69]
.LBB2_2078:                             ;   in Loop: Header=BB2_564 Depth=4
	s_or_b64 exec, exec, s[28:29]
.LBB2_2079:                             ;   in Loop: Header=BB2_564 Depth=4
	s_or_b64 exec, exec, s[30:31]
	v_cmp_lt_u64_e32 vcc, s[42:43], v[10:11]
	s_and_saveexec_b64 s[28:29], vcc
	s_cbranch_execz .LBB2_2087
; %bb.2080:                             ;   in Loop: Header=BB2_564 Depth=4
	v_cmp_ne_u32_e32 vcc, s97, v8
	v_bfrev_b32_e32 v15, 1
	s_and_saveexec_b64 s[30:31], vcc
	s_cbranch_execz .LBB2_2086
; %bb.2081:                             ;   in Loop: Header=BB2_564 Depth=4
	v_and_b32_e32 v15, 0x7c000000, v11
	v_bfe_u32 v12, v11, 24, 2
	v_cmp_ne_u32_e32 vcc, s37, v15
                                        ; implicit-def: $vgpr15
	s_and_saveexec_b64 s[68:69], vcc
	s_xor_b64 s[68:69], exec, s[68:69]
	s_cbranch_execz .LBB2_2083
; %bb.2082:                             ;   in Loop: Header=BB2_564 Depth=4
	v_ffbh_u32_e32 v15, v12
	v_min_u32_e32 v15, 32, v15
	v_subrev_u32_e32 v24, 29, v15
	v_bfe_u32 v10, v11, 26, 5
	v_lshlrev_b64 v[24:25], v24, v[8:9]
	v_sub_u32_e32 v8, 30, v15
	v_and_b32_e32 v15, 3, v24
	v_cmp_eq_u32_e32 vcc, 0, v10
	v_cndmask_b32_e32 v8, v10, v8, vcc
	v_cndmask_b32_e32 v10, v12, v15, vcc
	v_bfrev_b32_e32 v12, 28
	v_lshl_add_u32 v8, v8, 23, v12
	v_and_or_b32 v8, v11, s96, v8
	v_lshl_or_b32 v15, v10, 21, v8
                                        ; implicit-def: $vgpr12
                                        ; implicit-def: $vgpr10_vgpr11
.LBB2_2083:                             ;   in Loop: Header=BB2_564 Depth=4
	s_andn2_saveexec_b64 s[68:69], s[68:69]
; %bb.2084:                             ;   in Loop: Header=BB2_564 Depth=4
	v_cmp_lt_i64_e32 vcc, -1, v[10:11]
	v_mov_b32_e32 v8, 0xc7600000
	v_mov_b32_e32 v10, 0x47600000
	v_cndmask_b32_e32 v8, v8, v10, vcc
	v_cmp_eq_u32_e32 vcc, 0, v12
	v_mov_b32_e32 v10, 0x7f800001
	v_cndmask_b32_e32 v15, v10, v8, vcc
; %bb.2085:                             ;   in Loop: Header=BB2_564 Depth=4
	s_or_b64 exec, exec, s[68:69]
.LBB2_2086:                             ;   in Loop: Header=BB2_564 Depth=4
	s_or_b64 exec, exec, s[30:31]
.LBB2_2087:                             ;   in Loop: Header=BB2_564 Depth=4
	s_or_b64 exec, exec, s[28:29]
	v_max_f32_e32 v8, v15, v15
	v_max_f32_e32 v9, v9, v9
	v_min_f32_e32 v9, v9, v8
.LBB2_2088:                             ;   in Loop: Header=BB2_564 Depth=4
	v_and_b32_sdwa v10, v9, s97 dst_sel:DWORD dst_unused:UNUSED_PAD src0_sel:BYTE_3 src1_sel:DWORD
	v_and_b32_e32 v24, 0x7f800000, v9
	v_mov_b32_e32 v25, v51
	v_and_b32_e32 v50, 0x7fffff, v9
	v_or_b32_e32 v8, 0x7b, v10
	v_cmp_ne_u64_e32 vcc, s[52:53], v[24:25]
	s_and_saveexec_b64 s[28:29], vcc
	s_xor_b64 s[30:31], exec, s[28:29]
	s_cbranch_execz .LBB2_2098
; %bb.2089:                             ;   in Loop: Header=BB2_564 Depth=4
	v_and_b32_e32 v24, 0x7fffffff, v9
	v_mov_b32_e32 v25, v51
	v_cmp_gt_u64_e32 vcc, s[54:55], v[24:25]
	s_and_saveexec_b64 s[68:69], vcc
	s_cbranch_execz .LBB2_2097
; %bb.2090:                             ;   in Loop: Header=BB2_564 Depth=4
	v_cmp_ne_u32_e32 vcc, 0, v9
	v_mov_b32_e32 v8, 0
	s_and_saveexec_b64 s[70:71], vcc
	s_cbranch_execz .LBB2_2096
; %bb.2091:                             ;   in Loop: Header=BB2_564 Depth=4
	v_bfe_u32 v8, v9, 23, 8
	v_cmp_eq_u32_e32 vcc, 0, v8
	v_add_u32_e32 v9, 0xffffff81, v8
	v_cmp_gt_u32_e64 s[28:29], s38, v8
	v_sub_u32_e32 v8, 0x71, v8
	v_mov_b32_e32 v12, 0xffffff82
	v_cndmask_b32_e64 v8, 0, v8, s[28:29]
	v_cndmask_b32_e32 v12, v9, v12, vcc
	v_mov_b32_e32 v9, 0x70
	v_cndmask_b32_e32 v15, v8, v9, vcc
	v_add_u32_e32 v8, 21, v15
	v_or_b32_e32 v11, 0x800000, v50
	v_lshlrev_b64 v[8:9], v8, -1
	v_cndmask_b32_e32 v50, v11, v50, vcc
	v_not_b32_e32 v9, v9
	v_not_b32_e32 v8, v8
	v_add_u32_e32 v11, 20, v15
	v_and_b32_e32 v9, 0, v9
	v_and_b32_e32 v8, v50, v8
	v_lshlrev_b64 v[24:25], v11, 1
	v_cmp_eq_u64_e32 vcc, v[8:9], v[24:25]
	v_lshrrev_b64 v[8:9], v15, v[50:51]
	v_lshrrev_b32_e32 v11, 23, v8
	v_add3_u32 v15, v15, v12, v11
	v_bfe_u32 v11, v8, 21, 1
	v_add_u32_e32 v11, -1, v11
	v_cndmask_b32_e32 v11, 0, v11, vcc
	v_add_u32_e32 v11, v11, v8
	v_and_b32_e32 v11, 0x1fffff, v11
	v_add_co_u32_e32 v8, vcc, v11, v8
	v_add_u32_e32 v12, 14, v15
	v_addc_co_u32_e32 v9, vcc, 0, v9, vcc
	v_cmp_ne_u32_e32 vcc, 0, v12
                                        ; implicit-def: $vgpr11
	s_and_saveexec_b64 s[28:29], vcc
	s_xor_b64 s[28:29], exec, s[28:29]
; %bb.2092:                             ;   in Loop: Header=BB2_564 Depth=4
	v_add_u32_e32 v11, 15, v15
	v_cmp_lt_u64_e32 vcc, s[56:57], v[8:9]
	v_cndmask_b32_e32 v11, v12, v11, vcc
	v_cndmask_b32_e64 v12, 0, 1, vcc
	v_lshrrev_b64 v[8:9], v12, v[8:9]
; %bb.2093:                             ;   in Loop: Header=BB2_564 Depth=4
	s_andn2_saveexec_b64 s[28:29], s[28:29]
; %bb.2094:                             ;   in Loop: Header=BB2_564 Depth=4
	v_bfe_u32 v11, v8, 23, 1
; %bb.2095:                             ;   in Loop: Header=BB2_564 Depth=4
	s_or_b64 exec, exec, s[28:29]
	v_lshrrev_b64 v[8:9], 21, v[8:9]
	v_cmp_gt_i32_e32 vcc, 32, v11
	v_cndmask_b32_e32 v9, 0, v9, vcc
	v_cndmask_b32_e32 v8, 3, v8, vcc
	v_cmp_eq_u64_e64 s[28:29], 0, v[8:9]
	v_min_i32_e32 v9, 31, v11
	v_lshlrev_b32_e32 v9, 2, v9
	v_cmp_eq_u32_e32 vcc, 0, v11
	v_and_b32_e32 v9, 0xfc, v9
	v_and_or_b32 v8, v8, 3, v9
	s_and_b64 s[28:29], vcc, s[28:29]
	v_cndmask_b32_e64 v8, v8, 0, s[28:29]
	v_or_b32_e32 v8, v8, v10
.LBB2_2096:                             ;   in Loop: Header=BB2_564 Depth=4
	s_or_b64 exec, exec, s[70:71]
.LBB2_2097:                             ;   in Loop: Header=BB2_564 Depth=4
	s_or_b64 exec, exec, s[68:69]
                                        ; implicit-def: $vgpr9
.LBB2_2098:                             ;   in Loop: Header=BB2_564 Depth=4
	s_andn2_saveexec_b64 s[28:29], s[30:31]
	s_cbranch_execz .LBB2_563
; %bb.2099:                             ;   in Loop: Header=BB2_564 Depth=4
	v_or_b32_sdwa v9, v9, s39 dst_sel:DWORD dst_unused:UNUSED_PAD src0_sel:BYTE_3 src1_sel:DWORD
	v_cmp_eq_u64_e32 vcc, 0, v[50:51]
	v_cndmask_b32_e32 v8, v9, v8, vcc
	s_branch .LBB2_563
.LBB2_2100:                             ;   in Loop: Header=BB2_274 Depth=3
	s_or_b64 exec, exec, s[66:67]
.LBB2_2101:                             ;   in Loop: Header=BB2_274 Depth=3
	s_or_b64 exec, exec, s[34:35]
	v_lshlrev_b32_e32 v0, 8, v6
	v_cmp_ne_u32_e32 vcc, v30, v0
	s_and_saveexec_b64 s[66:67], vcc
	s_cbranch_execz .LBB2_2157
; %bb.2102:                             ;   in Loop: Header=BB2_274 Depth=3
	v_add_u32_e32 v3, v31, v3
	v_and_b32_e32 v3, 0xffffffc0, v3
	v_sub_u32_e32 v3, v31, v3
	v_lshlrev_b32_e32 v1, 6, v1
	v_sub_u32_e32 v1, v3, v1
	v_add_u32_e32 v1, v0, v1
	v_sub_u32_e32 v0, v30, v1
	v_cmp_lt_i32_e32 vcc, 0, v0
	s_and_b64 exec, exec, vcc
	s_cbranch_execz .LBB2_2157
; %bb.2103:                             ;   in Loop: Header=BB2_274 Depth=3
	s_trap 2
	ds_read_b128 v[8:11], v0
	v_add_u32_e32 v1, v1, v7
	ds_read_b64 v[6:7], v0
	v_ashrrev_i32_e32 v3, 31, v1
	s_bitcmp1_b32 s76, 0
	s_waitcnt lgkmcnt(0)
	v_add_co_u32_e32 v4, vcc, v8, v1
	v_addc_co_u32_e32 v5, vcc, v9, v3, vcc
	v_add_co_u32_e32 v8, vcc, v10, v1
	v_addc_co_u32_e32 v9, vcc, v11, v3, vcc
	v_add_co_u32_e32 v10, vcc, v6, v1
	v_addc_co_u32_e32 v11, vcc, v7, v3, vcc
	s_mov_b64 s[68:69], 0
	s_cselect_b64 s[70:71], -1, 0
	s_branch .LBB2_2105
.LBB2_2104:                             ;   in Loop: Header=BB2_2105 Depth=4
	s_or_b64 exec, exec, s[28:29]
	flat_store_byte v[10:11], v3 glc slc
	v_accvgpr_read_b32 v3, a36
	v_add_co_u32_e32 v4, vcc, v4, v3
	v_accvgpr_read_b32 v6, a37
	v_addc_co_u32_e32 v5, vcc, v5, v6, vcc
	v_add_co_u32_e32 v8, vcc, v8, v3
	v_accvgpr_read_b32 v1, a23
	v_addc_co_u32_e32 v9, vcc, v9, v6, vcc
	v_sub_u32_e32 v0, v0, v1
	v_cmp_gt_i32_e32 vcc, 1, v0
	s_or_b64 s[68:69], vcc, s[68:69]
	v_add_co_u32_e32 v10, vcc, v10, v3
	v_addc_co_u32_e32 v11, vcc, v11, v6, vcc
	s_andn2_b64 exec, exec, s[68:69]
	s_cbranch_execz .LBB2_2157
.LBB2_2105:                             ;   Parent Loop BB2_47 Depth=1
                                        ;     Parent Loop BB2_271 Depth=2
                                        ;       Parent Loop BB2_274 Depth=3
                                        ; =>      This Inner Loop Header: Depth=4
	flat_load_ubyte v6, v[4:5] glc slc
	flat_load_ubyte v1, v[8:9] glc slc
	v_mov_b32_e32 v3, -1
	v_mov_b32_e32 v7, 0x47600000
	s_and_b64 vcc, exec, s[70:71]
	s_waitcnt vmcnt(0) lgkmcnt(0)
	v_bfe_i32 v12, v6, 0, 8
	v_lshlrev_b32_e32 v13, 24, v1
	v_cmp_gt_i16_sdwa s[34:35], sext(v1), v3 src0_sel:BYTE_0 src1_sel:DWORD
	v_mov_b32_e32 v3, 0xc7600000
	v_cmp_ne_u16_e64 s[30:31], 0, v1
	v_and_b32_e32 v50, 0xffff, v1
	v_cmp_ne_u16_e64 s[28:29], s97, v1
	v_cndmask_b32_e64 v3, v3, v7, s[34:35]
	v_and_b32_e32 v7, 0xffff, v6
	v_cmp_ne_u16_e64 s[34:35], 0, v6
	v_and_b32_e32 v6, 0x80000000, v13
	s_cbranch_vccz .LBB2_2123
; %bb.2106:                             ;   in Loop: Header=BB2_2105 Depth=4
	v_mov_b32_e32 v14, 0
	v_mov_b32_e32 v13, 0
	s_and_saveexec_b64 s[72:73], s[34:35]
	s_cbranch_execz .LBB2_2114
; %bb.2107:                             ;   in Loop: Header=BB2_2105 Depth=4
	v_cmp_ne_u16_e32 vcc, s94, v12
	v_bfrev_b32_e32 v13, 1
	s_and_saveexec_b64 s[74:75], vcc
	s_cbranch_execz .LBB2_2113
; %bb.2108:                             ;   in Loop: Header=BB2_2105 Depth=4
	v_and_b32_e32 v13, 0x7c, v7
	v_and_b32_e32 v15, 3, v7
	v_cmp_ne_u32_e32 vcc, s95, v13
                                        ; implicit-def: $vgpr13
	s_and_saveexec_b64 s[46:47], vcc
	s_xor_b64 s[76:77], exec, s[46:47]
	s_cbranch_execz .LBB2_2110
; %bb.2109:                             ;   in Loop: Header=BB2_2105 Depth=4
	v_ffbh_u32_e32 v16, v15
	v_min_u32_e32 v20, 32, v16
	v_mov_b32_e32 v13, v51
	v_subrev_u32_e32 v16, 29, v20
	v_bfe_u32 v18, v7, 2, 5
	v_lshlrev_b64 v[16:17], v16, v[12:13]
	v_sub_u32_e32 v13, 30, v20
	v_and_b32_e32 v16, 3, v16
	v_cmp_eq_u32_e32 vcc, 0, v18
	v_cndmask_b32_e32 v13, v18, v13, vcc
	v_cndmask_b32_e32 v15, v15, v16, vcc
	v_bfrev_b32_e32 v16, 28
	v_bfe_i32 v19, v12, 0, 16
	v_lshl_add_u32 v13, v13, 23, v16
	v_and_or_b32 v13, v19, s96, v13
	v_lshl_or_b32 v13, v15, 21, v13
                                        ; implicit-def: $vgpr15
.LBB2_2110:                             ;   in Loop: Header=BB2_2105 Depth=4
	s_andn2_saveexec_b64 s[76:77], s[76:77]
; %bb.2111:                             ;   in Loop: Header=BB2_2105 Depth=4
	v_cmp_lt_i16_e32 vcc, -1, v12
	v_mov_b32_e32 v13, 0xc7600000
	v_mov_b32_e32 v16, 0x47600000
	v_cndmask_b32_e32 v13, v13, v16, vcc
	v_cmp_eq_u32_e32 vcc, 0, v15
	v_mov_b32_e32 v15, 0x7f800001
	v_cndmask_b32_e32 v13, v15, v13, vcc
; %bb.2112:                             ;   in Loop: Header=BB2_2105 Depth=4
	s_or_b64 exec, exec, s[76:77]
.LBB2_2113:                             ;   in Loop: Header=BB2_2105 Depth=4
	s_or_b64 exec, exec, s[74:75]
.LBB2_2114:                             ;   in Loop: Header=BB2_2105 Depth=4
	s_or_b64 exec, exec, s[72:73]
	s_and_saveexec_b64 s[72:73], s[30:31]
	s_cbranch_execz .LBB2_2122
; %bb.2115:                             ;   in Loop: Header=BB2_2105 Depth=4
	v_bfrev_b32_e32 v14, 1
	s_and_saveexec_b64 s[74:75], s[28:29]
	s_cbranch_execz .LBB2_2121
; %bb.2116:                             ;   in Loop: Header=BB2_2105 Depth=4
	v_mov_b32_e32 v14, 3
	v_and_b32_sdwa v15, sext(v1), v14 dst_sel:DWORD dst_unused:UNUSED_PAD src0_sel:BYTE_0 src1_sel:DWORD
	v_and_b32_sdwa v14, sext(v1), s95 dst_sel:DWORD dst_unused:UNUSED_PAD src0_sel:BYTE_0 src1_sel:DWORD
	v_cmp_ne_u32_e32 vcc, s95, v14
                                        ; implicit-def: $vgpr14
	s_and_saveexec_b64 s[46:47], vcc
	s_xor_b64 s[76:77], exec, s[46:47]
	s_cbranch_execz .LBB2_2118
; %bb.2117:                             ;   in Loop: Header=BB2_2105 Depth=4
	v_ffbh_u32_e32 v16, v15
	v_min_u32_e32 v18, 32, v16
	v_and_b32_sdwa v14, sext(v1), s93 dst_sel:DWORD dst_unused:UNUSED_PAD src0_sel:BYTE_0 src1_sel:DWORD
	v_subrev_u32_e32 v16, 29, v18
	v_bfe_u32 v14, v14, 2, 5
	v_lshlrev_b64 v[16:17], v16, v[50:51]
	v_and_b32_e32 v16, 3, v16
	v_cmp_eq_u32_e32 vcc, 0, v14
	v_sub_u32_e32 v17, 30, v18
	v_cndmask_b32_e32 v15, v15, v16, vcc
	v_cndmask_b32_e32 v14, v14, v17, vcc
	v_lshlrev_b32_e32 v15, 21, v15
	v_lshl_or_b32 v14, v14, 23, v15
	v_add_u32_e32 v14, 0x38000000, v14
	v_or_b32_e32 v14, v14, v6
                                        ; implicit-def: $vgpr15
.LBB2_2118:                             ;   in Loop: Header=BB2_2105 Depth=4
	s_andn2_saveexec_b64 s[76:77], s[76:77]
; %bb.2119:                             ;   in Loop: Header=BB2_2105 Depth=4
	v_cmp_eq_u32_e32 vcc, 0, v15
	v_mov_b32_e32 v14, 0x7f800001
	v_cndmask_b32_e32 v14, v14, v3, vcc
; %bb.2120:                             ;   in Loop: Header=BB2_2105 Depth=4
	s_or_b64 exec, exec, s[76:77]
.LBB2_2121:                             ;   in Loop: Header=BB2_2105 Depth=4
	s_or_b64 exec, exec, s[74:75]
.LBB2_2122:                             ;   in Loop: Header=BB2_2105 Depth=4
	s_or_b64 exec, exec, s[72:73]
	v_max_f32_e32 v14, v14, v14
	v_max_f32_e32 v13, v13, v13
	;; [unrolled: 1-line block ×3, first 2 shown]
	s_branch .LBB2_2141
.LBB2_2123:                             ;   in Loop: Header=BB2_2105 Depth=4
                                        ; implicit-def: $vgpr13
	s_cbranch_execz .LBB2_2141
; %bb.2124:                             ;   in Loop: Header=BB2_2105 Depth=4
	v_mov_b32_e32 v14, 0
	v_mov_b32_e32 v13, 0
	s_and_saveexec_b64 s[72:73], s[34:35]
	s_cbranch_execz .LBB2_2132
; %bb.2125:                             ;   in Loop: Header=BB2_2105 Depth=4
	v_cmp_ne_u16_e32 vcc, s94, v12
	v_bfrev_b32_e32 v13, 1
	s_and_saveexec_b64 s[34:35], vcc
	s_cbranch_execz .LBB2_2131
; %bb.2126:                             ;   in Loop: Header=BB2_2105 Depth=4
	v_and_b32_e32 v13, 0x7c, v7
	v_and_b32_e32 v15, 3, v7
	v_cmp_ne_u32_e32 vcc, s95, v13
                                        ; implicit-def: $vgpr13
	s_and_saveexec_b64 s[46:47], vcc
	s_xor_b64 s[74:75], exec, s[46:47]
	s_cbranch_execz .LBB2_2128
; %bb.2127:                             ;   in Loop: Header=BB2_2105 Depth=4
	v_ffbh_u32_e32 v17, v15
	v_min_u32_e32 v17, 32, v17
	v_mov_b32_e32 v13, v51
	v_subrev_u32_e32 v18, 29, v17
	v_bfe_u32 v7, v7, 2, 5
	v_bfe_i32 v16, v12, 0, 16
	v_lshlrev_b64 v[12:13], v18, v[12:13]
	v_sub_u32_e32 v13, 30, v17
	v_cmp_eq_u32_e32 vcc, 0, v7
	v_cndmask_b32_e32 v7, v7, v13, vcc
	v_bfrev_b32_e32 v13, 28
	v_and_b32_e32 v12, 3, v12
	v_lshl_add_u32 v7, v7, 23, v13
	v_cndmask_b32_e32 v12, v15, v12, vcc
	v_and_or_b32 v7, v16, s96, v7
	v_lshl_or_b32 v13, v12, 21, v7
                                        ; implicit-def: $vgpr15
                                        ; implicit-def: $vgpr12
.LBB2_2128:                             ;   in Loop: Header=BB2_2105 Depth=4
	s_andn2_saveexec_b64 s[74:75], s[74:75]
; %bb.2129:                             ;   in Loop: Header=BB2_2105 Depth=4
	v_cmp_lt_i16_e32 vcc, -1, v12
	v_mov_b32_e32 v7, 0xc7600000
	v_mov_b32_e32 v12, 0x47600000
	v_cndmask_b32_e32 v7, v7, v12, vcc
	v_cmp_eq_u32_e32 vcc, 0, v15
	v_mov_b32_e32 v12, 0x7f800001
	v_cndmask_b32_e32 v13, v12, v7, vcc
; %bb.2130:                             ;   in Loop: Header=BB2_2105 Depth=4
	s_or_b64 exec, exec, s[74:75]
.LBB2_2131:                             ;   in Loop: Header=BB2_2105 Depth=4
	s_or_b64 exec, exec, s[34:35]
.LBB2_2132:                             ;   in Loop: Header=BB2_2105 Depth=4
	s_or_b64 exec, exec, s[72:73]
	s_and_saveexec_b64 s[34:35], s[30:31]
	s_cbranch_execz .LBB2_2140
; %bb.2133:                             ;   in Loop: Header=BB2_2105 Depth=4
	v_bfrev_b32_e32 v14, 1
	s_and_saveexec_b64 s[30:31], s[28:29]
	s_cbranch_execz .LBB2_2139
; %bb.2134:                             ;   in Loop: Header=BB2_2105 Depth=4
	v_mov_b32_e32 v7, 3
	v_and_b32_sdwa v12, sext(v1), s95 dst_sel:DWORD dst_unused:UNUSED_PAD src0_sel:BYTE_0 src1_sel:DWORD
	v_and_b32_sdwa v7, sext(v1), v7 dst_sel:DWORD dst_unused:UNUSED_PAD src0_sel:BYTE_0 src1_sel:DWORD
	v_cmp_ne_u32_e32 vcc, s95, v12
                                        ; implicit-def: $vgpr14
	s_and_saveexec_b64 s[28:29], vcc
	s_xor_b64 s[28:29], exec, s[28:29]
	s_cbranch_execz .LBB2_2136
; %bb.2135:                             ;   in Loop: Header=BB2_2105 Depth=4
	v_ffbh_u32_e32 v3, v7
	v_min_u32_e32 v3, 32, v3
	v_and_b32_sdwa v1, sext(v1), s93 dst_sel:DWORD dst_unused:UNUSED_PAD src0_sel:BYTE_0 src1_sel:DWORD
	v_subrev_u32_e32 v12, 29, v3
	v_bfe_u32 v1, v1, 2, 5
	v_lshlrev_b64 v[14:15], v12, v[50:51]
	v_sub_u32_e32 v3, 30, v3
	v_and_b32_e32 v12, 3, v14
	v_cmp_eq_u32_e32 vcc, 0, v1
	v_cndmask_b32_e32 v1, v1, v3, vcc
	v_cndmask_b32_e32 v3, v7, v12, vcc
	v_lshlrev_b32_e32 v3, 21, v3
	v_lshl_or_b32 v1, v1, 23, v3
	v_add_u32_e32 v1, 0x38000000, v1
	v_or_b32_e32 v14, v1, v6
                                        ; implicit-def: $vgpr7
                                        ; implicit-def: $vgpr3
.LBB2_2136:                             ;   in Loop: Header=BB2_2105 Depth=4
	s_andn2_saveexec_b64 s[28:29], s[28:29]
; %bb.2137:                             ;   in Loop: Header=BB2_2105 Depth=4
	v_cmp_eq_u32_e32 vcc, 0, v7
	v_mov_b32_e32 v1, 0x7f800001
	v_cndmask_b32_e32 v14, v1, v3, vcc
; %bb.2138:                             ;   in Loop: Header=BB2_2105 Depth=4
	s_or_b64 exec, exec, s[28:29]
.LBB2_2139:                             ;   in Loop: Header=BB2_2105 Depth=4
	s_or_b64 exec, exec, s[30:31]
.LBB2_2140:                             ;   in Loop: Header=BB2_2105 Depth=4
	s_or_b64 exec, exec, s[34:35]
	v_max_f32_e32 v1, v14, v14
	v_max_f32_e32 v3, v13, v13
	v_min_f32_e32 v13, v3, v1
.LBB2_2141:                             ;   in Loop: Header=BB2_2105 Depth=4
	v_and_b32_sdwa v1, v13, s97 dst_sel:DWORD dst_unused:UNUSED_PAD src0_sel:BYTE_3 src1_sel:DWORD
	v_and_b32_e32 v6, 0x7f800000, v13
	v_mov_b32_e32 v7, v51
	v_and_b32_e32 v50, 0x7fffff, v13
	v_or_b32_e32 v3, 0x7b, v1
	v_cmp_ne_u64_e32 vcc, s[52:53], v[6:7]
	s_and_saveexec_b64 s[28:29], vcc
	s_xor_b64 s[30:31], exec, s[28:29]
	s_cbranch_execz .LBB2_2155
; %bb.2142:                             ;   in Loop: Header=BB2_2105 Depth=4
	v_and_b32_e32 v6, 0x7fffffff, v13
	v_mov_b32_e32 v7, v51
	v_cmp_gt_u64_e32 vcc, s[54:55], v[6:7]
	s_and_saveexec_b64 s[28:29], vcc
	s_xor_b64 s[34:35], exec, s[28:29]
	s_cbranch_execz .LBB2_2154
; %bb.2143:                             ;   in Loop: Header=BB2_2105 Depth=4
	v_cmp_ne_u32_e32 vcc, 0, v13
	v_mov_b32_e32 v3, 0
	s_and_saveexec_b64 s[72:73], vcc
	s_cbranch_execz .LBB2_2153
; %bb.2144:                             ;   in Loop: Header=BB2_2105 Depth=4
	v_bfe_u32 v3, v13, 23, 8
	v_sub_u32_e32 v7, 0x71, v3
	v_cmp_gt_u32_e32 vcc, s38, v3
	v_add_u32_e32 v6, 0xffffff81, v3
	v_cndmask_b32_e32 v7, 0, v7, vcc
	v_cmp_eq_u32_e32 vcc, 0, v3
	v_mov_b32_e32 v3, 0xffffff82
	v_cndmask_b32_e32 v3, v6, v3, vcc
	v_mov_b32_e32 v6, 0x70
	v_cndmask_b32_e32 v18, v7, v6, vcc
	v_add_u32_e32 v6, 21, v18
	v_or_b32_e32 v12, 0x800000, v50
	v_lshlrev_b64 v[6:7], v6, -1
	v_cndmask_b32_e32 v50, v12, v50, vcc
	v_not_b32_e32 v6, v6
	v_and_b32_e32 v12, v50, v6
	v_add_u32_e32 v6, 20, v18
	v_lshrrev_b64 v[16:17], v18, v[50:51]
	v_not_b32_e32 v7, v7
	v_lshlrev_b64 v[14:15], v6, 1
	v_lshrrev_b32_e32 v6, 23, v16
	v_and_b32_e32 v13, 0, v7
	v_add3_u32 v7, v18, v3, v6
	v_bfe_u32 v6, v16, 21, 1
	v_add_u32_e32 v6, -1, v6
	v_cmp_eq_u64_e32 vcc, v[12:13], v[14:15]
	v_cndmask_b32_e32 v6, 0, v6, vcc
	v_add_u32_e32 v6, v6, v16
	v_and_b32_e32 v6, 0x1fffff, v6
	v_add_co_u32_e32 v12, vcc, v6, v16
	v_add_u32_e32 v3, 14, v7
	v_addc_co_u32_e32 v13, vcc, 0, v17, vcc
	v_cmp_ne_u32_e32 vcc, 0, v3
                                        ; implicit-def: $vgpr6
	s_and_saveexec_b64 s[28:29], vcc
	s_xor_b64 s[28:29], exec, s[28:29]
; %bb.2145:                             ;   in Loop: Header=BB2_2105 Depth=4
	v_add_u32_e32 v6, 15, v7
	v_cmp_lt_u64_e32 vcc, s[56:57], v[12:13]
	v_cndmask_b32_e32 v6, v3, v6, vcc
	v_cndmask_b32_e64 v3, 0, 1, vcc
	v_lshrrev_b64 v[12:13], v3, v[12:13]
; %bb.2146:                             ;   in Loop: Header=BB2_2105 Depth=4
	s_andn2_saveexec_b64 s[28:29], s[28:29]
; %bb.2147:                             ;   in Loop: Header=BB2_2105 Depth=4
	v_bfe_u32 v6, v12, 23, 1
; %bb.2148:                             ;   in Loop: Header=BB2_2105 Depth=4
	s_or_b64 exec, exec, s[28:29]
	v_lshrrev_b64 v[12:13], 21, v[12:13]
	v_cmp_gt_i32_e32 vcc, 32, v6
	v_cndmask_b32_e32 v13, 0, v13, vcc
	v_cndmask_b32_e32 v12, 3, v12, vcc
	v_cmp_ne_u32_e32 vcc, 0, v6
	v_cmp_ne_u64_e64 s[28:29], 0, v[12:13]
	s_or_b64 s[28:29], vcc, s[28:29]
                                        ; implicit-def: $vgpr3
	s_and_saveexec_b64 vcc, s[28:29]
	s_xor_b64 s[28:29], exec, vcc
; %bb.2149:                             ;   in Loop: Header=BB2_2105 Depth=4
	v_min_i32_e32 v3, 31, v6
	v_lshl_or_b32 v1, v3, 2, v1
	v_and_or_b32 v3, v12, 3, v1
                                        ; implicit-def: $vgpr1
; %bb.2150:                             ;   in Loop: Header=BB2_2105 Depth=4
	s_andn2_saveexec_b64 s[28:29], s[28:29]
; %bb.2151:                             ;   in Loop: Header=BB2_2105 Depth=4
	v_mov_b32_e32 v3, v1
; %bb.2152:                             ;   in Loop: Header=BB2_2105 Depth=4
	s_or_b64 exec, exec, s[28:29]
.LBB2_2153:                             ;   in Loop: Header=BB2_2105 Depth=4
	s_or_b64 exec, exec, s[72:73]
.LBB2_2154:                             ;   in Loop: Header=BB2_2105 Depth=4
	s_andn2_saveexec_b64 s[28:29], s[34:35]
	s_or_b64 exec, exec, s[28:29]
                                        ; implicit-def: $vgpr13
.LBB2_2155:                             ;   in Loop: Header=BB2_2105 Depth=4
	s_andn2_saveexec_b64 s[28:29], s[30:31]
	s_cbranch_execz .LBB2_2104
; %bb.2156:                             ;   in Loop: Header=BB2_2105 Depth=4
	v_or_b32_sdwa v1, v13, s39 dst_sel:DWORD dst_unused:UNUSED_PAD src0_sel:BYTE_3 src1_sel:DWORD
	v_cmp_eq_u64_e32 vcc, 0, v[50:51]
	v_cndmask_b32_e32 v3, v1, v3, vcc
	s_branch .LBB2_2104
.LBB2_2157:                             ;   in Loop: Header=BB2_274 Depth=3
	s_or_b64 exec, exec, s[66:67]
	s_or_b64 exec, exec, s[64:65]
	s_and_saveexec_b64 s[28:29], s[10:11]
	s_cbranch_execz .LBB2_557
	s_branch .LBB2_2937
.LBB2_2158:                             ;   in Loop: Header=BB2_274 Depth=3
	s_or_b64 exec, exec, s[64:65]
	v_accvgpr_read_b32 v43, a7
	v_accvgpr_read_b32 v46, a58
	;; [unrolled: 1-line block ×7, first 2 shown]
.LBB2_2159:                             ;   in Loop: Header=BB2_274 Depth=3
	s_or_b64 exec, exec, s[34:35]
	v_lshlrev_b32_e32 v1, 11, v1
	v_cmp_ne_u32_e32 vcc, v56, v1
	s_mov_b64 s[28:29], 0
	v_mov_b32_e32 v7, 0
                                        ; implicit-def: $vgpr30
                                        ; implicit-def: $vgpr31
                                        ; implicit-def: $vgpr0
	s_and_saveexec_b64 s[34:35], vcc
	s_cbranch_execz .LBB2_2935
; %bb.2160:                             ;   in Loop: Header=BB2_274 Depth=3
	v_lshlrev_b32_e32 v0, 6, v40
	v_accvgpr_read_b32 v3, a40
	v_sub_u32_e32 v0, v3, v0
	v_sub_u32_e32 v4, v56, v1
	v_ashrrev_i32_e32 v3, 31, v0
	v_lshrrev_b32_e32 v3, 26, v3
	v_ashrrev_i32_e32 v6, 31, v4
	v_add_u32_e32 v3, v0, v3
	v_lshrrev_b32_e32 v6, 22, v6
	v_ashrrev_i32_e32 v5, 6, v3
	v_and_b32_e32 v3, 0xffffffc0, v3
	v_add_u32_e32 v6, v4, v6
	v_sub_u32_e32 v3, v0, v3
	v_ashrrev_i32_e32 v7, 10, v6
	v_and_b32_e32 v6, 0xfffffc00, v6
	v_lshlrev_b32_e32 v0, 4, v3
	v_sub_u32_e32 v23, v4, v6
	v_lshl_add_u32 v0, v5, 10, v0
	v_cmp_lt_i32_e64 s[28:29], 15, v23
	v_sub_u32_e32 v36, v4, v0
	v_addc_co_u32_e64 v4, vcc, 0, v7, s[28:29]
	v_sub_u32_e32 v22, v4, v5
	v_cmp_lt_i32_e32 vcc, 15, v36
	s_and_saveexec_b64 s[64:65], vcc
	s_cbranch_execz .LBB2_2932
; %bb.2161:                             ;   in Loop: Header=BB2_274 Depth=3
	s_trap 2
	ds_read_b128 v[8:11], v0
	v_add_u32_e32 v0, v0, v1
	ds_read_b64 v[12:13], v0
	v_ashrrev_i32_e32 v7, 31, v0
	s_bitcmp1_b32 s76, 0
	s_waitcnt lgkmcnt(0)
	v_add_co_u32_e32 v4, vcc, v8, v0
	v_addc_co_u32_e32 v5, vcc, v9, v7, vcc
	v_add_co_u32_e32 v16, vcc, v10, v0
	v_addc_co_u32_e32 v17, vcc, v11, v7, vcc
	;; [unrolled: 2-line block ×3, first 2 shown]
	s_mov_b64 s[66:67], 0
	s_cselect_b64 s[68:69], -1, 0
	s_branch .LBB2_2163
.LBB2_2162:                             ;   in Loop: Header=BB2_2163 Depth=4
	s_or_b64 exec, exec, s[30:31]
	v_lshlrev_b32_e32 v9, 16, v21
	v_lshlrev_b32_e32 v10, 8, v20
	v_perm_b32 v9, v26, v9, s81
	v_perm_b32 v10, v10, v53, s9
	v_or_b32_e32 v11, v9, v10
	v_and_b32_e32 v9, 0xff, v39
	v_lshlrev_b32_e32 v12, 8, v38
	v_lshlrev_b32_e32 v10, 24, v52
	;; [unrolled: 1-line block ×3, first 2 shown]
	v_perm_b32 v12, v12, v37, s9
	v_or3_b32 v10, v10, v9, v12
	v_and_b32_e32 v9, 0xff, v30
	v_lshlrev_b32_e32 v7, 8, v7
	v_lshlrev_b32_e32 v0, 24, v0
	;; [unrolled: 1-line block ×3, first 2 shown]
	v_perm_b32 v7, v7, v27, s9
	v_or3_b32 v12, v0, v9, v7
	v_lshlrev_b32_e32 v0, 8, v13
	v_lshlrev_b32_e32 v7, 16, v14
	v_perm_b32 v0, v0, v31, s9
	v_perm_b32 v7, v8, v7, s81
	v_or_b32_e32 v13, v7, v0
	v_accvgpr_read_b32 v0, a42
	v_add_co_u32_e32 v4, vcc, v4, v0
	v_accvgpr_read_b32 v7, a43
	v_addc_co_u32_e32 v5, vcc, v5, v7, vcc
	v_add_co_u32_e32 v16, vcc, v16, v0
	v_addc_co_u32_e32 v17, vcc, v17, v7, vcc
	global_store_dwordx4 v[18:19], v[10:13], off glc slc
	v_add_co_u32_e32 v18, vcc, v18, v0
	v_accvgpr_read_b32 v0, a28
	v_addc_co_u32_e32 v19, vcc, v19, v7, vcc
	v_sub_u32_e32 v36, v36, v0
	v_cmp_gt_i32_e32 vcc, 16, v36
	s_or_b64 s[66:67], vcc, s[66:67]
	v_sub_u32_e32 v22, v22, v44
	s_andn2_b64 exec, exec, s[66:67]
	s_cbranch_execz .LBB2_2931
.LBB2_2163:                             ;   Parent Loop BB2_47 Depth=1
                                        ;     Parent Loop BB2_271 Depth=2
                                        ;       Parent Loop BB2_274 Depth=3
                                        ; =>      This Inner Loop Header: Depth=4
	global_load_dwordx4 v[26:29], v[4:5], off glc slc
	global_load_dwordx4 v[8:11], v[16:17], off glc slc
	s_and_b64 vcc, exec, s[68:69]
	s_waitcnt vmcnt(0)
	v_cmp_ne_u16_sdwa s[30:31], v26, v51 src0_sel:BYTE_0 src1_sel:DWORD
	s_cbranch_vccz .LBB2_2181
; %bb.2164:                             ;   in Loop: Header=BB2_2163 Depth=4
	v_mov_b32_e32 v7, 0
	v_mov_b32_e32 v0, 0
	s_and_saveexec_b64 s[70:71], s[30:31]
	s_cbranch_execz .LBB2_2172
; %bb.2165:                             ;   in Loop: Header=BB2_2163 Depth=4
	v_cmp_ne_u16_sdwa vcc, sext(v26), s94 src0_sel:BYTE_0 src1_sel:DWORD
	v_bfrev_b32_e32 v0, 1
	s_and_saveexec_b64 s[72:73], vcc
	s_cbranch_execz .LBB2_2171
; %bb.2166:                             ;   in Loop: Header=BB2_2163 Depth=4
	v_and_b32_e32 v0, 0x7c, v26
	v_and_b32_e32 v12, 3, v26
	v_cmp_ne_u32_e32 vcc, s95, v0
                                        ; implicit-def: $vgpr0
	s_and_saveexec_b64 s[74:75], vcc
	s_xor_b64 s[74:75], exec, s[74:75]
	s_cbranch_execz .LBB2_2168
; %bb.2167:                             ;   in Loop: Header=BB2_2163 Depth=4
	v_ffbh_u32_e32 v13, v12
	v_min_u32_e32 v13, 32, v13
	v_subrev_u32_e32 v14, 29, v13
	v_bfe_u32 v0, v26, 2, 5
	v_lshlrev_b64 v[14:15], v14, v[26:27]
	v_sub_u32_e32 v13, 30, v13
	v_and_b32_e32 v14, 3, v14
	v_cmp_eq_u32_e32 vcc, 0, v0
	v_cndmask_b32_e32 v0, v0, v13, vcc
	v_cndmask_b32_e32 v12, v12, v14, vcc
	v_bfrev_b32_e32 v14, 28
	v_lshlrev_b32_e32 v13, 24, v26
	v_lshl_add_u32 v0, v0, 23, v14
	v_and_or_b32 v0, v13, s96, v0
	v_lshl_or_b32 v0, v12, 21, v0
                                        ; implicit-def: $vgpr12
.LBB2_2168:                             ;   in Loop: Header=BB2_2163 Depth=4
	s_andn2_saveexec_b64 s[74:75], s[74:75]
; %bb.2169:                             ;   in Loop: Header=BB2_2163 Depth=4
	v_mov_b32_e32 v0, -1
	v_cmp_gt_i16_sdwa vcc, sext(v26), v0 src0_sel:BYTE_0 src1_sel:DWORD
	v_mov_b32_e32 v0, 0xc7600000
	v_mov_b32_e32 v13, 0x47600000
	v_cndmask_b32_e32 v0, v0, v13, vcc
	v_cmp_eq_u32_e32 vcc, 0, v12
	v_mov_b32_e32 v12, 0x7f800001
	v_cndmask_b32_e32 v0, v12, v0, vcc
; %bb.2170:                             ;   in Loop: Header=BB2_2163 Depth=4
	s_or_b64 exec, exec, s[74:75]
.LBB2_2171:                             ;   in Loop: Header=BB2_2163 Depth=4
	s_or_b64 exec, exec, s[72:73]
.LBB2_2172:                             ;   in Loop: Header=BB2_2163 Depth=4
	s_or_b64 exec, exec, s[70:71]
	v_cmp_ne_u16_sdwa vcc, sext(v8), v51 src0_sel:BYTE_0 src1_sel:DWORD
	s_and_saveexec_b64 s[70:71], vcc
	s_cbranch_execz .LBB2_2180
; %bb.2173:                             ;   in Loop: Header=BB2_2163 Depth=4
	v_cmp_ne_u16_sdwa vcc, sext(v8), s94 src0_sel:BYTE_0 src1_sel:DWORD
	v_bfrev_b32_e32 v7, 1
	s_and_saveexec_b64 s[72:73], vcc
	s_cbranch_execz .LBB2_2179
; %bb.2174:                             ;   in Loop: Header=BB2_2163 Depth=4
	v_and_b32_e32 v7, 0x7c, v8
	v_and_b32_e32 v12, 3, v8
	v_cmp_ne_u32_e32 vcc, s95, v7
                                        ; implicit-def: $vgpr7
	s_and_saveexec_b64 s[74:75], vcc
	s_xor_b64 s[74:75], exec, s[74:75]
	s_cbranch_execz .LBB2_2176
; %bb.2175:                             ;   in Loop: Header=BB2_2163 Depth=4
	v_ffbh_u32_e32 v13, v12
	v_min_u32_e32 v13, 32, v13
	v_subrev_u32_e32 v14, 29, v13
	v_bfe_u32 v7, v8, 2, 5
	v_lshlrev_b64 v[14:15], v14, v[8:9]
	v_sub_u32_e32 v13, 30, v13
	v_and_b32_e32 v14, 3, v14
	v_cmp_eq_u32_e32 vcc, 0, v7
	v_cndmask_b32_e32 v7, v7, v13, vcc
	v_cndmask_b32_e32 v12, v12, v14, vcc
	v_bfrev_b32_e32 v14, 28
	v_lshlrev_b32_e32 v13, 24, v8
	v_lshl_add_u32 v7, v7, 23, v14
	v_and_or_b32 v7, v13, s96, v7
	v_lshl_or_b32 v7, v12, 21, v7
                                        ; implicit-def: $vgpr12
.LBB2_2176:                             ;   in Loop: Header=BB2_2163 Depth=4
	s_andn2_saveexec_b64 s[74:75], s[74:75]
; %bb.2177:                             ;   in Loop: Header=BB2_2163 Depth=4
	v_mov_b32_e32 v7, -1
	v_cmp_gt_i16_sdwa vcc, sext(v8), v7 src0_sel:BYTE_0 src1_sel:DWORD
	v_mov_b32_e32 v7, 0xc7600000
	v_mov_b32_e32 v13, 0x47600000
	v_cndmask_b32_e32 v7, v7, v13, vcc
	v_cmp_eq_u32_e32 vcc, 0, v12
	v_mov_b32_e32 v12, 0x7f800001
	v_cndmask_b32_e32 v7, v12, v7, vcc
; %bb.2178:                             ;   in Loop: Header=BB2_2163 Depth=4
	s_or_b64 exec, exec, s[74:75]
.LBB2_2179:                             ;   in Loop: Header=BB2_2163 Depth=4
	s_or_b64 exec, exec, s[72:73]
.LBB2_2180:                             ;   in Loop: Header=BB2_2163 Depth=4
	s_or_b64 exec, exec, s[70:71]
	v_max_f32_e32 v7, v7, v7
	v_max_f32_e32 v0, v0, v0
	;; [unrolled: 1-line block ×3, first 2 shown]
	s_branch .LBB2_2199
.LBB2_2181:                             ;   in Loop: Header=BB2_2163 Depth=4
                                        ; implicit-def: $vgpr7
	s_cbranch_execz .LBB2_2199
; %bb.2182:                             ;   in Loop: Header=BB2_2163 Depth=4
	v_mov_b32_e32 v7, 0
	v_mov_b32_e32 v0, 0
	s_and_saveexec_b64 s[70:71], s[30:31]
	s_cbranch_execz .LBB2_2190
; %bb.2183:                             ;   in Loop: Header=BB2_2163 Depth=4
	v_cmp_ne_u16_sdwa vcc, sext(v26), s94 src0_sel:BYTE_0 src1_sel:DWORD
	v_bfrev_b32_e32 v0, 1
	s_and_saveexec_b64 s[30:31], vcc
	s_cbranch_execz .LBB2_2189
; %bb.2184:                             ;   in Loop: Header=BB2_2163 Depth=4
	v_and_b32_e32 v0, 0x7c, v26
	v_and_b32_e32 v12, 3, v26
	v_cmp_ne_u32_e32 vcc, s95, v0
                                        ; implicit-def: $vgpr0
	s_and_saveexec_b64 s[72:73], vcc
	s_xor_b64 s[72:73], exec, s[72:73]
	s_cbranch_execz .LBB2_2186
; %bb.2185:                             ;   in Loop: Header=BB2_2163 Depth=4
	v_ffbh_u32_e32 v13, v12
	v_min_u32_e32 v13, 32, v13
	v_subrev_u32_e32 v14, 29, v13
	v_bfe_u32 v0, v26, 2, 5
	v_lshlrev_b64 v[14:15], v14, v[26:27]
	v_sub_u32_e32 v13, 30, v13
	v_and_b32_e32 v14, 3, v14
	v_cmp_eq_u32_e32 vcc, 0, v0
	v_cndmask_b32_e32 v0, v0, v13, vcc
	v_cndmask_b32_e32 v12, v12, v14, vcc
	v_bfrev_b32_e32 v14, 28
	v_lshlrev_b32_e32 v13, 24, v26
	v_lshl_add_u32 v0, v0, 23, v14
	v_and_or_b32 v0, v13, s96, v0
	v_lshl_or_b32 v0, v12, 21, v0
                                        ; implicit-def: $vgpr12
.LBB2_2186:                             ;   in Loop: Header=BB2_2163 Depth=4
	s_andn2_saveexec_b64 s[72:73], s[72:73]
; %bb.2187:                             ;   in Loop: Header=BB2_2163 Depth=4
	v_mov_b32_e32 v0, -1
	v_cmp_gt_i16_sdwa vcc, sext(v26), v0 src0_sel:BYTE_0 src1_sel:DWORD
	v_mov_b32_e32 v0, 0xc7600000
	v_mov_b32_e32 v13, 0x47600000
	v_cndmask_b32_e32 v0, v0, v13, vcc
	v_cmp_eq_u32_e32 vcc, 0, v12
	v_mov_b32_e32 v12, 0x7f800001
	v_cndmask_b32_e32 v0, v12, v0, vcc
; %bb.2188:                             ;   in Loop: Header=BB2_2163 Depth=4
	s_or_b64 exec, exec, s[72:73]
.LBB2_2189:                             ;   in Loop: Header=BB2_2163 Depth=4
	s_or_b64 exec, exec, s[30:31]
.LBB2_2190:                             ;   in Loop: Header=BB2_2163 Depth=4
	s_or_b64 exec, exec, s[70:71]
	v_cmp_ne_u16_sdwa vcc, sext(v8), v51 src0_sel:BYTE_0 src1_sel:DWORD
	s_and_saveexec_b64 s[30:31], vcc
	s_cbranch_execz .LBB2_2198
; %bb.2191:                             ;   in Loop: Header=BB2_2163 Depth=4
	v_cmp_ne_u16_sdwa vcc, sext(v8), s94 src0_sel:BYTE_0 src1_sel:DWORD
	v_bfrev_b32_e32 v7, 1
	s_and_saveexec_b64 s[70:71], vcc
	s_cbranch_execz .LBB2_2197
; %bb.2192:                             ;   in Loop: Header=BB2_2163 Depth=4
	v_and_b32_e32 v7, 0x7c, v8
	v_and_b32_e32 v12, 3, v8
	v_cmp_ne_u32_e32 vcc, s95, v7
                                        ; implicit-def: $vgpr7
	s_and_saveexec_b64 s[72:73], vcc
	s_xor_b64 s[72:73], exec, s[72:73]
	s_cbranch_execz .LBB2_2194
; %bb.2193:                             ;   in Loop: Header=BB2_2163 Depth=4
	v_ffbh_u32_e32 v13, v12
	v_min_u32_e32 v13, 32, v13
	v_subrev_u32_e32 v14, 29, v13
	v_bfe_u32 v7, v8, 2, 5
	v_lshlrev_b64 v[14:15], v14, v[8:9]
	v_sub_u32_e32 v13, 30, v13
	v_and_b32_e32 v14, 3, v14
	v_cmp_eq_u32_e32 vcc, 0, v7
	v_cndmask_b32_e32 v7, v7, v13, vcc
	v_cndmask_b32_e32 v12, v12, v14, vcc
	v_bfrev_b32_e32 v14, 28
	v_lshlrev_b32_e32 v13, 24, v8
	v_lshl_add_u32 v7, v7, 23, v14
	v_and_or_b32 v7, v13, s96, v7
	v_lshl_or_b32 v7, v12, 21, v7
                                        ; implicit-def: $vgpr12
.LBB2_2194:                             ;   in Loop: Header=BB2_2163 Depth=4
	s_andn2_saveexec_b64 s[72:73], s[72:73]
; %bb.2195:                             ;   in Loop: Header=BB2_2163 Depth=4
	v_mov_b32_e32 v7, -1
	v_cmp_gt_i16_sdwa vcc, sext(v8), v7 src0_sel:BYTE_0 src1_sel:DWORD
	v_mov_b32_e32 v7, 0xc7600000
	v_mov_b32_e32 v13, 0x47600000
	v_cndmask_b32_e32 v7, v7, v13, vcc
	v_cmp_eq_u32_e32 vcc, 0, v12
	v_mov_b32_e32 v12, 0x7f800001
	v_cndmask_b32_e32 v7, v12, v7, vcc
; %bb.2196:                             ;   in Loop: Header=BB2_2163 Depth=4
	s_or_b64 exec, exec, s[72:73]
.LBB2_2197:                             ;   in Loop: Header=BB2_2163 Depth=4
	s_or_b64 exec, exec, s[70:71]
.LBB2_2198:                             ;   in Loop: Header=BB2_2163 Depth=4
	s_or_b64 exec, exec, s[30:31]
	v_max_f32_e32 v7, v7, v7
	v_max_f32_e32 v0, v0, v0
	v_min_f32_e32 v7, v0, v7
.LBB2_2199:                             ;   in Loop: Header=BB2_2163 Depth=4
	v_and_b32_sdwa v0, v7, s97 dst_sel:DWORD dst_unused:UNUSED_PAD src0_sel:BYTE_3 src1_sel:DWORD
	v_and_b32_e32 v12, 0x7f800000, v7
	v_mov_b32_e32 v13, v51
	v_and_b32_e32 v50, 0x7fffff, v7
	v_or_b32_e32 v37, 0x7b, v0
	v_cmp_ne_u64_e32 vcc, s[52:53], v[12:13]
	s_and_saveexec_b64 s[30:31], vcc
	s_xor_b64 s[70:71], exec, s[30:31]
	s_cbranch_execz .LBB2_2209
; %bb.2200:                             ;   in Loop: Header=BB2_2163 Depth=4
	v_and_b32_e32 v12, 0x7fffffff, v7
	v_mov_b32_e32 v13, v51
	v_cmp_gt_u64_e32 vcc, s[54:55], v[12:13]
	s_and_saveexec_b64 s[72:73], vcc
	s_cbranch_execz .LBB2_2208
; %bb.2201:                             ;   in Loop: Header=BB2_2163 Depth=4
	v_cmp_ne_u32_e32 vcc, 0, v7
	v_mov_b32_e32 v37, 0
	s_and_saveexec_b64 s[74:75], vcc
	s_cbranch_execz .LBB2_2207
; %bb.2202:                             ;   in Loop: Header=BB2_2163 Depth=4
	v_bfe_u32 v7, v7, 23, 8
	v_sub_u32_e32 v13, 0x71, v7
	v_cmp_gt_u32_e32 vcc, s38, v7
	v_add_u32_e32 v12, 0xffffff81, v7
	v_cndmask_b32_e32 v13, 0, v13, vcc
	v_cmp_eq_u32_e32 vcc, 0, v7
	v_mov_b32_e32 v7, 0xffffff82
	v_cndmask_b32_e32 v7, v12, v7, vcc
	v_mov_b32_e32 v12, 0x70
	v_or_b32_e32 v14, 0x800000, v50
	v_cndmask_b32_e32 v15, v13, v12, vcc
	v_cndmask_b32_e32 v50, v14, v50, vcc
	v_add_u32_e32 v12, 21, v15
	v_lshlrev_b64 v[12:13], v12, -1
	v_add_u32_e32 v14, 20, v15
	v_lshrrev_b64 v[24:25], v15, v[50:51]
	v_not_b32_e32 v13, v13
	v_not_b32_e32 v12, v12
	v_lshlrev_b64 v[20:21], v14, 1
	v_lshrrev_b32_e32 v14, 23, v24
	v_and_b32_e32 v13, 0, v13
	v_and_b32_e32 v12, v50, v12
	v_add3_u32 v15, v15, v7, v14
	v_bfe_u32 v7, v24, 21, 1
	v_add_u32_e32 v7, -1, v7
	v_cmp_eq_u64_e32 vcc, v[12:13], v[20:21]
	v_cndmask_b32_e32 v7, 0, v7, vcc
	v_add_u32_e32 v7, v7, v24
	v_and_b32_e32 v7, 0x1fffff, v7
	v_add_co_u32_e32 v12, vcc, v7, v24
	v_add_u32_e32 v14, 14, v15
	v_addc_co_u32_e32 v13, vcc, 0, v25, vcc
	v_cmp_ne_u32_e32 vcc, 0, v14
                                        ; implicit-def: $vgpr7
	s_and_saveexec_b64 s[30:31], vcc
	s_xor_b64 s[30:31], exec, s[30:31]
; %bb.2203:                             ;   in Loop: Header=BB2_2163 Depth=4
	v_add_u32_e32 v7, 15, v15
	v_cmp_lt_u64_e32 vcc, s[56:57], v[12:13]
	v_cndmask_b32_e32 v7, v14, v7, vcc
	v_cndmask_b32_e64 v14, 0, 1, vcc
	v_lshrrev_b64 v[12:13], v14, v[12:13]
; %bb.2204:                             ;   in Loop: Header=BB2_2163 Depth=4
	s_andn2_saveexec_b64 vcc, s[30:31]
; %bb.2205:                             ;   in Loop: Header=BB2_2163 Depth=4
	v_bfe_u32 v7, v12, 23, 1
; %bb.2206:                             ;   in Loop: Header=BB2_2163 Depth=4
	s_or_b64 exec, exec, vcc
	v_lshrrev_b64 v[12:13], 21, v[12:13]
	v_cmp_gt_i32_e32 vcc, 32, v7
	v_cndmask_b32_e32 v13, 0, v13, vcc
	v_cndmask_b32_e32 v12, 3, v12, vcc
	v_cmp_eq_u32_e32 vcc, 0, v7
	v_min_i32_e32 v7, 31, v7
	v_cmp_eq_u64_e64 s[30:31], 0, v[12:13]
	v_lshlrev_b32_e32 v7, 2, v7
	v_and_or_b32 v7, v12, 3, v7
	s_and_b64 vcc, vcc, s[30:31]
	v_cndmask_b32_e64 v7, v7, 0, vcc
	v_or_b32_e32 v37, v7, v0
.LBB2_2207:                             ;   in Loop: Header=BB2_2163 Depth=4
	s_or_b64 exec, exec, s[74:75]
.LBB2_2208:                             ;   in Loop: Header=BB2_2163 Depth=4
	s_or_b64 exec, exec, s[72:73]
                                        ; implicit-def: $vgpr7
.LBB2_2209:                             ;   in Loop: Header=BB2_2163 Depth=4
	s_andn2_saveexec_b64 s[30:31], s[70:71]
; %bb.2210:                             ;   in Loop: Header=BB2_2163 Depth=4
	v_or_b32_sdwa v0, v7, s39 dst_sel:DWORD dst_unused:UNUSED_PAD src0_sel:BYTE_3 src1_sel:DWORD
	v_cmp_eq_u64_e32 vcc, 0, v[50:51]
	v_cndmask_b32_e32 v37, v0, v37, vcc
; %bb.2211:                             ;   in Loop: Header=BB2_2163 Depth=4
	s_or_b64 exec, exec, s[30:31]
	v_lshrrev_b16_e32 v50, 8, v26
	v_lshrrev_b16_e32 v12, 8, v8
	v_cmp_ne_u16_e64 s[30:31], 0, v50
	s_and_b64 vcc, exec, s[68:69]
	s_cbranch_vccz .LBB2_2229
; %bb.2212:                             ;   in Loop: Header=BB2_2163 Depth=4
	v_mov_b32_e32 v7, 0
	v_mov_b32_e32 v0, 0
	s_and_saveexec_b64 s[70:71], s[30:31]
	s_cbranch_execz .LBB2_2220
; %bb.2213:                             ;   in Loop: Header=BB2_2163 Depth=4
	v_cmp_ne_u16_e32 vcc, s97, v50
	v_bfrev_b32_e32 v0, 1
	s_and_saveexec_b64 s[72:73], vcc
	s_cbranch_execz .LBB2_2219
; %bb.2214:                             ;   in Loop: Header=BB2_2163 Depth=4
	v_and_b32_e32 v0, 0x7c, v50
	v_and_b32_e32 v13, 3, v50
	v_cmp_ne_u32_e32 vcc, s95, v0
                                        ; implicit-def: $vgpr0
	s_and_saveexec_b64 s[74:75], vcc
	s_xor_b64 s[74:75], exec, s[74:75]
	s_cbranch_execz .LBB2_2216
; %bb.2215:                             ;   in Loop: Header=BB2_2163 Depth=4
	v_ffbh_u32_e32 v14, v13
	v_min_u32_e32 v20, 32, v14
	v_subrev_u32_e32 v14, 29, v20
	v_bfe_u32 v0, v50, 2, 5
	v_lshlrev_b64 v[14:15], v14, v[50:51]
	v_sub_u32_e32 v15, 30, v20
	v_cmp_eq_u32_e32 vcc, 0, v0
	v_and_b32_e32 v14, 3, v14
	v_cndmask_b32_e32 v0, v0, v15, vcc
	v_bfrev_b32_e32 v15, 28
	v_cndmask_b32_e32 v13, v13, v14, vcc
	v_lshlrev_b32_e32 v14, 16, v26
	v_lshl_add_u32 v0, v0, 23, v15
	v_and_or_b32 v0, v14, s96, v0
	v_lshl_or_b32 v0, v13, 21, v0
                                        ; implicit-def: $vgpr13
.LBB2_2216:                             ;   in Loop: Header=BB2_2163 Depth=4
	s_andn2_saveexec_b64 s[74:75], s[74:75]
; %bb.2217:                             ;   in Loop: Header=BB2_2163 Depth=4
	v_cmp_lt_i16_e32 vcc, -1, v26
	v_mov_b32_e32 v0, 0xc7600000
	v_mov_b32_e32 v14, 0x47600000
	v_cndmask_b32_e32 v0, v0, v14, vcc
	v_cmp_eq_u32_e32 vcc, 0, v13
	v_mov_b32_e32 v13, 0x7f800001
	v_cndmask_b32_e32 v0, v13, v0, vcc
; %bb.2218:                             ;   in Loop: Header=BB2_2163 Depth=4
	s_or_b64 exec, exec, s[74:75]
.LBB2_2219:                             ;   in Loop: Header=BB2_2163 Depth=4
	s_or_b64 exec, exec, s[72:73]
.LBB2_2220:                             ;   in Loop: Header=BB2_2163 Depth=4
	s_or_b64 exec, exec, s[70:71]
	v_cmp_ne_u16_e32 vcc, 0, v12
	s_and_saveexec_b64 s[70:71], vcc
	s_cbranch_execz .LBB2_2228
; %bb.2221:                             ;   in Loop: Header=BB2_2163 Depth=4
	v_cmp_ne_u16_e32 vcc, s97, v12
	v_bfrev_b32_e32 v7, 1
	s_and_saveexec_b64 s[72:73], vcc
	s_cbranch_execz .LBB2_2227
; %bb.2222:                             ;   in Loop: Header=BB2_2163 Depth=4
	v_and_b32_e32 v7, 0x7c, v12
	v_and_b32_e32 v14, 3, v12
	v_cmp_ne_u32_e32 vcc, s95, v7
                                        ; implicit-def: $vgpr7
	s_and_saveexec_b64 s[74:75], vcc
	s_xor_b64 s[74:75], exec, s[74:75]
	s_cbranch_execz .LBB2_2224
; %bb.2223:                             ;   in Loop: Header=BB2_2163 Depth=4
	v_ffbh_u32_e32 v15, v14
	v_min_u32_e32 v15, 32, v15
	v_mov_b32_e32 v13, v51
	v_subrev_u32_e32 v20, 29, v15
	v_bfe_u32 v7, v12, 2, 5
	v_lshlrev_b64 v[20:21], v20, v[12:13]
	v_sub_u32_e32 v13, 30, v15
	v_and_b32_e32 v15, 3, v20
	v_cmp_eq_u32_e32 vcc, 0, v7
	v_cndmask_b32_e32 v7, v7, v13, vcc
	v_cndmask_b32_e32 v13, v14, v15, vcc
	v_bfrev_b32_e32 v15, 28
	v_lshlrev_b32_e32 v14, 16, v8
	v_lshl_add_u32 v7, v7, 23, v15
	v_and_or_b32 v7, v14, s96, v7
	v_lshl_or_b32 v7, v13, 21, v7
                                        ; implicit-def: $vgpr14
.LBB2_2224:                             ;   in Loop: Header=BB2_2163 Depth=4
	s_andn2_saveexec_b64 s[74:75], s[74:75]
; %bb.2225:                             ;   in Loop: Header=BB2_2163 Depth=4
	v_cmp_lt_i16_e32 vcc, -1, v8
	v_mov_b32_e32 v7, 0xc7600000
	v_mov_b32_e32 v13, 0x47600000
	v_cndmask_b32_e32 v7, v7, v13, vcc
	v_cmp_eq_u32_e32 vcc, 0, v14
	v_mov_b32_e32 v13, 0x7f800001
	v_cndmask_b32_e32 v7, v13, v7, vcc
; %bb.2226:                             ;   in Loop: Header=BB2_2163 Depth=4
	s_or_b64 exec, exec, s[74:75]
.LBB2_2227:                             ;   in Loop: Header=BB2_2163 Depth=4
	s_or_b64 exec, exec, s[72:73]
.LBB2_2228:                             ;   in Loop: Header=BB2_2163 Depth=4
	s_or_b64 exec, exec, s[70:71]
	v_max_f32_e32 v7, v7, v7
	v_max_f32_e32 v0, v0, v0
	;; [unrolled: 1-line block ×3, first 2 shown]
	s_branch .LBB2_2247
.LBB2_2229:                             ;   in Loop: Header=BB2_2163 Depth=4
                                        ; implicit-def: $vgpr7
	s_cbranch_execz .LBB2_2247
; %bb.2230:                             ;   in Loop: Header=BB2_2163 Depth=4
	v_mov_b32_e32 v7, 0
	v_mov_b32_e32 v0, 0
	s_and_saveexec_b64 s[70:71], s[30:31]
	s_cbranch_execz .LBB2_2238
; %bb.2231:                             ;   in Loop: Header=BB2_2163 Depth=4
	v_cmp_ne_u16_e32 vcc, s97, v50
	v_bfrev_b32_e32 v0, 1
	s_and_saveexec_b64 s[30:31], vcc
	s_cbranch_execz .LBB2_2237
; %bb.2232:                             ;   in Loop: Header=BB2_2163 Depth=4
	v_and_b32_e32 v0, 0x7c, v50
	v_and_b32_e32 v13, 3, v50
	v_cmp_ne_u32_e32 vcc, s95, v0
                                        ; implicit-def: $vgpr0
	s_and_saveexec_b64 s[72:73], vcc
	s_xor_b64 s[72:73], exec, s[72:73]
	s_cbranch_execz .LBB2_2234
; %bb.2233:                             ;   in Loop: Header=BB2_2163 Depth=4
	v_ffbh_u32_e32 v14, v13
	v_min_u32_e32 v20, 32, v14
	v_subrev_u32_e32 v14, 29, v20
	v_bfe_u32 v0, v50, 2, 5
	v_lshlrev_b64 v[14:15], v14, v[50:51]
	v_sub_u32_e32 v15, 30, v20
	v_cmp_eq_u32_e32 vcc, 0, v0
	v_and_b32_e32 v14, 3, v14
	v_cndmask_b32_e32 v0, v0, v15, vcc
	v_bfrev_b32_e32 v15, 28
	v_cndmask_b32_e32 v13, v13, v14, vcc
	v_lshlrev_b32_e32 v14, 16, v26
	v_lshl_add_u32 v0, v0, 23, v15
	v_and_or_b32 v0, v14, s96, v0
	v_lshl_or_b32 v0, v13, 21, v0
                                        ; implicit-def: $vgpr13
.LBB2_2234:                             ;   in Loop: Header=BB2_2163 Depth=4
	s_andn2_saveexec_b64 s[72:73], s[72:73]
; %bb.2235:                             ;   in Loop: Header=BB2_2163 Depth=4
	v_cmp_lt_i16_e32 vcc, -1, v26
	v_mov_b32_e32 v0, 0xc7600000
	v_mov_b32_e32 v14, 0x47600000
	v_cndmask_b32_e32 v0, v0, v14, vcc
	v_cmp_eq_u32_e32 vcc, 0, v13
	v_mov_b32_e32 v13, 0x7f800001
	v_cndmask_b32_e32 v0, v13, v0, vcc
; %bb.2236:                             ;   in Loop: Header=BB2_2163 Depth=4
	s_or_b64 exec, exec, s[72:73]
.LBB2_2237:                             ;   in Loop: Header=BB2_2163 Depth=4
	s_or_b64 exec, exec, s[30:31]
.LBB2_2238:                             ;   in Loop: Header=BB2_2163 Depth=4
	s_or_b64 exec, exec, s[70:71]
	v_cmp_ne_u16_e32 vcc, 0, v12
	s_and_saveexec_b64 s[30:31], vcc
	s_cbranch_execz .LBB2_2246
; %bb.2239:                             ;   in Loop: Header=BB2_2163 Depth=4
	v_cmp_ne_u16_e32 vcc, s97, v12
	v_bfrev_b32_e32 v7, 1
	s_and_saveexec_b64 s[70:71], vcc
	s_cbranch_execz .LBB2_2245
; %bb.2240:                             ;   in Loop: Header=BB2_2163 Depth=4
	v_and_b32_e32 v7, 0x7c, v12
	v_and_b32_e32 v14, 3, v12
	v_cmp_ne_u32_e32 vcc, s95, v7
                                        ; implicit-def: $vgpr7
	s_and_saveexec_b64 s[72:73], vcc
	s_xor_b64 s[72:73], exec, s[72:73]
	s_cbranch_execz .LBB2_2242
; %bb.2241:                             ;   in Loop: Header=BB2_2163 Depth=4
	v_ffbh_u32_e32 v15, v14
	v_min_u32_e32 v15, 32, v15
	v_mov_b32_e32 v13, v51
	v_subrev_u32_e32 v20, 29, v15
	v_bfe_u32 v7, v12, 2, 5
	v_lshlrev_b64 v[12:13], v20, v[12:13]
	v_sub_u32_e32 v13, 30, v15
	v_and_b32_e32 v12, 3, v12
	v_cmp_eq_u32_e32 vcc, 0, v7
	v_cndmask_b32_e32 v7, v7, v13, vcc
	v_cndmask_b32_e32 v12, v14, v12, vcc
	v_bfrev_b32_e32 v14, 28
	v_lshlrev_b32_e32 v13, 16, v8
	v_lshl_add_u32 v7, v7, 23, v14
	v_and_or_b32 v7, v13, s96, v7
	v_lshl_or_b32 v7, v12, 21, v7
                                        ; implicit-def: $vgpr14
.LBB2_2242:                             ;   in Loop: Header=BB2_2163 Depth=4
	s_andn2_saveexec_b64 s[72:73], s[72:73]
; %bb.2243:                             ;   in Loop: Header=BB2_2163 Depth=4
	v_cmp_lt_i16_e32 vcc, -1, v8
	v_mov_b32_e32 v7, 0xc7600000
	v_mov_b32_e32 v12, 0x47600000
	v_cndmask_b32_e32 v7, v7, v12, vcc
	v_cmp_eq_u32_e32 vcc, 0, v14
	v_mov_b32_e32 v12, 0x7f800001
	v_cndmask_b32_e32 v7, v12, v7, vcc
; %bb.2244:                             ;   in Loop: Header=BB2_2163 Depth=4
	s_or_b64 exec, exec, s[72:73]
.LBB2_2245:                             ;   in Loop: Header=BB2_2163 Depth=4
	s_or_b64 exec, exec, s[70:71]
.LBB2_2246:                             ;   in Loop: Header=BB2_2163 Depth=4
	s_or_b64 exec, exec, s[30:31]
	v_max_f32_e32 v7, v7, v7
	v_max_f32_e32 v0, v0, v0
	v_min_f32_e32 v7, v0, v7
.LBB2_2247:                             ;   in Loop: Header=BB2_2163 Depth=4
	v_and_b32_sdwa v0, v7, s97 dst_sel:DWORD dst_unused:UNUSED_PAD src0_sel:BYTE_3 src1_sel:DWORD
	v_and_b32_e32 v12, 0x7f800000, v7
	v_mov_b32_e32 v13, v51
	v_and_b32_e32 v50, 0x7fffff, v7
	v_or_b32_e32 v38, 0x7b, v0
	v_cmp_ne_u64_e32 vcc, s[52:53], v[12:13]
	s_and_saveexec_b64 s[30:31], vcc
	s_xor_b64 s[70:71], exec, s[30:31]
	s_cbranch_execz .LBB2_2257
; %bb.2248:                             ;   in Loop: Header=BB2_2163 Depth=4
	v_and_b32_e32 v12, 0x7fffffff, v7
	v_mov_b32_e32 v13, v51
	v_cmp_gt_u64_e32 vcc, s[54:55], v[12:13]
	s_and_saveexec_b64 s[72:73], vcc
	s_cbranch_execz .LBB2_2256
; %bb.2249:                             ;   in Loop: Header=BB2_2163 Depth=4
	v_cmp_ne_u32_e32 vcc, 0, v7
	v_mov_b32_e32 v38, 0
	s_and_saveexec_b64 s[74:75], vcc
	s_cbranch_execz .LBB2_2255
; %bb.2250:                             ;   in Loop: Header=BB2_2163 Depth=4
	v_bfe_u32 v7, v7, 23, 8
	v_sub_u32_e32 v13, 0x71, v7
	v_cmp_gt_u32_e32 vcc, s38, v7
	v_add_u32_e32 v12, 0xffffff81, v7
	v_cndmask_b32_e32 v13, 0, v13, vcc
	v_cmp_eq_u32_e32 vcc, 0, v7
	v_mov_b32_e32 v7, 0xffffff82
	v_cndmask_b32_e32 v7, v12, v7, vcc
	v_mov_b32_e32 v12, 0x70
	v_or_b32_e32 v14, 0x800000, v50
	v_cndmask_b32_e32 v15, v13, v12, vcc
	v_cndmask_b32_e32 v50, v14, v50, vcc
	v_add_u32_e32 v12, 21, v15
	v_lshlrev_b64 v[12:13], v12, -1
	v_add_u32_e32 v14, 20, v15
	v_lshrrev_b64 v[24:25], v15, v[50:51]
	v_not_b32_e32 v13, v13
	v_not_b32_e32 v12, v12
	v_lshlrev_b64 v[20:21], v14, 1
	v_lshrrev_b32_e32 v14, 23, v24
	v_and_b32_e32 v13, 0, v13
	v_and_b32_e32 v12, v50, v12
	v_add3_u32 v15, v15, v7, v14
	v_bfe_u32 v7, v24, 21, 1
	v_add_u32_e32 v7, -1, v7
	v_cmp_eq_u64_e32 vcc, v[12:13], v[20:21]
	v_cndmask_b32_e32 v7, 0, v7, vcc
	v_add_u32_e32 v7, v7, v24
	v_and_b32_e32 v7, 0x1fffff, v7
	v_add_co_u32_e32 v12, vcc, v7, v24
	v_add_u32_e32 v14, 14, v15
	v_addc_co_u32_e32 v13, vcc, 0, v25, vcc
	v_cmp_ne_u32_e32 vcc, 0, v14
                                        ; implicit-def: $vgpr7
	s_and_saveexec_b64 s[30:31], vcc
	s_xor_b64 s[30:31], exec, s[30:31]
; %bb.2251:                             ;   in Loop: Header=BB2_2163 Depth=4
	v_add_u32_e32 v7, 15, v15
	v_cmp_lt_u64_e32 vcc, s[56:57], v[12:13]
	v_cndmask_b32_e32 v7, v14, v7, vcc
	v_cndmask_b32_e64 v14, 0, 1, vcc
	v_lshrrev_b64 v[12:13], v14, v[12:13]
; %bb.2252:                             ;   in Loop: Header=BB2_2163 Depth=4
	s_andn2_saveexec_b64 vcc, s[30:31]
; %bb.2253:                             ;   in Loop: Header=BB2_2163 Depth=4
	v_bfe_u32 v7, v12, 23, 1
; %bb.2254:                             ;   in Loop: Header=BB2_2163 Depth=4
	s_or_b64 exec, exec, vcc
	v_lshrrev_b64 v[12:13], 21, v[12:13]
	v_cmp_gt_i32_e32 vcc, 32, v7
	v_cndmask_b32_e32 v13, 0, v13, vcc
	v_cndmask_b32_e32 v12, 3, v12, vcc
	v_cmp_eq_u32_e32 vcc, 0, v7
	v_min_i32_e32 v7, 31, v7
	v_cmp_eq_u64_e64 s[30:31], 0, v[12:13]
	v_lshlrev_b32_e32 v7, 2, v7
	v_and_or_b32 v7, v12, 3, v7
	s_and_b64 vcc, vcc, s[30:31]
	v_cndmask_b32_e64 v7, v7, 0, vcc
	v_or_b32_e32 v38, v7, v0
.LBB2_2255:                             ;   in Loop: Header=BB2_2163 Depth=4
	s_or_b64 exec, exec, s[74:75]
.LBB2_2256:                             ;   in Loop: Header=BB2_2163 Depth=4
	s_or_b64 exec, exec, s[72:73]
                                        ; implicit-def: $vgpr7
.LBB2_2257:                             ;   in Loop: Header=BB2_2163 Depth=4
	s_andn2_saveexec_b64 s[30:31], s[70:71]
; %bb.2258:                             ;   in Loop: Header=BB2_2163 Depth=4
	v_or_b32_sdwa v0, v7, s39 dst_sel:DWORD dst_unused:UNUSED_PAD src0_sel:BYTE_3 src1_sel:DWORD
	v_cmp_eq_u64_e32 vcc, 0, v[50:51]
	v_cndmask_b32_e32 v38, v0, v38, vcc
; %bb.2259:                             ;   in Loop: Header=BB2_2163 Depth=4
	s_or_b64 exec, exec, s[30:31]
	v_lshrrev_b32_e32 v14, 16, v26
	v_lshrrev_b32_e32 v12, 16, v8
	v_cmp_ne_u16_sdwa s[30:31], v14, v51 src0_sel:BYTE_0 src1_sel:DWORD
	s_and_b64 vcc, exec, s[68:69]
	s_cbranch_vccz .LBB2_2277
; %bb.2260:                             ;   in Loop: Header=BB2_2163 Depth=4
	v_mov_b32_e32 v7, 0
	v_mov_b32_e32 v0, 0
	s_and_saveexec_b64 s[70:71], s[30:31]
	s_cbranch_execz .LBB2_2268
; %bb.2261:                             ;   in Loop: Header=BB2_2163 Depth=4
	v_cmp_ne_u16_sdwa vcc, v14, s97 src0_sel:BYTE_0 src1_sel:DWORD
	v_bfrev_b32_e32 v0, 1
	s_and_saveexec_b64 s[72:73], vcc
	s_cbranch_execz .LBB2_2267
; %bb.2262:                             ;   in Loop: Header=BB2_2163 Depth=4
	v_and_b32_e32 v0, 0x7c0000, v26
	v_bfe_u32 v13, v26, 16, 2
	v_cmp_ne_u32_e32 vcc, s36, v0
                                        ; implicit-def: $vgpr0
	s_and_saveexec_b64 s[74:75], vcc
	s_xor_b64 s[74:75], exec, s[74:75]
	s_cbranch_execz .LBB2_2264
; %bb.2263:                             ;   in Loop: Header=BB2_2163 Depth=4
	v_ffbh_u32_e32 v15, v13
	v_min_u32_e32 v15, 32, v15
	v_subrev_u32_e32 v20, 29, v15
	v_bfe_u32 v0, v26, 18, 5
	v_lshlrev_b64 v[20:21], v20, v[14:15]
	v_sub_u32_e32 v15, 30, v15
	v_and_b32_e32 v20, 3, v20
	v_cmp_eq_u32_e32 vcc, 0, v0
	v_cndmask_b32_e32 v0, v0, v15, vcc
	v_cndmask_b32_e32 v13, v13, v20, vcc
	v_bfrev_b32_e32 v20, 28
	v_lshlrev_b32_e32 v15, 24, v14
	v_lshl_add_u32 v0, v0, 23, v20
	v_and_or_b32 v0, v15, s96, v0
	v_lshl_or_b32 v0, v13, 21, v0
                                        ; implicit-def: $vgpr13
.LBB2_2264:                             ;   in Loop: Header=BB2_2163 Depth=4
	s_andn2_saveexec_b64 s[74:75], s[74:75]
; %bb.2265:                             ;   in Loop: Header=BB2_2163 Depth=4
	v_mov_b32_e32 v0, -1
	v_cmp_gt_i16_sdwa vcc, sext(v14), v0 src0_sel:BYTE_0 src1_sel:DWORD
	v_mov_b32_e32 v0, 0xc7600000
	v_mov_b32_e32 v15, 0x47600000
	v_cndmask_b32_e32 v0, v0, v15, vcc
	v_cmp_eq_u32_e32 vcc, 0, v13
	v_mov_b32_e32 v13, 0x7f800001
	v_cndmask_b32_e32 v0, v13, v0, vcc
; %bb.2266:                             ;   in Loop: Header=BB2_2163 Depth=4
	s_or_b64 exec, exec, s[74:75]
.LBB2_2267:                             ;   in Loop: Header=BB2_2163 Depth=4
	s_or_b64 exec, exec, s[72:73]
.LBB2_2268:                             ;   in Loop: Header=BB2_2163 Depth=4
	s_or_b64 exec, exec, s[70:71]
	v_cmp_ne_u16_sdwa vcc, v12, v51 src0_sel:BYTE_0 src1_sel:DWORD
	s_and_saveexec_b64 s[70:71], vcc
	s_cbranch_execz .LBB2_2276
; %bb.2269:                             ;   in Loop: Header=BB2_2163 Depth=4
	v_cmp_ne_u16_sdwa vcc, v12, s97 src0_sel:BYTE_0 src1_sel:DWORD
	v_bfrev_b32_e32 v7, 1
	s_and_saveexec_b64 s[72:73], vcc
	s_cbranch_execz .LBB2_2275
; %bb.2270:                             ;   in Loop: Header=BB2_2163 Depth=4
	v_and_b32_e32 v7, 0x7c0000, v8
	v_bfe_u32 v13, v8, 16, 2
	v_cmp_ne_u32_e32 vcc, s36, v7
                                        ; implicit-def: $vgpr7
	s_and_saveexec_b64 s[74:75], vcc
	s_xor_b64 s[74:75], exec, s[74:75]
	s_cbranch_execz .LBB2_2272
; %bb.2271:                             ;   in Loop: Header=BB2_2163 Depth=4
	v_ffbh_u32_e32 v15, v13
	v_min_u32_e32 v15, 32, v15
	v_subrev_u32_e32 v20, 29, v15
	v_bfe_u32 v7, v8, 18, 5
	v_lshlrev_b64 v[20:21], v20, v[12:13]
	v_sub_u32_e32 v15, 30, v15
	v_and_b32_e32 v20, 3, v20
	v_cmp_eq_u32_e32 vcc, 0, v7
	v_cndmask_b32_e32 v7, v7, v15, vcc
	v_cndmask_b32_e32 v13, v13, v20, vcc
	v_bfrev_b32_e32 v20, 28
	v_lshlrev_b32_e32 v15, 24, v12
	v_lshl_add_u32 v7, v7, 23, v20
	v_and_or_b32 v7, v15, s96, v7
	v_lshl_or_b32 v7, v13, 21, v7
                                        ; implicit-def: $vgpr13
.LBB2_2272:                             ;   in Loop: Header=BB2_2163 Depth=4
	s_andn2_saveexec_b64 s[74:75], s[74:75]
; %bb.2273:                             ;   in Loop: Header=BB2_2163 Depth=4
	v_mov_b32_e32 v7, -1
	v_cmp_gt_i16_sdwa vcc, sext(v12), v7 src0_sel:BYTE_0 src1_sel:DWORD
	v_mov_b32_e32 v7, 0xc7600000
	v_mov_b32_e32 v15, 0x47600000
	v_cndmask_b32_e32 v7, v7, v15, vcc
	v_cmp_eq_u32_e32 vcc, 0, v13
	v_mov_b32_e32 v13, 0x7f800001
	v_cndmask_b32_e32 v7, v13, v7, vcc
; %bb.2274:                             ;   in Loop: Header=BB2_2163 Depth=4
	s_or_b64 exec, exec, s[74:75]
.LBB2_2275:                             ;   in Loop: Header=BB2_2163 Depth=4
	s_or_b64 exec, exec, s[72:73]
.LBB2_2276:                             ;   in Loop: Header=BB2_2163 Depth=4
	s_or_b64 exec, exec, s[70:71]
	v_max_f32_e32 v7, v7, v7
	v_max_f32_e32 v0, v0, v0
	;; [unrolled: 1-line block ×3, first 2 shown]
	s_branch .LBB2_2295
.LBB2_2277:                             ;   in Loop: Header=BB2_2163 Depth=4
                                        ; implicit-def: $vgpr7
	s_cbranch_execz .LBB2_2295
; %bb.2278:                             ;   in Loop: Header=BB2_2163 Depth=4
	v_mov_b32_e32 v7, 0
	v_mov_b32_e32 v0, 0
	s_and_saveexec_b64 s[70:71], s[30:31]
	s_cbranch_execz .LBB2_2286
; %bb.2279:                             ;   in Loop: Header=BB2_2163 Depth=4
	v_cmp_ne_u16_sdwa vcc, v14, s97 src0_sel:BYTE_0 src1_sel:DWORD
	v_bfrev_b32_e32 v0, 1
	s_and_saveexec_b64 s[30:31], vcc
	s_cbranch_execz .LBB2_2285
; %bb.2280:                             ;   in Loop: Header=BB2_2163 Depth=4
	v_and_b32_e32 v0, 0x7c0000, v26
	v_bfe_u32 v13, v26, 16, 2
	v_cmp_ne_u32_e32 vcc, s36, v0
                                        ; implicit-def: $vgpr0
	s_and_saveexec_b64 s[72:73], vcc
	s_xor_b64 s[72:73], exec, s[72:73]
	s_cbranch_execz .LBB2_2282
; %bb.2281:                             ;   in Loop: Header=BB2_2163 Depth=4
	v_ffbh_u32_e32 v15, v13
	v_min_u32_e32 v15, 32, v15
	v_bfe_u32 v0, v26, 18, 5
	v_subrev_u32_e32 v20, 29, v15
	v_lshlrev_b64 v[20:21], v20, v[14:15]
	v_sub_u32_e32 v15, 30, v15
	v_cmp_eq_u32_e32 vcc, 0, v0
	v_cndmask_b32_e32 v0, v0, v15, vcc
	v_bfrev_b32_e32 v15, 28
	v_and_b32_e32 v20, 3, v20
	v_lshlrev_b32_e32 v14, 24, v14
	v_lshl_add_u32 v0, v0, 23, v15
	v_cndmask_b32_e32 v13, v13, v20, vcc
	v_and_or_b32 v0, v14, s96, v0
	v_lshl_or_b32 v0, v13, 21, v0
                                        ; implicit-def: $vgpr13
                                        ; implicit-def: $vgpr14
.LBB2_2282:                             ;   in Loop: Header=BB2_2163 Depth=4
	s_andn2_saveexec_b64 s[72:73], s[72:73]
; %bb.2283:                             ;   in Loop: Header=BB2_2163 Depth=4
	v_mov_b32_e32 v0, -1
	v_cmp_gt_i16_sdwa vcc, sext(v14), v0 src0_sel:BYTE_0 src1_sel:DWORD
	v_mov_b32_e32 v0, 0xc7600000
	v_mov_b32_e32 v14, 0x47600000
	v_cndmask_b32_e32 v0, v0, v14, vcc
	v_cmp_eq_u32_e32 vcc, 0, v13
	v_mov_b32_e32 v13, 0x7f800001
	v_cndmask_b32_e32 v0, v13, v0, vcc
; %bb.2284:                             ;   in Loop: Header=BB2_2163 Depth=4
	s_or_b64 exec, exec, s[72:73]
.LBB2_2285:                             ;   in Loop: Header=BB2_2163 Depth=4
	s_or_b64 exec, exec, s[30:31]
.LBB2_2286:                             ;   in Loop: Header=BB2_2163 Depth=4
	s_or_b64 exec, exec, s[70:71]
	v_cmp_ne_u16_sdwa vcc, v12, v51 src0_sel:BYTE_0 src1_sel:DWORD
	s_and_saveexec_b64 s[30:31], vcc
	s_cbranch_execz .LBB2_2294
; %bb.2287:                             ;   in Loop: Header=BB2_2163 Depth=4
	v_cmp_ne_u16_sdwa vcc, v12, s97 src0_sel:BYTE_0 src1_sel:DWORD
	v_bfrev_b32_e32 v7, 1
	s_and_saveexec_b64 s[70:71], vcc
	s_cbranch_execz .LBB2_2293
; %bb.2288:                             ;   in Loop: Header=BB2_2163 Depth=4
	v_and_b32_e32 v7, 0x7c0000, v8
	v_bfe_u32 v13, v8, 16, 2
	v_cmp_ne_u32_e32 vcc, s36, v7
                                        ; implicit-def: $vgpr7
	s_and_saveexec_b64 s[72:73], vcc
	s_xor_b64 s[72:73], exec, s[72:73]
	s_cbranch_execz .LBB2_2290
; %bb.2289:                             ;   in Loop: Header=BB2_2163 Depth=4
	v_ffbh_u32_e32 v14, v13
	v_min_u32_e32 v20, 32, v14
	v_subrev_u32_e32 v14, 29, v20
	v_bfe_u32 v7, v8, 18, 5
	v_lshlrev_b64 v[14:15], v14, v[12:13]
	v_sub_u32_e32 v15, 30, v20
	v_and_b32_e32 v14, 3, v14
	v_cmp_eq_u32_e32 vcc, 0, v7
	v_cndmask_b32_e32 v7, v7, v15, vcc
	v_cndmask_b32_e32 v13, v13, v14, vcc
	v_bfrev_b32_e32 v14, 28
	v_lshlrev_b32_e32 v12, 24, v12
	v_lshl_add_u32 v7, v7, 23, v14
	v_and_or_b32 v7, v12, s96, v7
	v_lshl_or_b32 v7, v13, 21, v7
                                        ; implicit-def: $vgpr13
                                        ; implicit-def: $vgpr12
.LBB2_2290:                             ;   in Loop: Header=BB2_2163 Depth=4
	s_andn2_saveexec_b64 s[72:73], s[72:73]
; %bb.2291:                             ;   in Loop: Header=BB2_2163 Depth=4
	v_mov_b32_e32 v7, -1
	v_cmp_gt_i16_sdwa vcc, sext(v12), v7 src0_sel:BYTE_0 src1_sel:DWORD
	v_mov_b32_e32 v7, 0xc7600000
	v_mov_b32_e32 v12, 0x47600000
	v_cndmask_b32_e32 v7, v7, v12, vcc
	v_cmp_eq_u32_e32 vcc, 0, v13
	v_mov_b32_e32 v12, 0x7f800001
	v_cndmask_b32_e32 v7, v12, v7, vcc
; %bb.2292:                             ;   in Loop: Header=BB2_2163 Depth=4
	s_or_b64 exec, exec, s[72:73]
.LBB2_2293:                             ;   in Loop: Header=BB2_2163 Depth=4
	s_or_b64 exec, exec, s[70:71]
.LBB2_2294:                             ;   in Loop: Header=BB2_2163 Depth=4
	s_or_b64 exec, exec, s[30:31]
	v_max_f32_e32 v7, v7, v7
	v_max_f32_e32 v0, v0, v0
	v_min_f32_e32 v7, v0, v7
.LBB2_2295:                             ;   in Loop: Header=BB2_2163 Depth=4
	v_and_b32_sdwa v0, v7, s97 dst_sel:DWORD dst_unused:UNUSED_PAD src0_sel:BYTE_3 src1_sel:DWORD
	v_and_b32_e32 v12, 0x7f800000, v7
	v_mov_b32_e32 v13, v51
	v_and_b32_e32 v50, 0x7fffff, v7
	v_or_b32_e32 v39, 0x7b, v0
	v_cmp_ne_u64_e32 vcc, s[52:53], v[12:13]
	s_and_saveexec_b64 s[30:31], vcc
	s_xor_b64 s[70:71], exec, s[30:31]
	s_cbranch_execz .LBB2_2305
; %bb.2296:                             ;   in Loop: Header=BB2_2163 Depth=4
	v_and_b32_e32 v12, 0x7fffffff, v7
	v_mov_b32_e32 v13, v51
	v_cmp_gt_u64_e32 vcc, s[54:55], v[12:13]
	s_and_saveexec_b64 s[72:73], vcc
	s_cbranch_execz .LBB2_2304
; %bb.2297:                             ;   in Loop: Header=BB2_2163 Depth=4
	v_cmp_ne_u32_e32 vcc, 0, v7
	v_mov_b32_e32 v39, 0
	s_and_saveexec_b64 s[74:75], vcc
	s_cbranch_execz .LBB2_2303
; %bb.2298:                             ;   in Loop: Header=BB2_2163 Depth=4
	v_bfe_u32 v7, v7, 23, 8
	v_sub_u32_e32 v13, 0x71, v7
	v_cmp_gt_u32_e32 vcc, s38, v7
	v_add_u32_e32 v12, 0xffffff81, v7
	v_cndmask_b32_e32 v13, 0, v13, vcc
	v_cmp_eq_u32_e32 vcc, 0, v7
	v_mov_b32_e32 v7, 0xffffff82
	v_cndmask_b32_e32 v7, v12, v7, vcc
	v_mov_b32_e32 v12, 0x70
	v_or_b32_e32 v14, 0x800000, v50
	v_cndmask_b32_e32 v15, v13, v12, vcc
	v_cndmask_b32_e32 v50, v14, v50, vcc
	v_add_u32_e32 v12, 21, v15
	v_lshlrev_b64 v[12:13], v12, -1
	v_add_u32_e32 v14, 20, v15
	v_lshrrev_b64 v[24:25], v15, v[50:51]
	v_not_b32_e32 v13, v13
	v_not_b32_e32 v12, v12
	v_lshlrev_b64 v[20:21], v14, 1
	v_lshrrev_b32_e32 v14, 23, v24
	v_and_b32_e32 v13, 0, v13
	v_and_b32_e32 v12, v50, v12
	v_add3_u32 v15, v15, v7, v14
	v_bfe_u32 v7, v24, 21, 1
	v_add_u32_e32 v7, -1, v7
	v_cmp_eq_u64_e32 vcc, v[12:13], v[20:21]
	v_cndmask_b32_e32 v7, 0, v7, vcc
	v_add_u32_e32 v7, v7, v24
	v_and_b32_e32 v7, 0x1fffff, v7
	v_add_co_u32_e32 v12, vcc, v7, v24
	v_add_u32_e32 v14, 14, v15
	v_addc_co_u32_e32 v13, vcc, 0, v25, vcc
	v_cmp_ne_u32_e32 vcc, 0, v14
                                        ; implicit-def: $vgpr7
	s_and_saveexec_b64 s[30:31], vcc
	s_xor_b64 s[30:31], exec, s[30:31]
; %bb.2299:                             ;   in Loop: Header=BB2_2163 Depth=4
	v_add_u32_e32 v7, 15, v15
	v_cmp_lt_u64_e32 vcc, s[56:57], v[12:13]
	v_cndmask_b32_e32 v7, v14, v7, vcc
	v_cndmask_b32_e64 v14, 0, 1, vcc
	v_lshrrev_b64 v[12:13], v14, v[12:13]
; %bb.2300:                             ;   in Loop: Header=BB2_2163 Depth=4
	s_andn2_saveexec_b64 vcc, s[30:31]
; %bb.2301:                             ;   in Loop: Header=BB2_2163 Depth=4
	v_bfe_u32 v7, v12, 23, 1
; %bb.2302:                             ;   in Loop: Header=BB2_2163 Depth=4
	s_or_b64 exec, exec, vcc
	v_lshrrev_b64 v[12:13], 21, v[12:13]
	v_cmp_gt_i32_e32 vcc, 32, v7
	v_cndmask_b32_e32 v13, 0, v13, vcc
	v_cndmask_b32_e32 v12, 3, v12, vcc
	v_cmp_eq_u32_e32 vcc, 0, v7
	v_min_i32_e32 v7, 31, v7
	v_cmp_eq_u64_e64 s[30:31], 0, v[12:13]
	v_lshlrev_b32_e32 v7, 2, v7
	v_and_or_b32 v7, v12, 3, v7
	s_and_b64 vcc, vcc, s[30:31]
	v_cndmask_b32_e64 v7, v7, 0, vcc
	v_or_b32_e32 v39, v7, v0
.LBB2_2303:                             ;   in Loop: Header=BB2_2163 Depth=4
	s_or_b64 exec, exec, s[74:75]
.LBB2_2304:                             ;   in Loop: Header=BB2_2163 Depth=4
	s_or_b64 exec, exec, s[72:73]
                                        ; implicit-def: $vgpr7
.LBB2_2305:                             ;   in Loop: Header=BB2_2163 Depth=4
	s_andn2_saveexec_b64 s[30:31], s[70:71]
; %bb.2306:                             ;   in Loop: Header=BB2_2163 Depth=4
	v_or_b32_sdwa v0, v7, s39 dst_sel:DWORD dst_unused:UNUSED_PAD src0_sel:BYTE_3 src1_sel:DWORD
	v_cmp_eq_u64_e32 vcc, 0, v[50:51]
	v_cndmask_b32_e32 v39, v0, v39, vcc
; %bb.2307:                             ;   in Loop: Header=BB2_2163 Depth=4
	s_or_b64 exec, exec, s[30:31]
	v_lshrrev_b32_e32 v14, 24, v26
	v_lshrrev_b32_e32 v12, 24, v8
	v_cmp_lt_u32_e64 s[30:31], s43, v26
	s_and_b64 vcc, exec, s[68:69]
	s_cbranch_vccz .LBB2_2325
; %bb.2308:                             ;   in Loop: Header=BB2_2163 Depth=4
	v_mov_b32_e32 v7, 0
	v_mov_b32_e32 v0, 0
	s_and_saveexec_b64 s[70:71], s[30:31]
	s_cbranch_execz .LBB2_2316
; %bb.2309:                             ;   in Loop: Header=BB2_2163 Depth=4
	v_cmp_ne_u32_e32 vcc, s97, v14
	v_bfrev_b32_e32 v0, 1
	s_and_saveexec_b64 s[72:73], vcc
	s_cbranch_execz .LBB2_2315
; %bb.2310:                             ;   in Loop: Header=BB2_2163 Depth=4
	v_and_b32_e32 v0, 0x7c000000, v26
	v_bfe_u32 v13, v26, 24, 2
	v_cmp_ne_u32_e32 vcc, s37, v0
                                        ; implicit-def: $vgpr0
	s_and_saveexec_b64 s[74:75], vcc
	s_xor_b64 s[74:75], exec, s[74:75]
	s_cbranch_execz .LBB2_2312
; %bb.2311:                             ;   in Loop: Header=BB2_2163 Depth=4
	v_ffbh_u32_e32 v15, v13
	v_min_u32_e32 v15, 32, v15
	v_bfe_u32 v0, v26, 26, 5
	v_subrev_u32_e32 v20, 29, v15
	v_lshlrev_b64 v[20:21], v20, v[14:15]
	v_sub_u32_e32 v15, 30, v15
	v_cmp_eq_u32_e32 vcc, 0, v0
	v_cndmask_b32_e32 v0, v0, v15, vcc
	v_bfrev_b32_e32 v15, 28
	v_and_b32_e32 v20, 3, v20
	v_lshl_add_u32 v0, v0, 23, v15
	v_cndmask_b32_e32 v13, v13, v20, vcc
	v_and_or_b32 v0, v26, s96, v0
	v_lshl_or_b32 v0, v13, 21, v0
                                        ; implicit-def: $vgpr13
.LBB2_2312:                             ;   in Loop: Header=BB2_2163 Depth=4
	s_andn2_saveexec_b64 s[74:75], s[74:75]
; %bb.2313:                             ;   in Loop: Header=BB2_2163 Depth=4
	v_cmp_lt_i32_e32 vcc, -1, v26
	v_mov_b32_e32 v0, 0xc7600000
	v_mov_b32_e32 v15, 0x47600000
	v_cndmask_b32_e32 v0, v0, v15, vcc
	v_cmp_eq_u32_e32 vcc, 0, v13
	v_mov_b32_e32 v13, 0x7f800001
	v_cndmask_b32_e32 v0, v13, v0, vcc
; %bb.2314:                             ;   in Loop: Header=BB2_2163 Depth=4
	s_or_b64 exec, exec, s[74:75]
.LBB2_2315:                             ;   in Loop: Header=BB2_2163 Depth=4
	s_or_b64 exec, exec, s[72:73]
.LBB2_2316:                             ;   in Loop: Header=BB2_2163 Depth=4
	s_or_b64 exec, exec, s[70:71]
	v_cmp_lt_u32_e32 vcc, s43, v8
	s_and_saveexec_b64 s[70:71], vcc
	s_cbranch_execz .LBB2_2324
; %bb.2317:                             ;   in Loop: Header=BB2_2163 Depth=4
	v_cmp_ne_u32_e32 vcc, s97, v12
	v_bfrev_b32_e32 v7, 1
	s_and_saveexec_b64 s[72:73], vcc
	s_cbranch_execz .LBB2_2323
; %bb.2318:                             ;   in Loop: Header=BB2_2163 Depth=4
	v_and_b32_e32 v7, 0x7c000000, v8
	v_bfe_u32 v13, v8, 24, 2
	v_cmp_ne_u32_e32 vcc, s37, v7
                                        ; implicit-def: $vgpr7
	s_and_saveexec_b64 s[74:75], vcc
	s_xor_b64 s[74:75], exec, s[74:75]
	s_cbranch_execz .LBB2_2320
; %bb.2319:                             ;   in Loop: Header=BB2_2163 Depth=4
	v_ffbh_u32_e32 v15, v13
	v_bfe_u32 v7, v8, 26, 5
	v_min_u32_e32 v15, 32, v15
	v_subrev_u32_e32 v20, 29, v15
	v_sub_u32_e32 v15, 30, v15
	v_cmp_eq_u32_e32 vcc, 0, v7
	v_lshlrev_b64 v[20:21], v20, v[12:13]
	v_cndmask_b32_e32 v7, v7, v15, vcc
	v_bfrev_b32_e32 v15, 28
	v_and_b32_e32 v20, 3, v20
	v_lshl_add_u32 v7, v7, 23, v15
	v_cndmask_b32_e32 v13, v13, v20, vcc
	v_and_or_b32 v7, v8, s96, v7
	v_lshl_or_b32 v7, v13, 21, v7
                                        ; implicit-def: $vgpr13
.LBB2_2320:                             ;   in Loop: Header=BB2_2163 Depth=4
	s_andn2_saveexec_b64 s[74:75], s[74:75]
; %bb.2321:                             ;   in Loop: Header=BB2_2163 Depth=4
	v_cmp_lt_i32_e32 vcc, -1, v8
	v_mov_b32_e32 v7, 0xc7600000
	v_mov_b32_e32 v15, 0x47600000
	v_cndmask_b32_e32 v7, v7, v15, vcc
	v_cmp_eq_u32_e32 vcc, 0, v13
	v_mov_b32_e32 v13, 0x7f800001
	v_cndmask_b32_e32 v7, v13, v7, vcc
; %bb.2322:                             ;   in Loop: Header=BB2_2163 Depth=4
	s_or_b64 exec, exec, s[74:75]
.LBB2_2323:                             ;   in Loop: Header=BB2_2163 Depth=4
	s_or_b64 exec, exec, s[72:73]
.LBB2_2324:                             ;   in Loop: Header=BB2_2163 Depth=4
	s_or_b64 exec, exec, s[70:71]
	v_max_f32_e32 v7, v7, v7
	v_max_f32_e32 v0, v0, v0
	;; [unrolled: 1-line block ×3, first 2 shown]
	s_branch .LBB2_2343
.LBB2_2325:                             ;   in Loop: Header=BB2_2163 Depth=4
                                        ; implicit-def: $vgpr7
	s_cbranch_execz .LBB2_2343
; %bb.2326:                             ;   in Loop: Header=BB2_2163 Depth=4
	v_mov_b32_e32 v7, 0
	v_mov_b32_e32 v0, 0
	s_and_saveexec_b64 s[70:71], s[30:31]
	s_cbranch_execz .LBB2_2334
; %bb.2327:                             ;   in Loop: Header=BB2_2163 Depth=4
	v_cmp_ne_u32_e32 vcc, s97, v14
	v_bfrev_b32_e32 v0, 1
	s_and_saveexec_b64 s[30:31], vcc
	s_cbranch_execz .LBB2_2333
; %bb.2328:                             ;   in Loop: Header=BB2_2163 Depth=4
	v_and_b32_e32 v0, 0x7c000000, v26
	v_bfe_u32 v13, v26, 24, 2
	v_cmp_ne_u32_e32 vcc, s37, v0
                                        ; implicit-def: $vgpr0
	s_and_saveexec_b64 s[72:73], vcc
	s_xor_b64 s[72:73], exec, s[72:73]
	s_cbranch_execz .LBB2_2330
; %bb.2329:                             ;   in Loop: Header=BB2_2163 Depth=4
	v_ffbh_u32_e32 v15, v13
	v_min_u32_e32 v20, 32, v15
	v_subrev_u32_e32 v15, 29, v20
	v_bfe_u32 v0, v26, 26, 5
	v_lshlrev_b64 v[14:15], v15, v[14:15]
	v_sub_u32_e32 v15, 30, v20
	v_and_b32_e32 v14, 3, v14
	v_cmp_eq_u32_e32 vcc, 0, v0
	v_cndmask_b32_e32 v0, v0, v15, vcc
	v_cndmask_b32_e32 v13, v13, v14, vcc
	v_bfrev_b32_e32 v14, 28
	v_lshl_add_u32 v0, v0, 23, v14
	v_and_or_b32 v0, v26, s96, v0
	v_lshl_or_b32 v0, v13, 21, v0
                                        ; implicit-def: $vgpr13
.LBB2_2330:                             ;   in Loop: Header=BB2_2163 Depth=4
	s_andn2_saveexec_b64 s[72:73], s[72:73]
; %bb.2331:                             ;   in Loop: Header=BB2_2163 Depth=4
	v_cmp_lt_i32_e32 vcc, -1, v26
	v_mov_b32_e32 v0, 0xc7600000
	v_mov_b32_e32 v14, 0x47600000
	v_cndmask_b32_e32 v0, v0, v14, vcc
	v_cmp_eq_u32_e32 vcc, 0, v13
	v_mov_b32_e32 v13, 0x7f800001
	v_cndmask_b32_e32 v0, v13, v0, vcc
; %bb.2332:                             ;   in Loop: Header=BB2_2163 Depth=4
	s_or_b64 exec, exec, s[72:73]
.LBB2_2333:                             ;   in Loop: Header=BB2_2163 Depth=4
	s_or_b64 exec, exec, s[30:31]
.LBB2_2334:                             ;   in Loop: Header=BB2_2163 Depth=4
	s_or_b64 exec, exec, s[70:71]
	v_cmp_lt_u32_e32 vcc, s43, v8
	s_and_saveexec_b64 s[30:31], vcc
	s_cbranch_execz .LBB2_2342
; %bb.2335:                             ;   in Loop: Header=BB2_2163 Depth=4
	v_cmp_ne_u32_e32 vcc, s97, v12
	v_bfrev_b32_e32 v7, 1
	s_and_saveexec_b64 s[70:71], vcc
	s_cbranch_execz .LBB2_2341
; %bb.2336:                             ;   in Loop: Header=BB2_2163 Depth=4
	v_and_b32_e32 v7, 0x7c000000, v8
	v_bfe_u32 v13, v8, 24, 2
	v_cmp_ne_u32_e32 vcc, s37, v7
                                        ; implicit-def: $vgpr7
	s_and_saveexec_b64 s[72:73], vcc
	s_xor_b64 s[72:73], exec, s[72:73]
	s_cbranch_execz .LBB2_2338
; %bb.2337:                             ;   in Loop: Header=BB2_2163 Depth=4
	v_ffbh_u32_e32 v14, v13
	v_min_u32_e32 v20, 32, v14
	v_subrev_u32_e32 v14, 29, v20
	v_bfe_u32 v7, v8, 26, 5
	v_lshlrev_b64 v[14:15], v14, v[12:13]
	v_sub_u32_e32 v12, 30, v20
	v_and_b32_e32 v14, 3, v14
	v_cmp_eq_u32_e32 vcc, 0, v7
	v_cndmask_b32_e32 v7, v7, v12, vcc
	v_cndmask_b32_e32 v12, v13, v14, vcc
	v_bfrev_b32_e32 v13, 28
	v_lshl_add_u32 v7, v7, 23, v13
	v_and_or_b32 v7, v8, s96, v7
	v_lshl_or_b32 v7, v12, 21, v7
                                        ; implicit-def: $vgpr13
.LBB2_2338:                             ;   in Loop: Header=BB2_2163 Depth=4
	s_andn2_saveexec_b64 s[72:73], s[72:73]
; %bb.2339:                             ;   in Loop: Header=BB2_2163 Depth=4
	v_cmp_lt_i32_e32 vcc, -1, v8
	v_mov_b32_e32 v7, 0xc7600000
	v_mov_b32_e32 v12, 0x47600000
	v_cndmask_b32_e32 v7, v7, v12, vcc
	v_cmp_eq_u32_e32 vcc, 0, v13
	v_mov_b32_e32 v12, 0x7f800001
	v_cndmask_b32_e32 v7, v12, v7, vcc
; %bb.2340:                             ;   in Loop: Header=BB2_2163 Depth=4
	s_or_b64 exec, exec, s[72:73]
.LBB2_2341:                             ;   in Loop: Header=BB2_2163 Depth=4
	s_or_b64 exec, exec, s[70:71]
.LBB2_2342:                             ;   in Loop: Header=BB2_2163 Depth=4
	s_or_b64 exec, exec, s[30:31]
	v_max_f32_e32 v7, v7, v7
	v_max_f32_e32 v0, v0, v0
	v_min_f32_e32 v7, v0, v7
.LBB2_2343:                             ;   in Loop: Header=BB2_2163 Depth=4
	v_and_b32_sdwa v0, v7, s97 dst_sel:DWORD dst_unused:UNUSED_PAD src0_sel:BYTE_3 src1_sel:DWORD
	v_and_b32_e32 v12, 0x7f800000, v7
	v_mov_b32_e32 v13, v51
	v_and_b32_e32 v50, 0x7fffff, v7
	v_or_b32_e32 v52, 0x7b, v0
	v_cmp_ne_u64_e32 vcc, s[52:53], v[12:13]
	s_and_saveexec_b64 s[30:31], vcc
	s_xor_b64 s[70:71], exec, s[30:31]
	s_cbranch_execz .LBB2_2353
; %bb.2344:                             ;   in Loop: Header=BB2_2163 Depth=4
	v_and_b32_e32 v12, 0x7fffffff, v7
	v_mov_b32_e32 v13, v51
	v_cmp_gt_u64_e32 vcc, s[54:55], v[12:13]
	s_and_saveexec_b64 s[72:73], vcc
	s_cbranch_execz .LBB2_2352
; %bb.2345:                             ;   in Loop: Header=BB2_2163 Depth=4
	v_cmp_ne_u32_e32 vcc, 0, v7
	v_mov_b32_e32 v52, 0
	s_and_saveexec_b64 s[74:75], vcc
	s_cbranch_execz .LBB2_2351
; %bb.2346:                             ;   in Loop: Header=BB2_2163 Depth=4
	v_bfe_u32 v7, v7, 23, 8
	v_sub_u32_e32 v13, 0x71, v7
	v_cmp_gt_u32_e32 vcc, s38, v7
	v_add_u32_e32 v12, 0xffffff81, v7
	v_cndmask_b32_e32 v13, 0, v13, vcc
	v_cmp_eq_u32_e32 vcc, 0, v7
	v_mov_b32_e32 v7, 0xffffff82
	v_cndmask_b32_e32 v7, v12, v7, vcc
	v_mov_b32_e32 v12, 0x70
	v_or_b32_e32 v14, 0x800000, v50
	v_cndmask_b32_e32 v15, v13, v12, vcc
	v_cndmask_b32_e32 v50, v14, v50, vcc
	v_add_u32_e32 v12, 21, v15
	v_lshlrev_b64 v[12:13], v12, -1
	v_add_u32_e32 v14, 20, v15
	v_lshrrev_b64 v[24:25], v15, v[50:51]
	v_not_b32_e32 v13, v13
	v_not_b32_e32 v12, v12
	v_lshlrev_b64 v[20:21], v14, 1
	v_lshrrev_b32_e32 v14, 23, v24
	v_and_b32_e32 v13, 0, v13
	v_and_b32_e32 v12, v50, v12
	v_add3_u32 v15, v15, v7, v14
	v_bfe_u32 v7, v24, 21, 1
	v_add_u32_e32 v7, -1, v7
	v_cmp_eq_u64_e32 vcc, v[12:13], v[20:21]
	v_cndmask_b32_e32 v7, 0, v7, vcc
	v_add_u32_e32 v7, v7, v24
	v_and_b32_e32 v7, 0x1fffff, v7
	v_add_co_u32_e32 v12, vcc, v7, v24
	v_add_u32_e32 v14, 14, v15
	v_addc_co_u32_e32 v13, vcc, 0, v25, vcc
	v_cmp_ne_u32_e32 vcc, 0, v14
                                        ; implicit-def: $vgpr7
	s_and_saveexec_b64 s[30:31], vcc
	s_xor_b64 s[30:31], exec, s[30:31]
; %bb.2347:                             ;   in Loop: Header=BB2_2163 Depth=4
	v_add_u32_e32 v7, 15, v15
	v_cmp_lt_u64_e32 vcc, s[56:57], v[12:13]
	v_cndmask_b32_e32 v7, v14, v7, vcc
	v_cndmask_b32_e64 v14, 0, 1, vcc
	v_lshrrev_b64 v[12:13], v14, v[12:13]
; %bb.2348:                             ;   in Loop: Header=BB2_2163 Depth=4
	s_andn2_saveexec_b64 vcc, s[30:31]
; %bb.2349:                             ;   in Loop: Header=BB2_2163 Depth=4
	v_bfe_u32 v7, v12, 23, 1
; %bb.2350:                             ;   in Loop: Header=BB2_2163 Depth=4
	s_or_b64 exec, exec, vcc
	v_lshrrev_b64 v[12:13], 21, v[12:13]
	v_cmp_gt_i32_e32 vcc, 32, v7
	v_cndmask_b32_e32 v13, 0, v13, vcc
	v_cndmask_b32_e32 v12, 3, v12, vcc
	v_cmp_eq_u32_e32 vcc, 0, v7
	v_min_i32_e32 v7, 31, v7
	v_cmp_eq_u64_e64 s[30:31], 0, v[12:13]
	v_lshlrev_b32_e32 v7, 2, v7
	v_and_or_b32 v7, v12, 3, v7
	s_and_b64 vcc, vcc, s[30:31]
	v_cndmask_b32_e64 v7, v7, 0, vcc
	v_or_b32_e32 v52, v7, v0
.LBB2_2351:                             ;   in Loop: Header=BB2_2163 Depth=4
	s_or_b64 exec, exec, s[74:75]
.LBB2_2352:                             ;   in Loop: Header=BB2_2163 Depth=4
	s_or_b64 exec, exec, s[72:73]
                                        ; implicit-def: $vgpr7
.LBB2_2353:                             ;   in Loop: Header=BB2_2163 Depth=4
	s_andn2_saveexec_b64 s[30:31], s[70:71]
; %bb.2354:                             ;   in Loop: Header=BB2_2163 Depth=4
	v_or_b32_sdwa v0, v7, s39 dst_sel:DWORD dst_unused:UNUSED_PAD src0_sel:BYTE_3 src1_sel:DWORD
	v_cmp_eq_u64_e32 vcc, 0, v[50:51]
	v_cndmask_b32_e32 v52, v0, v52, vcc
; %bb.2355:                             ;   in Loop: Header=BB2_2163 Depth=4
	s_or_b64 exec, exec, s[30:31]
	v_mov_b32_e32 v50, v27
	v_mov_b32_e32 v20, v9
	;; [unrolled: 1-line block ×3, first 2 shown]
	v_cmp_ne_u16_sdwa s[30:31], v27, v51 src0_sel:BYTE_0 src1_sel:DWORD
	s_and_b64 vcc, exec, s[68:69]
	s_cbranch_vccz .LBB2_2373
; %bb.2356:                             ;   in Loop: Header=BB2_2163 Depth=4
	v_mov_b32_e32 v7, 0
	v_mov_b32_e32 v0, 0
	s_and_saveexec_b64 s[70:71], s[30:31]
	s_cbranch_execz .LBB2_2364
; %bb.2357:                             ;   in Loop: Header=BB2_2163 Depth=4
	v_cmp_ne_u16_sdwa vcc, v27, s97 src0_sel:BYTE_0 src1_sel:DWORD
	v_bfrev_b32_e32 v0, 1
	s_and_saveexec_b64 s[72:73], vcc
	s_cbranch_execz .LBB2_2363
; %bb.2358:                             ;   in Loop: Header=BB2_2163 Depth=4
	v_and_b32_e32 v0, 0x7c, v27
	v_and_b32_e32 v12, 3, v27
	v_cmp_ne_u32_e32 vcc, s95, v0
                                        ; implicit-def: $vgpr0
	s_and_saveexec_b64 s[74:75], vcc
	s_xor_b64 s[74:75], exec, s[74:75]
	s_cbranch_execz .LBB2_2360
; %bb.2359:                             ;   in Loop: Header=BB2_2163 Depth=4
	v_ffbh_u32_e32 v13, v12
	v_min_u32_e32 v13, 32, v13
	v_subrev_u32_e32 v14, 29, v13
	v_bfe_u32 v0, v27, 2, 5
	v_lshlrev_b64 v[14:15], v14, v[50:51]
	v_sub_u32_e32 v13, 30, v13
	v_and_b32_e32 v14, 3, v14
	v_cmp_eq_u32_e32 vcc, 0, v0
	v_cndmask_b32_e32 v0, v0, v13, vcc
	v_cndmask_b32_e32 v12, v12, v14, vcc
	v_bfrev_b32_e32 v14, 28
	v_lshlrev_b32_e32 v13, 24, v27
	v_lshl_add_u32 v0, v0, 23, v14
	v_and_or_b32 v0, v13, s96, v0
	v_lshl_or_b32 v0, v12, 21, v0
                                        ; implicit-def: $vgpr12
.LBB2_2360:                             ;   in Loop: Header=BB2_2163 Depth=4
	s_andn2_saveexec_b64 s[74:75], s[74:75]
; %bb.2361:                             ;   in Loop: Header=BB2_2163 Depth=4
	v_mov_b32_e32 v0, -1
	v_cmp_gt_i16_sdwa vcc, sext(v27), v0 src0_sel:BYTE_0 src1_sel:DWORD
	v_mov_b32_e32 v0, 0xc7600000
	v_mov_b32_e32 v13, 0x47600000
	v_cndmask_b32_e32 v0, v0, v13, vcc
	v_cmp_eq_u32_e32 vcc, 0, v12
	v_mov_b32_e32 v12, 0x7f800001
	v_cndmask_b32_e32 v0, v12, v0, vcc
; %bb.2362:                             ;   in Loop: Header=BB2_2163 Depth=4
	s_or_b64 exec, exec, s[74:75]
.LBB2_2363:                             ;   in Loop: Header=BB2_2163 Depth=4
	s_or_b64 exec, exec, s[72:73]
.LBB2_2364:                             ;   in Loop: Header=BB2_2163 Depth=4
	s_or_b64 exec, exec, s[70:71]
	v_cmp_ne_u16_sdwa vcc, v9, v51 src0_sel:BYTE_0 src1_sel:DWORD
	s_and_saveexec_b64 s[70:71], vcc
	s_cbranch_execz .LBB2_2372
; %bb.2365:                             ;   in Loop: Header=BB2_2163 Depth=4
	v_cmp_ne_u16_sdwa vcc, v9, s97 src0_sel:BYTE_0 src1_sel:DWORD
	v_bfrev_b32_e32 v7, 1
	s_and_saveexec_b64 s[72:73], vcc
	s_cbranch_execz .LBB2_2371
; %bb.2366:                             ;   in Loop: Header=BB2_2163 Depth=4
	v_and_b32_e32 v7, 0x7c, v9
	v_and_b32_e32 v12, 3, v9
	v_cmp_ne_u32_e32 vcc, s95, v7
                                        ; implicit-def: $vgpr7
	s_and_saveexec_b64 s[74:75], vcc
	s_xor_b64 s[74:75], exec, s[74:75]
	s_cbranch_execz .LBB2_2368
; %bb.2367:                             ;   in Loop: Header=BB2_2163 Depth=4
	v_ffbh_u32_e32 v13, v12
	v_min_u32_e32 v13, 32, v13
	v_subrev_u32_e32 v14, 29, v13
	v_bfe_u32 v7, v9, 2, 5
	v_lshlrev_b64 v[14:15], v14, v[20:21]
	v_sub_u32_e32 v13, 30, v13
	v_and_b32_e32 v14, 3, v14
	v_cmp_eq_u32_e32 vcc, 0, v7
	v_cndmask_b32_e32 v7, v7, v13, vcc
	v_cndmask_b32_e32 v12, v12, v14, vcc
	v_bfrev_b32_e32 v14, 28
	v_lshlrev_b32_e32 v13, 24, v9
	v_lshl_add_u32 v7, v7, 23, v14
	v_and_or_b32 v7, v13, s96, v7
	v_lshl_or_b32 v7, v12, 21, v7
                                        ; implicit-def: $vgpr12
.LBB2_2368:                             ;   in Loop: Header=BB2_2163 Depth=4
	s_andn2_saveexec_b64 s[74:75], s[74:75]
; %bb.2369:                             ;   in Loop: Header=BB2_2163 Depth=4
	v_mov_b32_e32 v7, -1
	v_cmp_gt_i16_sdwa vcc, sext(v9), v7 src0_sel:BYTE_0 src1_sel:DWORD
	v_mov_b32_e32 v7, 0xc7600000
	v_mov_b32_e32 v13, 0x47600000
	v_cndmask_b32_e32 v7, v7, v13, vcc
	v_cmp_eq_u32_e32 vcc, 0, v12
	v_mov_b32_e32 v12, 0x7f800001
	v_cndmask_b32_e32 v7, v12, v7, vcc
; %bb.2370:                             ;   in Loop: Header=BB2_2163 Depth=4
	s_or_b64 exec, exec, s[74:75]
.LBB2_2371:                             ;   in Loop: Header=BB2_2163 Depth=4
	s_or_b64 exec, exec, s[72:73]
.LBB2_2372:                             ;   in Loop: Header=BB2_2163 Depth=4
	s_or_b64 exec, exec, s[70:71]
	v_max_f32_e32 v7, v7, v7
	v_max_f32_e32 v0, v0, v0
	v_max_f32_e32 v7, v0, v7
	s_branch .LBB2_2391
.LBB2_2373:                             ;   in Loop: Header=BB2_2163 Depth=4
                                        ; implicit-def: $vgpr7
	s_cbranch_execz .LBB2_2391
; %bb.2374:                             ;   in Loop: Header=BB2_2163 Depth=4
	v_mov_b32_e32 v7, 0
	v_mov_b32_e32 v0, 0
	s_and_saveexec_b64 s[70:71], s[30:31]
	s_cbranch_execz .LBB2_2382
; %bb.2375:                             ;   in Loop: Header=BB2_2163 Depth=4
	v_cmp_ne_u16_sdwa vcc, v27, s97 src0_sel:BYTE_0 src1_sel:DWORD
	v_bfrev_b32_e32 v0, 1
	s_and_saveexec_b64 s[30:31], vcc
	s_cbranch_execz .LBB2_2381
; %bb.2376:                             ;   in Loop: Header=BB2_2163 Depth=4
	v_and_b32_e32 v0, 0x7c, v27
	v_and_b32_e32 v12, 3, v27
	v_cmp_ne_u32_e32 vcc, s95, v0
                                        ; implicit-def: $vgpr0
	s_and_saveexec_b64 s[72:73], vcc
	s_xor_b64 s[72:73], exec, s[72:73]
	s_cbranch_execz .LBB2_2378
; %bb.2377:                             ;   in Loop: Header=BB2_2163 Depth=4
	v_ffbh_u32_e32 v13, v12
	v_min_u32_e32 v13, 32, v13
	v_subrev_u32_e32 v14, 29, v13
	v_bfe_u32 v0, v27, 2, 5
	v_lshlrev_b64 v[14:15], v14, v[50:51]
	v_sub_u32_e32 v13, 30, v13
	v_and_b32_e32 v14, 3, v14
	v_cmp_eq_u32_e32 vcc, 0, v0
	v_cndmask_b32_e32 v0, v0, v13, vcc
	v_cndmask_b32_e32 v12, v12, v14, vcc
	v_bfrev_b32_e32 v14, 28
	v_lshlrev_b32_e32 v13, 24, v27
	v_lshl_add_u32 v0, v0, 23, v14
	v_and_or_b32 v0, v13, s96, v0
	v_lshl_or_b32 v0, v12, 21, v0
                                        ; implicit-def: $vgpr12
.LBB2_2378:                             ;   in Loop: Header=BB2_2163 Depth=4
	s_andn2_saveexec_b64 s[72:73], s[72:73]
; %bb.2379:                             ;   in Loop: Header=BB2_2163 Depth=4
	v_mov_b32_e32 v0, -1
	v_cmp_gt_i16_sdwa vcc, sext(v27), v0 src0_sel:BYTE_0 src1_sel:DWORD
	v_mov_b32_e32 v0, 0xc7600000
	v_mov_b32_e32 v13, 0x47600000
	v_cndmask_b32_e32 v0, v0, v13, vcc
	v_cmp_eq_u32_e32 vcc, 0, v12
	v_mov_b32_e32 v12, 0x7f800001
	v_cndmask_b32_e32 v0, v12, v0, vcc
; %bb.2380:                             ;   in Loop: Header=BB2_2163 Depth=4
	s_or_b64 exec, exec, s[72:73]
.LBB2_2381:                             ;   in Loop: Header=BB2_2163 Depth=4
	s_or_b64 exec, exec, s[30:31]
.LBB2_2382:                             ;   in Loop: Header=BB2_2163 Depth=4
	s_or_b64 exec, exec, s[70:71]
	v_cmp_ne_u16_sdwa vcc, v9, v51 src0_sel:BYTE_0 src1_sel:DWORD
	s_and_saveexec_b64 s[30:31], vcc
	s_cbranch_execz .LBB2_2390
; %bb.2383:                             ;   in Loop: Header=BB2_2163 Depth=4
	v_cmp_ne_u16_sdwa vcc, v9, s97 src0_sel:BYTE_0 src1_sel:DWORD
	v_bfrev_b32_e32 v7, 1
	s_and_saveexec_b64 s[70:71], vcc
	s_cbranch_execz .LBB2_2389
; %bb.2384:                             ;   in Loop: Header=BB2_2163 Depth=4
	v_and_b32_e32 v7, 0x7c, v9
	v_and_b32_e32 v12, 3, v9
	v_cmp_ne_u32_e32 vcc, s95, v7
                                        ; implicit-def: $vgpr7
	s_and_saveexec_b64 s[72:73], vcc
	s_xor_b64 s[72:73], exec, s[72:73]
	s_cbranch_execz .LBB2_2386
; %bb.2385:                             ;   in Loop: Header=BB2_2163 Depth=4
	v_ffbh_u32_e32 v13, v12
	v_min_u32_e32 v13, 32, v13
	v_subrev_u32_e32 v14, 29, v13
	v_bfe_u32 v7, v9, 2, 5
	v_lshlrev_b64 v[14:15], v14, v[20:21]
	v_sub_u32_e32 v13, 30, v13
	v_and_b32_e32 v14, 3, v14
	v_cmp_eq_u32_e32 vcc, 0, v7
	v_cndmask_b32_e32 v7, v7, v13, vcc
	v_cndmask_b32_e32 v12, v12, v14, vcc
	v_bfrev_b32_e32 v14, 28
	v_lshlrev_b32_e32 v13, 24, v9
	v_lshl_add_u32 v7, v7, 23, v14
	v_and_or_b32 v7, v13, s96, v7
	v_lshl_or_b32 v7, v12, 21, v7
                                        ; implicit-def: $vgpr12
.LBB2_2386:                             ;   in Loop: Header=BB2_2163 Depth=4
	s_andn2_saveexec_b64 s[72:73], s[72:73]
; %bb.2387:                             ;   in Loop: Header=BB2_2163 Depth=4
	v_mov_b32_e32 v7, -1
	v_cmp_gt_i16_sdwa vcc, sext(v9), v7 src0_sel:BYTE_0 src1_sel:DWORD
	v_mov_b32_e32 v7, 0xc7600000
	v_mov_b32_e32 v13, 0x47600000
	v_cndmask_b32_e32 v7, v7, v13, vcc
	v_cmp_eq_u32_e32 vcc, 0, v12
	v_mov_b32_e32 v12, 0x7f800001
	v_cndmask_b32_e32 v7, v12, v7, vcc
; %bb.2388:                             ;   in Loop: Header=BB2_2163 Depth=4
	s_or_b64 exec, exec, s[72:73]
.LBB2_2389:                             ;   in Loop: Header=BB2_2163 Depth=4
	s_or_b64 exec, exec, s[70:71]
.LBB2_2390:                             ;   in Loop: Header=BB2_2163 Depth=4
	s_or_b64 exec, exec, s[30:31]
	v_max_f32_e32 v7, v7, v7
	v_max_f32_e32 v0, v0, v0
	v_min_f32_e32 v7, v0, v7
.LBB2_2391:                             ;   in Loop: Header=BB2_2163 Depth=4
	v_and_b32_sdwa v0, v7, s97 dst_sel:DWORD dst_unused:UNUSED_PAD src0_sel:BYTE_3 src1_sel:DWORD
	v_and_b32_e32 v14, 0x7f800000, v7
	v_mov_b32_e32 v15, v51
	v_and_b32_e32 v12, 0x7fffff, v7
	v_mov_b32_e32 v13, v51
	v_or_b32_e32 v53, 0x7b, v0
	v_cmp_ne_u64_e32 vcc, s[52:53], v[14:15]
	s_and_saveexec_b64 s[30:31], vcc
	s_xor_b64 s[70:71], exec, s[30:31]
	s_cbranch_execz .LBB2_2401
; %bb.2392:                             ;   in Loop: Header=BB2_2163 Depth=4
	v_and_b32_e32 v14, 0x7fffffff, v7
	v_mov_b32_e32 v15, v51
	v_cmp_gt_u64_e32 vcc, s[54:55], v[14:15]
	s_and_saveexec_b64 s[72:73], vcc
	s_cbranch_execz .LBB2_2400
; %bb.2393:                             ;   in Loop: Header=BB2_2163 Depth=4
	v_cmp_ne_u32_e32 vcc, 0, v7
	v_mov_b32_e32 v53, 0
	s_and_saveexec_b64 s[74:75], vcc
	s_cbranch_execz .LBB2_2399
; %bb.2394:                             ;   in Loop: Header=BB2_2163 Depth=4
	v_bfe_u32 v7, v7, 23, 8
	v_sub_u32_e32 v15, 0x71, v7
	v_cmp_gt_u32_e32 vcc, s38, v7
	v_add_u32_e32 v14, 0xffffff81, v7
	v_cndmask_b32_e32 v15, 0, v15, vcc
	v_cmp_eq_u32_e32 vcc, 0, v7
	v_mov_b32_e32 v7, 0xffffff82
	v_cndmask_b32_e32 v7, v14, v7, vcc
	v_mov_b32_e32 v14, 0x70
	v_cndmask_b32_e32 v53, v15, v14, vcc
	v_add_u32_e32 v14, 21, v53
	v_or_b32_e32 v21, 0x800000, v12
	v_lshlrev_b64 v[14:15], v14, -1
	v_cndmask_b32_e32 v12, v21, v12, vcc
	v_not_b32_e32 v14, v14
	v_and_b32_e32 v24, v12, v14
	v_add_u32_e32 v14, 20, v53
	v_lshrrev_b64 v[12:13], v53, v[12:13]
	v_not_b32_e32 v15, v15
	v_lshlrev_b64 v[30:31], v14, 1
	v_lshrrev_b32_e32 v14, 23, v12
	v_and_b32_e32 v25, 0, v15
	v_add3_u32 v15, v53, v7, v14
	v_bfe_u32 v7, v12, 21, 1
	v_add_u32_e32 v7, -1, v7
	v_cmp_eq_u64_e32 vcc, v[24:25], v[30:31]
	v_cndmask_b32_e32 v7, 0, v7, vcc
	v_add_u32_e32 v7, v7, v12
	v_and_b32_e32 v7, 0x1fffff, v7
	v_add_co_u32_e32 v12, vcc, v7, v12
	v_add_u32_e32 v14, 14, v15
	v_addc_co_u32_e32 v13, vcc, 0, v13, vcc
	v_cmp_ne_u32_e32 vcc, 0, v14
                                        ; implicit-def: $vgpr7
	s_and_saveexec_b64 s[30:31], vcc
	s_xor_b64 s[30:31], exec, s[30:31]
; %bb.2395:                             ;   in Loop: Header=BB2_2163 Depth=4
	v_add_u32_e32 v7, 15, v15
	v_cmp_lt_u64_e32 vcc, s[56:57], v[12:13]
	v_cndmask_b32_e32 v7, v14, v7, vcc
	v_cndmask_b32_e64 v14, 0, 1, vcc
	v_lshrrev_b64 v[12:13], v14, v[12:13]
; %bb.2396:                             ;   in Loop: Header=BB2_2163 Depth=4
	s_andn2_saveexec_b64 vcc, s[30:31]
; %bb.2397:                             ;   in Loop: Header=BB2_2163 Depth=4
	v_bfe_u32 v7, v12, 23, 1
; %bb.2398:                             ;   in Loop: Header=BB2_2163 Depth=4
	s_or_b64 exec, exec, vcc
	v_lshrrev_b64 v[12:13], 21, v[12:13]
	v_cmp_gt_i32_e32 vcc, 32, v7
	v_cndmask_b32_e32 v13, 0, v13, vcc
	v_cndmask_b32_e32 v12, 3, v12, vcc
	v_cmp_eq_u32_e32 vcc, 0, v7
	v_min_i32_e32 v7, 31, v7
	v_cmp_eq_u64_e64 s[30:31], 0, v[12:13]
	v_lshlrev_b32_e32 v7, 2, v7
	v_and_or_b32 v7, v12, 3, v7
	s_and_b64 vcc, vcc, s[30:31]
	v_cndmask_b32_e64 v7, v7, 0, vcc
	v_or_b32_e32 v53, v7, v0
.LBB2_2399:                             ;   in Loop: Header=BB2_2163 Depth=4
	s_or_b64 exec, exec, s[74:75]
.LBB2_2400:                             ;   in Loop: Header=BB2_2163 Depth=4
	s_or_b64 exec, exec, s[72:73]
                                        ; implicit-def: $vgpr7
                                        ; implicit-def: $vgpr12_vgpr13
.LBB2_2401:                             ;   in Loop: Header=BB2_2163 Depth=4
	s_andn2_saveexec_b64 s[30:31], s[70:71]
; %bb.2402:                             ;   in Loop: Header=BB2_2163 Depth=4
	v_or_b32_sdwa v0, v7, s39 dst_sel:DWORD dst_unused:UNUSED_PAD src0_sel:BYTE_3 src1_sel:DWORD
	v_cmp_eq_u64_e32 vcc, 0, v[12:13]
	v_cndmask_b32_e32 v53, v0, v53, vcc
; %bb.2403:                             ;   in Loop: Header=BB2_2163 Depth=4
	s_or_b64 exec, exec, s[30:31]
	v_lshrrev_b16_e32 v14, 8, v50
	v_lshrrev_b16_e32 v12, 8, v20
	v_cmp_ne_u16_e64 s[30:31], 0, v14
	s_and_b64 vcc, exec, s[68:69]
	s_cbranch_vccz .LBB2_2421
; %bb.2404:                             ;   in Loop: Header=BB2_2163 Depth=4
	v_mov_b32_e32 v7, 0
	v_mov_b32_e32 v0, 0
	s_and_saveexec_b64 s[70:71], s[30:31]
	s_cbranch_execz .LBB2_2412
; %bb.2405:                             ;   in Loop: Header=BB2_2163 Depth=4
	v_cmp_ne_u16_e32 vcc, s97, v14
	v_bfrev_b32_e32 v0, 1
	s_and_saveexec_b64 s[72:73], vcc
	s_cbranch_execz .LBB2_2411
; %bb.2406:                             ;   in Loop: Header=BB2_2163 Depth=4
	v_and_b32_e32 v0, 0x7c, v14
	v_and_b32_e32 v13, 3, v14
	v_cmp_ne_u32_e32 vcc, s95, v0
                                        ; implicit-def: $vgpr0
	s_and_saveexec_b64 s[74:75], vcc
	s_xor_b64 s[74:75], exec, s[74:75]
	s_cbranch_execz .LBB2_2408
; %bb.2407:                             ;   in Loop: Header=BB2_2163 Depth=4
	v_ffbh_u32_e32 v21, v13
	v_min_u32_e32 v21, 32, v21
	v_mov_b32_e32 v15, v51
	v_subrev_u32_e32 v24, 29, v21
	v_bfe_u32 v0, v14, 2, 5
	v_lshlrev_b64 v[24:25], v24, v[14:15]
	v_sub_u32_e32 v15, 30, v21
	v_and_b32_e32 v21, 3, v24
	v_cmp_eq_u32_e32 vcc, 0, v0
	v_cndmask_b32_e32 v0, v0, v15, vcc
	v_cndmask_b32_e32 v13, v13, v21, vcc
	v_bfrev_b32_e32 v21, 28
	v_lshlrev_b32_e32 v15, 16, v50
	v_lshl_add_u32 v0, v0, 23, v21
	v_and_or_b32 v0, v15, s96, v0
	v_lshl_or_b32 v0, v13, 21, v0
                                        ; implicit-def: $vgpr13
.LBB2_2408:                             ;   in Loop: Header=BB2_2163 Depth=4
	s_andn2_saveexec_b64 s[74:75], s[74:75]
; %bb.2409:                             ;   in Loop: Header=BB2_2163 Depth=4
	v_cmp_lt_i16_e32 vcc, -1, v50
	v_mov_b32_e32 v0, 0xc7600000
	v_mov_b32_e32 v15, 0x47600000
	v_cndmask_b32_e32 v0, v0, v15, vcc
	v_cmp_eq_u32_e32 vcc, 0, v13
	v_mov_b32_e32 v13, 0x7f800001
	v_cndmask_b32_e32 v0, v13, v0, vcc
; %bb.2410:                             ;   in Loop: Header=BB2_2163 Depth=4
	s_or_b64 exec, exec, s[74:75]
.LBB2_2411:                             ;   in Loop: Header=BB2_2163 Depth=4
	s_or_b64 exec, exec, s[72:73]
.LBB2_2412:                             ;   in Loop: Header=BB2_2163 Depth=4
	s_or_b64 exec, exec, s[70:71]
	v_cmp_ne_u16_e32 vcc, 0, v12
	s_and_saveexec_b64 s[70:71], vcc
	s_cbranch_execz .LBB2_2420
; %bb.2413:                             ;   in Loop: Header=BB2_2163 Depth=4
	v_cmp_ne_u16_e32 vcc, s97, v12
	v_bfrev_b32_e32 v7, 1
	s_and_saveexec_b64 s[72:73], vcc
	s_cbranch_execz .LBB2_2419
; %bb.2414:                             ;   in Loop: Header=BB2_2163 Depth=4
	v_and_b32_e32 v7, 0x7c, v12
	v_and_b32_e32 v15, 3, v12
	v_cmp_ne_u32_e32 vcc, s95, v7
                                        ; implicit-def: $vgpr7
	s_and_saveexec_b64 s[74:75], vcc
	s_xor_b64 s[74:75], exec, s[74:75]
	s_cbranch_execz .LBB2_2416
; %bb.2415:                             ;   in Loop: Header=BB2_2163 Depth=4
	v_ffbh_u32_e32 v21, v15
	v_min_u32_e32 v21, 32, v21
	v_mov_b32_e32 v13, v51
	v_subrev_u32_e32 v24, 29, v21
	v_bfe_u32 v7, v12, 2, 5
	v_lshlrev_b64 v[24:25], v24, v[12:13]
	v_sub_u32_e32 v13, 30, v21
	v_and_b32_e32 v21, 3, v24
	v_cmp_eq_u32_e32 vcc, 0, v7
	v_cndmask_b32_e32 v7, v7, v13, vcc
	v_cndmask_b32_e32 v13, v15, v21, vcc
	v_bfrev_b32_e32 v21, 28
	v_lshlrev_b32_e32 v15, 16, v20
	v_lshl_add_u32 v7, v7, 23, v21
	v_and_or_b32 v7, v15, s96, v7
	v_lshl_or_b32 v7, v13, 21, v7
                                        ; implicit-def: $vgpr15
.LBB2_2416:                             ;   in Loop: Header=BB2_2163 Depth=4
	s_andn2_saveexec_b64 s[74:75], s[74:75]
; %bb.2417:                             ;   in Loop: Header=BB2_2163 Depth=4
	v_cmp_lt_i16_e32 vcc, -1, v20
	v_mov_b32_e32 v7, 0xc7600000
	v_mov_b32_e32 v13, 0x47600000
	v_cndmask_b32_e32 v7, v7, v13, vcc
	v_cmp_eq_u32_e32 vcc, 0, v15
	v_mov_b32_e32 v13, 0x7f800001
	v_cndmask_b32_e32 v7, v13, v7, vcc
; %bb.2418:                             ;   in Loop: Header=BB2_2163 Depth=4
	s_or_b64 exec, exec, s[74:75]
.LBB2_2419:                             ;   in Loop: Header=BB2_2163 Depth=4
	s_or_b64 exec, exec, s[72:73]
.LBB2_2420:                             ;   in Loop: Header=BB2_2163 Depth=4
	s_or_b64 exec, exec, s[70:71]
	v_max_f32_e32 v7, v7, v7
	v_max_f32_e32 v0, v0, v0
	;; [unrolled: 1-line block ×3, first 2 shown]
	s_branch .LBB2_2439
.LBB2_2421:                             ;   in Loop: Header=BB2_2163 Depth=4
                                        ; implicit-def: $vgpr7
	s_cbranch_execz .LBB2_2439
; %bb.2422:                             ;   in Loop: Header=BB2_2163 Depth=4
	v_mov_b32_e32 v7, 0
	v_mov_b32_e32 v0, 0
	s_and_saveexec_b64 s[70:71], s[30:31]
	s_cbranch_execz .LBB2_2430
; %bb.2423:                             ;   in Loop: Header=BB2_2163 Depth=4
	v_cmp_ne_u16_e32 vcc, s97, v14
	v_bfrev_b32_e32 v0, 1
	s_and_saveexec_b64 s[30:31], vcc
	s_cbranch_execz .LBB2_2429
; %bb.2424:                             ;   in Loop: Header=BB2_2163 Depth=4
	v_and_b32_e32 v0, 0x7c, v14
	v_and_b32_e32 v13, 3, v14
	v_cmp_ne_u32_e32 vcc, s95, v0
                                        ; implicit-def: $vgpr0
	s_and_saveexec_b64 s[72:73], vcc
	s_xor_b64 s[72:73], exec, s[72:73]
	s_cbranch_execz .LBB2_2426
; %bb.2425:                             ;   in Loop: Header=BB2_2163 Depth=4
	v_ffbh_u32_e32 v21, v13
	v_min_u32_e32 v21, 32, v21
	v_mov_b32_e32 v15, v51
	v_subrev_u32_e32 v24, 29, v21
	v_bfe_u32 v0, v14, 2, 5
	v_lshlrev_b64 v[14:15], v24, v[14:15]
	v_sub_u32_e32 v15, 30, v21
	v_cmp_eq_u32_e32 vcc, 0, v0
	v_and_b32_e32 v14, 3, v14
	v_cndmask_b32_e32 v0, v0, v15, vcc
	v_bfrev_b32_e32 v15, 28
	v_cndmask_b32_e32 v13, v13, v14, vcc
	v_lshlrev_b32_e32 v14, 16, v50
	v_lshl_add_u32 v0, v0, 23, v15
	v_and_or_b32 v0, v14, s96, v0
	v_lshl_or_b32 v0, v13, 21, v0
                                        ; implicit-def: $vgpr13
.LBB2_2426:                             ;   in Loop: Header=BB2_2163 Depth=4
	s_andn2_saveexec_b64 s[72:73], s[72:73]
; %bb.2427:                             ;   in Loop: Header=BB2_2163 Depth=4
	v_cmp_lt_i16_e32 vcc, -1, v50
	v_mov_b32_e32 v0, 0xc7600000
	v_mov_b32_e32 v14, 0x47600000
	v_cndmask_b32_e32 v0, v0, v14, vcc
	v_cmp_eq_u32_e32 vcc, 0, v13
	v_mov_b32_e32 v13, 0x7f800001
	v_cndmask_b32_e32 v0, v13, v0, vcc
; %bb.2428:                             ;   in Loop: Header=BB2_2163 Depth=4
	s_or_b64 exec, exec, s[72:73]
.LBB2_2429:                             ;   in Loop: Header=BB2_2163 Depth=4
	s_or_b64 exec, exec, s[30:31]
.LBB2_2430:                             ;   in Loop: Header=BB2_2163 Depth=4
	s_or_b64 exec, exec, s[70:71]
	v_cmp_ne_u16_e32 vcc, 0, v12
	s_and_saveexec_b64 s[30:31], vcc
	s_cbranch_execz .LBB2_2438
; %bb.2431:                             ;   in Loop: Header=BB2_2163 Depth=4
	v_cmp_ne_u16_e32 vcc, s97, v12
	v_bfrev_b32_e32 v7, 1
	s_and_saveexec_b64 s[70:71], vcc
	s_cbranch_execz .LBB2_2437
; %bb.2432:                             ;   in Loop: Header=BB2_2163 Depth=4
	v_and_b32_e32 v7, 0x7c, v12
	v_and_b32_e32 v14, 3, v12
	v_cmp_ne_u32_e32 vcc, s95, v7
                                        ; implicit-def: $vgpr7
	s_and_saveexec_b64 s[72:73], vcc
	s_xor_b64 s[72:73], exec, s[72:73]
	s_cbranch_execz .LBB2_2434
; %bb.2433:                             ;   in Loop: Header=BB2_2163 Depth=4
	v_ffbh_u32_e32 v15, v14
	v_min_u32_e32 v15, 32, v15
	v_mov_b32_e32 v13, v51
	v_subrev_u32_e32 v21, 29, v15
	v_bfe_u32 v7, v12, 2, 5
	v_lshlrev_b64 v[12:13], v21, v[12:13]
	v_sub_u32_e32 v13, 30, v15
	v_and_b32_e32 v12, 3, v12
	v_cmp_eq_u32_e32 vcc, 0, v7
	v_cndmask_b32_e32 v7, v7, v13, vcc
	v_cndmask_b32_e32 v12, v14, v12, vcc
	v_bfrev_b32_e32 v14, 28
	v_lshlrev_b32_e32 v13, 16, v20
	v_lshl_add_u32 v7, v7, 23, v14
	v_and_or_b32 v7, v13, s96, v7
	v_lshl_or_b32 v7, v12, 21, v7
                                        ; implicit-def: $vgpr14
                                        ; implicit-def: $vgpr20_vgpr21
.LBB2_2434:                             ;   in Loop: Header=BB2_2163 Depth=4
	s_andn2_saveexec_b64 s[72:73], s[72:73]
; %bb.2435:                             ;   in Loop: Header=BB2_2163 Depth=4
	v_cmp_lt_i16_e32 vcc, -1, v20
	v_mov_b32_e32 v7, 0xc7600000
	v_mov_b32_e32 v12, 0x47600000
	v_cndmask_b32_e32 v7, v7, v12, vcc
	v_cmp_eq_u32_e32 vcc, 0, v14
	v_mov_b32_e32 v12, 0x7f800001
	v_cndmask_b32_e32 v7, v12, v7, vcc
; %bb.2436:                             ;   in Loop: Header=BB2_2163 Depth=4
	s_or_b64 exec, exec, s[72:73]
.LBB2_2437:                             ;   in Loop: Header=BB2_2163 Depth=4
	s_or_b64 exec, exec, s[70:71]
.LBB2_2438:                             ;   in Loop: Header=BB2_2163 Depth=4
	s_or_b64 exec, exec, s[30:31]
	v_max_f32_e32 v7, v7, v7
	v_max_f32_e32 v0, v0, v0
	v_min_f32_e32 v7, v0, v7
.LBB2_2439:                             ;   in Loop: Header=BB2_2163 Depth=4
	v_and_b32_sdwa v0, v7, s97 dst_sel:DWORD dst_unused:UNUSED_PAD src0_sel:BYTE_3 src1_sel:DWORD
	v_and_b32_e32 v12, 0x7f800000, v7
	v_mov_b32_e32 v13, v51
	v_and_b32_e32 v50, 0x7fffff, v7
	v_or_b32_e32 v20, 0x7b, v0
	v_cmp_ne_u64_e32 vcc, s[52:53], v[12:13]
	s_and_saveexec_b64 s[30:31], vcc
	s_xor_b64 s[70:71], exec, s[30:31]
	s_cbranch_execz .LBB2_2449
; %bb.2440:                             ;   in Loop: Header=BB2_2163 Depth=4
	v_and_b32_e32 v12, 0x7fffffff, v7
	v_mov_b32_e32 v13, v51
	v_cmp_gt_u64_e32 vcc, s[54:55], v[12:13]
	s_and_saveexec_b64 s[72:73], vcc
	s_cbranch_execz .LBB2_2448
; %bb.2441:                             ;   in Loop: Header=BB2_2163 Depth=4
	v_cmp_ne_u32_e32 vcc, 0, v7
	v_mov_b32_e32 v20, 0
	s_and_saveexec_b64 s[74:75], vcc
	s_cbranch_execz .LBB2_2447
; %bb.2442:                             ;   in Loop: Header=BB2_2163 Depth=4
	v_bfe_u32 v7, v7, 23, 8
	v_sub_u32_e32 v13, 0x71, v7
	v_cmp_gt_u32_e32 vcc, s38, v7
	v_add_u32_e32 v12, 0xffffff81, v7
	v_cndmask_b32_e32 v13, 0, v13, vcc
	v_cmp_eq_u32_e32 vcc, 0, v7
	v_mov_b32_e32 v7, 0xffffff82
	v_cndmask_b32_e32 v7, v12, v7, vcc
	v_mov_b32_e32 v12, 0x70
	v_or_b32_e32 v14, 0x800000, v50
	v_cndmask_b32_e32 v15, v13, v12, vcc
	v_cndmask_b32_e32 v50, v14, v50, vcc
	v_add_u32_e32 v12, 21, v15
	v_lshlrev_b64 v[12:13], v12, -1
	v_add_u32_e32 v14, 20, v15
	v_lshrrev_b64 v[24:25], v15, v[50:51]
	v_not_b32_e32 v13, v13
	v_not_b32_e32 v12, v12
	v_lshlrev_b64 v[20:21], v14, 1
	v_lshrrev_b32_e32 v14, 23, v24
	v_and_b32_e32 v13, 0, v13
	v_and_b32_e32 v12, v50, v12
	v_add3_u32 v15, v15, v7, v14
	v_bfe_u32 v7, v24, 21, 1
	v_add_u32_e32 v7, -1, v7
	v_cmp_eq_u64_e32 vcc, v[12:13], v[20:21]
	v_cndmask_b32_e32 v7, 0, v7, vcc
	v_add_u32_e32 v7, v7, v24
	v_and_b32_e32 v7, 0x1fffff, v7
	v_add_co_u32_e32 v12, vcc, v7, v24
	v_add_u32_e32 v14, 14, v15
	v_addc_co_u32_e32 v13, vcc, 0, v25, vcc
	v_cmp_ne_u32_e32 vcc, 0, v14
                                        ; implicit-def: $vgpr7
	s_and_saveexec_b64 s[30:31], vcc
	s_xor_b64 s[30:31], exec, s[30:31]
; %bb.2443:                             ;   in Loop: Header=BB2_2163 Depth=4
	v_add_u32_e32 v7, 15, v15
	v_cmp_lt_u64_e32 vcc, s[56:57], v[12:13]
	v_cndmask_b32_e32 v7, v14, v7, vcc
	v_cndmask_b32_e64 v14, 0, 1, vcc
	v_lshrrev_b64 v[12:13], v14, v[12:13]
; %bb.2444:                             ;   in Loop: Header=BB2_2163 Depth=4
	s_andn2_saveexec_b64 vcc, s[30:31]
; %bb.2445:                             ;   in Loop: Header=BB2_2163 Depth=4
	v_bfe_u32 v7, v12, 23, 1
; %bb.2446:                             ;   in Loop: Header=BB2_2163 Depth=4
	s_or_b64 exec, exec, vcc
	v_lshrrev_b64 v[12:13], 21, v[12:13]
	v_cmp_gt_i32_e32 vcc, 32, v7
	v_cndmask_b32_e32 v13, 0, v13, vcc
	v_cndmask_b32_e32 v12, 3, v12, vcc
	v_cmp_eq_u32_e32 vcc, 0, v7
	v_min_i32_e32 v7, 31, v7
	v_cmp_eq_u64_e64 s[30:31], 0, v[12:13]
	v_lshlrev_b32_e32 v7, 2, v7
	v_and_or_b32 v7, v12, 3, v7
	s_and_b64 vcc, vcc, s[30:31]
	v_cndmask_b32_e64 v7, v7, 0, vcc
	v_or_b32_e32 v20, v7, v0
.LBB2_2447:                             ;   in Loop: Header=BB2_2163 Depth=4
	s_or_b64 exec, exec, s[74:75]
.LBB2_2448:                             ;   in Loop: Header=BB2_2163 Depth=4
	s_or_b64 exec, exec, s[72:73]
                                        ; implicit-def: $vgpr7
.LBB2_2449:                             ;   in Loop: Header=BB2_2163 Depth=4
	s_andn2_saveexec_b64 s[30:31], s[70:71]
; %bb.2450:                             ;   in Loop: Header=BB2_2163 Depth=4
	v_or_b32_sdwa v0, v7, s39 dst_sel:DWORD dst_unused:UNUSED_PAD src0_sel:BYTE_3 src1_sel:DWORD
	v_cmp_eq_u64_e32 vcc, 0, v[50:51]
	v_cndmask_b32_e32 v20, v0, v20, vcc
; %bb.2451:                             ;   in Loop: Header=BB2_2163 Depth=4
	s_or_b64 exec, exec, s[30:31]
	v_lshrrev_b32_e32 v14, 16, v27
	v_lshrrev_b32_e32 v12, 16, v9
	v_cmp_ne_u16_sdwa s[30:31], v14, v51 src0_sel:BYTE_0 src1_sel:DWORD
	s_and_b64 vcc, exec, s[68:69]
	s_cbranch_vccz .LBB2_2469
; %bb.2452:                             ;   in Loop: Header=BB2_2163 Depth=4
	v_mov_b32_e32 v7, 0
	v_mov_b32_e32 v0, 0
	s_and_saveexec_b64 s[70:71], s[30:31]
	s_cbranch_execz .LBB2_2460
; %bb.2453:                             ;   in Loop: Header=BB2_2163 Depth=4
	v_cmp_ne_u16_sdwa vcc, v14, s97 src0_sel:BYTE_0 src1_sel:DWORD
	v_bfrev_b32_e32 v0, 1
	s_and_saveexec_b64 s[72:73], vcc
	s_cbranch_execz .LBB2_2459
; %bb.2454:                             ;   in Loop: Header=BB2_2163 Depth=4
	v_and_b32_e32 v0, 0x7c0000, v27
	v_bfe_u32 v13, v27, 16, 2
	v_cmp_ne_u32_e32 vcc, s36, v0
                                        ; implicit-def: $vgpr0
	s_and_saveexec_b64 s[74:75], vcc
	s_xor_b64 s[74:75], exec, s[74:75]
	s_cbranch_execz .LBB2_2456
; %bb.2455:                             ;   in Loop: Header=BB2_2163 Depth=4
	v_ffbh_u32_e32 v15, v13
	v_min_u32_e32 v15, 32, v15
	v_subrev_u32_e32 v21, 29, v15
	v_bfe_u32 v0, v27, 18, 5
	v_lshlrev_b64 v[24:25], v21, v[14:15]
	v_sub_u32_e32 v15, 30, v15
	v_and_b32_e32 v21, 3, v24
	v_cmp_eq_u32_e32 vcc, 0, v0
	v_cndmask_b32_e32 v0, v0, v15, vcc
	v_cndmask_b32_e32 v13, v13, v21, vcc
	v_bfrev_b32_e32 v21, 28
	v_lshlrev_b32_e32 v15, 24, v14
	v_lshl_add_u32 v0, v0, 23, v21
	v_and_or_b32 v0, v15, s96, v0
	v_lshl_or_b32 v0, v13, 21, v0
                                        ; implicit-def: $vgpr13
.LBB2_2456:                             ;   in Loop: Header=BB2_2163 Depth=4
	s_andn2_saveexec_b64 s[74:75], s[74:75]
; %bb.2457:                             ;   in Loop: Header=BB2_2163 Depth=4
	v_mov_b32_e32 v0, -1
	v_cmp_gt_i16_sdwa vcc, sext(v14), v0 src0_sel:BYTE_0 src1_sel:DWORD
	v_mov_b32_e32 v0, 0xc7600000
	v_mov_b32_e32 v15, 0x47600000
	v_cndmask_b32_e32 v0, v0, v15, vcc
	v_cmp_eq_u32_e32 vcc, 0, v13
	v_mov_b32_e32 v13, 0x7f800001
	v_cndmask_b32_e32 v0, v13, v0, vcc
; %bb.2458:                             ;   in Loop: Header=BB2_2163 Depth=4
	s_or_b64 exec, exec, s[74:75]
.LBB2_2459:                             ;   in Loop: Header=BB2_2163 Depth=4
	s_or_b64 exec, exec, s[72:73]
.LBB2_2460:                             ;   in Loop: Header=BB2_2163 Depth=4
	s_or_b64 exec, exec, s[70:71]
	v_cmp_ne_u16_sdwa vcc, v12, v51 src0_sel:BYTE_0 src1_sel:DWORD
	s_and_saveexec_b64 s[70:71], vcc
	s_cbranch_execz .LBB2_2468
; %bb.2461:                             ;   in Loop: Header=BB2_2163 Depth=4
	v_cmp_ne_u16_sdwa vcc, v12, s97 src0_sel:BYTE_0 src1_sel:DWORD
	v_bfrev_b32_e32 v7, 1
	s_and_saveexec_b64 s[72:73], vcc
	s_cbranch_execz .LBB2_2467
; %bb.2462:                             ;   in Loop: Header=BB2_2163 Depth=4
	v_and_b32_e32 v7, 0x7c0000, v9
	v_bfe_u32 v13, v9, 16, 2
	v_cmp_ne_u32_e32 vcc, s36, v7
                                        ; implicit-def: $vgpr7
	s_and_saveexec_b64 s[74:75], vcc
	s_xor_b64 s[74:75], exec, s[74:75]
	s_cbranch_execz .LBB2_2464
; %bb.2463:                             ;   in Loop: Header=BB2_2163 Depth=4
	v_ffbh_u32_e32 v15, v13
	v_min_u32_e32 v15, 32, v15
	v_subrev_u32_e32 v21, 29, v15
	v_bfe_u32 v7, v9, 18, 5
	v_lshlrev_b64 v[24:25], v21, v[12:13]
	v_sub_u32_e32 v15, 30, v15
	v_and_b32_e32 v21, 3, v24
	v_cmp_eq_u32_e32 vcc, 0, v7
	v_cndmask_b32_e32 v7, v7, v15, vcc
	v_cndmask_b32_e32 v13, v13, v21, vcc
	v_bfrev_b32_e32 v21, 28
	v_lshlrev_b32_e32 v15, 24, v12
	v_lshl_add_u32 v7, v7, 23, v21
	v_and_or_b32 v7, v15, s96, v7
	v_lshl_or_b32 v7, v13, 21, v7
                                        ; implicit-def: $vgpr13
.LBB2_2464:                             ;   in Loop: Header=BB2_2163 Depth=4
	s_andn2_saveexec_b64 s[74:75], s[74:75]
; %bb.2465:                             ;   in Loop: Header=BB2_2163 Depth=4
	v_mov_b32_e32 v7, -1
	v_cmp_gt_i16_sdwa vcc, sext(v12), v7 src0_sel:BYTE_0 src1_sel:DWORD
	v_mov_b32_e32 v7, 0xc7600000
	v_mov_b32_e32 v15, 0x47600000
	v_cndmask_b32_e32 v7, v7, v15, vcc
	v_cmp_eq_u32_e32 vcc, 0, v13
	v_mov_b32_e32 v13, 0x7f800001
	v_cndmask_b32_e32 v7, v13, v7, vcc
; %bb.2466:                             ;   in Loop: Header=BB2_2163 Depth=4
	s_or_b64 exec, exec, s[74:75]
.LBB2_2467:                             ;   in Loop: Header=BB2_2163 Depth=4
	s_or_b64 exec, exec, s[72:73]
.LBB2_2468:                             ;   in Loop: Header=BB2_2163 Depth=4
	s_or_b64 exec, exec, s[70:71]
	v_max_f32_e32 v7, v7, v7
	v_max_f32_e32 v0, v0, v0
	;; [unrolled: 1-line block ×3, first 2 shown]
	s_branch .LBB2_2487
.LBB2_2469:                             ;   in Loop: Header=BB2_2163 Depth=4
                                        ; implicit-def: $vgpr7
	s_cbranch_execz .LBB2_2487
; %bb.2470:                             ;   in Loop: Header=BB2_2163 Depth=4
	v_mov_b32_e32 v7, 0
	v_mov_b32_e32 v0, 0
	s_and_saveexec_b64 s[70:71], s[30:31]
	s_cbranch_execz .LBB2_2478
; %bb.2471:                             ;   in Loop: Header=BB2_2163 Depth=4
	v_cmp_ne_u16_sdwa vcc, v14, s97 src0_sel:BYTE_0 src1_sel:DWORD
	v_bfrev_b32_e32 v0, 1
	s_and_saveexec_b64 s[30:31], vcc
	s_cbranch_execz .LBB2_2477
; %bb.2472:                             ;   in Loop: Header=BB2_2163 Depth=4
	v_and_b32_e32 v0, 0x7c0000, v27
	v_bfe_u32 v13, v27, 16, 2
	v_cmp_ne_u32_e32 vcc, s36, v0
                                        ; implicit-def: $vgpr0
	s_and_saveexec_b64 s[72:73], vcc
	s_xor_b64 s[72:73], exec, s[72:73]
	s_cbranch_execz .LBB2_2474
; %bb.2473:                             ;   in Loop: Header=BB2_2163 Depth=4
	v_ffbh_u32_e32 v15, v13
	v_min_u32_e32 v15, 32, v15
	v_bfe_u32 v0, v27, 18, 5
	v_subrev_u32_e32 v21, 29, v15
	v_lshlrev_b64 v[24:25], v21, v[14:15]
	v_sub_u32_e32 v15, 30, v15
	v_cmp_eq_u32_e32 vcc, 0, v0
	v_cndmask_b32_e32 v0, v0, v15, vcc
	v_bfrev_b32_e32 v15, 28
	v_and_b32_e32 v21, 3, v24
	v_lshlrev_b32_e32 v14, 24, v14
	v_lshl_add_u32 v0, v0, 23, v15
	v_cndmask_b32_e32 v13, v13, v21, vcc
	v_and_or_b32 v0, v14, s96, v0
	v_lshl_or_b32 v0, v13, 21, v0
                                        ; implicit-def: $vgpr13
                                        ; implicit-def: $vgpr14
.LBB2_2474:                             ;   in Loop: Header=BB2_2163 Depth=4
	s_andn2_saveexec_b64 s[72:73], s[72:73]
; %bb.2475:                             ;   in Loop: Header=BB2_2163 Depth=4
	v_mov_b32_e32 v0, -1
	v_cmp_gt_i16_sdwa vcc, sext(v14), v0 src0_sel:BYTE_0 src1_sel:DWORD
	v_mov_b32_e32 v0, 0xc7600000
	v_mov_b32_e32 v14, 0x47600000
	v_cndmask_b32_e32 v0, v0, v14, vcc
	v_cmp_eq_u32_e32 vcc, 0, v13
	v_mov_b32_e32 v13, 0x7f800001
	v_cndmask_b32_e32 v0, v13, v0, vcc
; %bb.2476:                             ;   in Loop: Header=BB2_2163 Depth=4
	s_or_b64 exec, exec, s[72:73]
.LBB2_2477:                             ;   in Loop: Header=BB2_2163 Depth=4
	s_or_b64 exec, exec, s[30:31]
.LBB2_2478:                             ;   in Loop: Header=BB2_2163 Depth=4
	s_or_b64 exec, exec, s[70:71]
	v_cmp_ne_u16_sdwa vcc, v12, v51 src0_sel:BYTE_0 src1_sel:DWORD
	s_and_saveexec_b64 s[30:31], vcc
	s_cbranch_execz .LBB2_2486
; %bb.2479:                             ;   in Loop: Header=BB2_2163 Depth=4
	v_cmp_ne_u16_sdwa vcc, v12, s97 src0_sel:BYTE_0 src1_sel:DWORD
	v_bfrev_b32_e32 v7, 1
	s_and_saveexec_b64 s[70:71], vcc
	s_cbranch_execz .LBB2_2485
; %bb.2480:                             ;   in Loop: Header=BB2_2163 Depth=4
	v_and_b32_e32 v7, 0x7c0000, v9
	v_bfe_u32 v13, v9, 16, 2
	v_cmp_ne_u32_e32 vcc, s36, v7
                                        ; implicit-def: $vgpr7
	s_and_saveexec_b64 s[72:73], vcc
	s_xor_b64 s[72:73], exec, s[72:73]
	s_cbranch_execz .LBB2_2482
; %bb.2481:                             ;   in Loop: Header=BB2_2163 Depth=4
	v_ffbh_u32_e32 v14, v13
	v_min_u32_e32 v21, 32, v14
	v_subrev_u32_e32 v14, 29, v21
	v_bfe_u32 v7, v9, 18, 5
	v_lshlrev_b64 v[14:15], v14, v[12:13]
	v_sub_u32_e32 v15, 30, v21
	v_and_b32_e32 v14, 3, v14
	v_cmp_eq_u32_e32 vcc, 0, v7
	v_cndmask_b32_e32 v7, v7, v15, vcc
	v_cndmask_b32_e32 v13, v13, v14, vcc
	v_bfrev_b32_e32 v14, 28
	v_lshlrev_b32_e32 v12, 24, v12
	v_lshl_add_u32 v7, v7, 23, v14
	v_and_or_b32 v7, v12, s96, v7
	v_lshl_or_b32 v7, v13, 21, v7
                                        ; implicit-def: $vgpr13
                                        ; implicit-def: $vgpr12
.LBB2_2482:                             ;   in Loop: Header=BB2_2163 Depth=4
	s_andn2_saveexec_b64 s[72:73], s[72:73]
; %bb.2483:                             ;   in Loop: Header=BB2_2163 Depth=4
	v_mov_b32_e32 v7, -1
	v_cmp_gt_i16_sdwa vcc, sext(v12), v7 src0_sel:BYTE_0 src1_sel:DWORD
	v_mov_b32_e32 v7, 0xc7600000
	v_mov_b32_e32 v12, 0x47600000
	v_cndmask_b32_e32 v7, v7, v12, vcc
	v_cmp_eq_u32_e32 vcc, 0, v13
	v_mov_b32_e32 v12, 0x7f800001
	v_cndmask_b32_e32 v7, v12, v7, vcc
; %bb.2484:                             ;   in Loop: Header=BB2_2163 Depth=4
	s_or_b64 exec, exec, s[72:73]
.LBB2_2485:                             ;   in Loop: Header=BB2_2163 Depth=4
	s_or_b64 exec, exec, s[70:71]
.LBB2_2486:                             ;   in Loop: Header=BB2_2163 Depth=4
	s_or_b64 exec, exec, s[30:31]
	v_max_f32_e32 v7, v7, v7
	v_max_f32_e32 v0, v0, v0
	v_min_f32_e32 v7, v0, v7
.LBB2_2487:                             ;   in Loop: Header=BB2_2163 Depth=4
	v_and_b32_sdwa v0, v7, s97 dst_sel:DWORD dst_unused:UNUSED_PAD src0_sel:BYTE_3 src1_sel:DWORD
	v_and_b32_e32 v12, 0x7f800000, v7
	v_mov_b32_e32 v13, v51
	v_and_b32_e32 v50, 0x7fffff, v7
	v_or_b32_e32 v21, 0x7b, v0
	v_cmp_ne_u64_e32 vcc, s[52:53], v[12:13]
	s_and_saveexec_b64 s[30:31], vcc
	s_xor_b64 s[70:71], exec, s[30:31]
	s_cbranch_execz .LBB2_2497
; %bb.2488:                             ;   in Loop: Header=BB2_2163 Depth=4
	v_and_b32_e32 v12, 0x7fffffff, v7
	v_mov_b32_e32 v13, v51
	v_cmp_gt_u64_e32 vcc, s[54:55], v[12:13]
	s_and_saveexec_b64 s[72:73], vcc
	s_cbranch_execz .LBB2_2496
; %bb.2489:                             ;   in Loop: Header=BB2_2163 Depth=4
	v_cmp_ne_u32_e32 vcc, 0, v7
	v_mov_b32_e32 v21, 0
	s_and_saveexec_b64 s[74:75], vcc
	s_cbranch_execz .LBB2_2495
; %bb.2490:                             ;   in Loop: Header=BB2_2163 Depth=4
	v_bfe_u32 v7, v7, 23, 8
	v_sub_u32_e32 v13, 0x71, v7
	v_cmp_gt_u32_e32 vcc, s38, v7
	v_add_u32_e32 v12, 0xffffff81, v7
	v_cndmask_b32_e32 v13, 0, v13, vcc
	v_cmp_eq_u32_e32 vcc, 0, v7
	v_mov_b32_e32 v7, 0xffffff82
	v_cndmask_b32_e32 v7, v12, v7, vcc
	v_mov_b32_e32 v12, 0x70
	v_or_b32_e32 v14, 0x800000, v50
	v_cndmask_b32_e32 v15, v13, v12, vcc
	v_cndmask_b32_e32 v50, v14, v50, vcc
	v_add_u32_e32 v12, 21, v15
	v_lshlrev_b64 v[12:13], v12, -1
	v_add_u32_e32 v14, 20, v15
	v_lshrrev_b64 v[30:31], v15, v[50:51]
	v_not_b32_e32 v13, v13
	v_not_b32_e32 v12, v12
	v_lshlrev_b64 v[24:25], v14, 1
	v_lshrrev_b32_e32 v14, 23, v30
	v_and_b32_e32 v13, 0, v13
	v_and_b32_e32 v12, v50, v12
	v_add3_u32 v15, v15, v7, v14
	v_bfe_u32 v7, v30, 21, 1
	v_add_u32_e32 v7, -1, v7
	v_cmp_eq_u64_e32 vcc, v[12:13], v[24:25]
	v_cndmask_b32_e32 v7, 0, v7, vcc
	v_add_u32_e32 v7, v7, v30
	v_and_b32_e32 v7, 0x1fffff, v7
	v_add_co_u32_e32 v12, vcc, v7, v30
	v_add_u32_e32 v14, 14, v15
	v_addc_co_u32_e32 v13, vcc, 0, v31, vcc
	v_cmp_ne_u32_e32 vcc, 0, v14
                                        ; implicit-def: $vgpr7
	s_and_saveexec_b64 s[30:31], vcc
	s_xor_b64 s[30:31], exec, s[30:31]
; %bb.2491:                             ;   in Loop: Header=BB2_2163 Depth=4
	v_add_u32_e32 v7, 15, v15
	v_cmp_lt_u64_e32 vcc, s[56:57], v[12:13]
	v_cndmask_b32_e32 v7, v14, v7, vcc
	v_cndmask_b32_e64 v14, 0, 1, vcc
	v_lshrrev_b64 v[12:13], v14, v[12:13]
; %bb.2492:                             ;   in Loop: Header=BB2_2163 Depth=4
	s_andn2_saveexec_b64 vcc, s[30:31]
; %bb.2493:                             ;   in Loop: Header=BB2_2163 Depth=4
	v_bfe_u32 v7, v12, 23, 1
; %bb.2494:                             ;   in Loop: Header=BB2_2163 Depth=4
	s_or_b64 exec, exec, vcc
	v_lshrrev_b64 v[12:13], 21, v[12:13]
	v_cmp_gt_i32_e32 vcc, 32, v7
	v_cndmask_b32_e32 v13, 0, v13, vcc
	v_cndmask_b32_e32 v12, 3, v12, vcc
	v_cmp_eq_u32_e32 vcc, 0, v7
	v_min_i32_e32 v7, 31, v7
	v_cmp_eq_u64_e64 s[30:31], 0, v[12:13]
	v_lshlrev_b32_e32 v7, 2, v7
	v_and_or_b32 v7, v12, 3, v7
	s_and_b64 vcc, vcc, s[30:31]
	v_cndmask_b32_e64 v7, v7, 0, vcc
	v_or_b32_e32 v21, v7, v0
.LBB2_2495:                             ;   in Loop: Header=BB2_2163 Depth=4
	s_or_b64 exec, exec, s[74:75]
.LBB2_2496:                             ;   in Loop: Header=BB2_2163 Depth=4
	s_or_b64 exec, exec, s[72:73]
                                        ; implicit-def: $vgpr7
.LBB2_2497:                             ;   in Loop: Header=BB2_2163 Depth=4
	s_andn2_saveexec_b64 s[30:31], s[70:71]
; %bb.2498:                             ;   in Loop: Header=BB2_2163 Depth=4
	v_or_b32_sdwa v0, v7, s39 dst_sel:DWORD dst_unused:UNUSED_PAD src0_sel:BYTE_3 src1_sel:DWORD
	v_cmp_eq_u64_e32 vcc, 0, v[50:51]
	v_cndmask_b32_e32 v21, v0, v21, vcc
; %bb.2499:                             ;   in Loop: Header=BB2_2163 Depth=4
	s_or_b64 exec, exec, s[30:31]
	v_lshrrev_b32_e32 v14, 24, v27
	v_lshrrev_b32_e32 v12, 24, v9
	v_cmp_lt_u64_e64 s[30:31], s[42:43], v[26:27]
	s_and_b64 vcc, exec, s[68:69]
	s_cbranch_vccz .LBB2_2517
; %bb.2500:                             ;   in Loop: Header=BB2_2163 Depth=4
	v_mov_b32_e32 v7, 0
	v_mov_b32_e32 v0, 0
	s_and_saveexec_b64 s[70:71], s[30:31]
	s_cbranch_execz .LBB2_2508
; %bb.2501:                             ;   in Loop: Header=BB2_2163 Depth=4
	v_cmp_ne_u32_e32 vcc, s97, v14
	v_bfrev_b32_e32 v0, 1
	s_and_saveexec_b64 s[72:73], vcc
	s_cbranch_execz .LBB2_2507
; %bb.2502:                             ;   in Loop: Header=BB2_2163 Depth=4
	v_and_b32_e32 v0, 0x7c000000, v27
	v_bfe_u32 v13, v27, 24, 2
	v_cmp_ne_u32_e32 vcc, s37, v0
                                        ; implicit-def: $vgpr0
	s_and_saveexec_b64 s[74:75], vcc
	s_xor_b64 s[74:75], exec, s[74:75]
	s_cbranch_execz .LBB2_2504
; %bb.2503:                             ;   in Loop: Header=BB2_2163 Depth=4
	v_ffbh_u32_e32 v15, v13
	v_min_u32_e32 v15, 32, v15
	v_bfe_u32 v0, v27, 26, 5
	v_subrev_u32_e32 v24, 29, v15
	v_lshlrev_b64 v[24:25], v24, v[14:15]
	v_sub_u32_e32 v15, 30, v15
	v_cmp_eq_u32_e32 vcc, 0, v0
	v_cndmask_b32_e32 v0, v0, v15, vcc
	v_bfrev_b32_e32 v15, 28
	v_and_b32_e32 v24, 3, v24
	v_lshl_add_u32 v0, v0, 23, v15
	v_cndmask_b32_e32 v13, v13, v24, vcc
	v_and_or_b32 v0, v27, s96, v0
	v_lshl_or_b32 v0, v13, 21, v0
                                        ; implicit-def: $vgpr13
.LBB2_2504:                             ;   in Loop: Header=BB2_2163 Depth=4
	s_andn2_saveexec_b64 s[74:75], s[74:75]
; %bb.2505:                             ;   in Loop: Header=BB2_2163 Depth=4
	v_cmp_lt_i64_e32 vcc, -1, v[26:27]
	v_mov_b32_e32 v0, 0xc7600000
	v_mov_b32_e32 v15, 0x47600000
	v_cndmask_b32_e32 v0, v0, v15, vcc
	v_cmp_eq_u32_e32 vcc, 0, v13
	v_mov_b32_e32 v13, 0x7f800001
	v_cndmask_b32_e32 v0, v13, v0, vcc
; %bb.2506:                             ;   in Loop: Header=BB2_2163 Depth=4
	s_or_b64 exec, exec, s[74:75]
.LBB2_2507:                             ;   in Loop: Header=BB2_2163 Depth=4
	s_or_b64 exec, exec, s[72:73]
.LBB2_2508:                             ;   in Loop: Header=BB2_2163 Depth=4
	s_or_b64 exec, exec, s[70:71]
	v_cmp_lt_u64_e32 vcc, s[42:43], v[8:9]
	s_and_saveexec_b64 s[70:71], vcc
	s_cbranch_execz .LBB2_2516
; %bb.2509:                             ;   in Loop: Header=BB2_2163 Depth=4
	v_cmp_ne_u32_e32 vcc, s97, v12
	v_bfrev_b32_e32 v7, 1
	s_and_saveexec_b64 s[72:73], vcc
	s_cbranch_execz .LBB2_2515
; %bb.2510:                             ;   in Loop: Header=BB2_2163 Depth=4
	v_and_b32_e32 v7, 0x7c000000, v9
	v_bfe_u32 v13, v9, 24, 2
	v_cmp_ne_u32_e32 vcc, s37, v7
                                        ; implicit-def: $vgpr7
	s_and_saveexec_b64 s[74:75], vcc
	s_xor_b64 s[74:75], exec, s[74:75]
	s_cbranch_execz .LBB2_2512
; %bb.2511:                             ;   in Loop: Header=BB2_2163 Depth=4
	v_ffbh_u32_e32 v15, v13
	v_bfe_u32 v7, v9, 26, 5
	v_min_u32_e32 v15, 32, v15
	v_subrev_u32_e32 v24, 29, v15
	v_sub_u32_e32 v15, 30, v15
	v_cmp_eq_u32_e32 vcc, 0, v7
	v_lshlrev_b64 v[24:25], v24, v[12:13]
	v_cndmask_b32_e32 v7, v7, v15, vcc
	v_bfrev_b32_e32 v15, 28
	v_and_b32_e32 v24, 3, v24
	v_lshl_add_u32 v7, v7, 23, v15
	v_cndmask_b32_e32 v13, v13, v24, vcc
	v_and_or_b32 v7, v9, s96, v7
	v_lshl_or_b32 v7, v13, 21, v7
                                        ; implicit-def: $vgpr13
.LBB2_2512:                             ;   in Loop: Header=BB2_2163 Depth=4
	s_andn2_saveexec_b64 s[74:75], s[74:75]
; %bb.2513:                             ;   in Loop: Header=BB2_2163 Depth=4
	v_cmp_lt_i64_e32 vcc, -1, v[8:9]
	v_mov_b32_e32 v7, 0xc7600000
	v_mov_b32_e32 v15, 0x47600000
	v_cndmask_b32_e32 v7, v7, v15, vcc
	v_cmp_eq_u32_e32 vcc, 0, v13
	v_mov_b32_e32 v13, 0x7f800001
	v_cndmask_b32_e32 v7, v13, v7, vcc
; %bb.2514:                             ;   in Loop: Header=BB2_2163 Depth=4
	s_or_b64 exec, exec, s[74:75]
.LBB2_2515:                             ;   in Loop: Header=BB2_2163 Depth=4
	s_or_b64 exec, exec, s[72:73]
.LBB2_2516:                             ;   in Loop: Header=BB2_2163 Depth=4
	s_or_b64 exec, exec, s[70:71]
	v_max_f32_e32 v7, v7, v7
	v_max_f32_e32 v0, v0, v0
	;; [unrolled: 1-line block ×3, first 2 shown]
	s_branch .LBB2_2535
.LBB2_2517:                             ;   in Loop: Header=BB2_2163 Depth=4
                                        ; implicit-def: $vgpr7
	s_cbranch_execz .LBB2_2535
; %bb.2518:                             ;   in Loop: Header=BB2_2163 Depth=4
	v_mov_b32_e32 v7, 0
	v_mov_b32_e32 v0, 0
	s_and_saveexec_b64 s[70:71], s[30:31]
	s_cbranch_execz .LBB2_2526
; %bb.2519:                             ;   in Loop: Header=BB2_2163 Depth=4
	v_cmp_ne_u32_e32 vcc, s97, v14
	v_bfrev_b32_e32 v0, 1
	s_and_saveexec_b64 s[30:31], vcc
	s_cbranch_execz .LBB2_2525
; %bb.2520:                             ;   in Loop: Header=BB2_2163 Depth=4
	v_and_b32_e32 v0, 0x7c000000, v27
	v_bfe_u32 v13, v27, 24, 2
	v_cmp_ne_u32_e32 vcc, s37, v0
                                        ; implicit-def: $vgpr0
	s_and_saveexec_b64 s[72:73], vcc
	s_xor_b64 s[72:73], exec, s[72:73]
	s_cbranch_execz .LBB2_2522
; %bb.2521:                             ;   in Loop: Header=BB2_2163 Depth=4
	v_ffbh_u32_e32 v15, v13
	v_min_u32_e32 v24, 32, v15
	v_subrev_u32_e32 v15, 29, v24
	v_bfe_u32 v0, v27, 26, 5
	v_lshlrev_b64 v[14:15], v15, v[14:15]
	v_sub_u32_e32 v15, 30, v24
	v_and_b32_e32 v14, 3, v14
	v_cmp_eq_u32_e32 vcc, 0, v0
	v_cndmask_b32_e32 v0, v0, v15, vcc
	v_cndmask_b32_e32 v13, v13, v14, vcc
	v_bfrev_b32_e32 v14, 28
	v_lshl_add_u32 v0, v0, 23, v14
	v_and_or_b32 v0, v27, s96, v0
	v_lshl_or_b32 v0, v13, 21, v0
                                        ; implicit-def: $vgpr13
.LBB2_2522:                             ;   in Loop: Header=BB2_2163 Depth=4
	s_andn2_saveexec_b64 s[72:73], s[72:73]
; %bb.2523:                             ;   in Loop: Header=BB2_2163 Depth=4
	v_cmp_lt_i64_e32 vcc, -1, v[26:27]
	v_mov_b32_e32 v0, 0xc7600000
	v_mov_b32_e32 v14, 0x47600000
	v_cndmask_b32_e32 v0, v0, v14, vcc
	v_cmp_eq_u32_e32 vcc, 0, v13
	v_mov_b32_e32 v13, 0x7f800001
	v_cndmask_b32_e32 v0, v13, v0, vcc
; %bb.2524:                             ;   in Loop: Header=BB2_2163 Depth=4
	s_or_b64 exec, exec, s[72:73]
.LBB2_2525:                             ;   in Loop: Header=BB2_2163 Depth=4
	s_or_b64 exec, exec, s[30:31]
.LBB2_2526:                             ;   in Loop: Header=BB2_2163 Depth=4
	s_or_b64 exec, exec, s[70:71]
	v_cmp_lt_u64_e32 vcc, s[42:43], v[8:9]
	s_and_saveexec_b64 s[30:31], vcc
	s_cbranch_execz .LBB2_2534
; %bb.2527:                             ;   in Loop: Header=BB2_2163 Depth=4
	v_cmp_ne_u32_e32 vcc, s97, v12
	v_bfrev_b32_e32 v7, 1
	s_and_saveexec_b64 s[70:71], vcc
	s_cbranch_execz .LBB2_2533
; %bb.2528:                             ;   in Loop: Header=BB2_2163 Depth=4
	v_and_b32_e32 v7, 0x7c000000, v9
	v_bfe_u32 v13, v9, 24, 2
	v_cmp_ne_u32_e32 vcc, s37, v7
                                        ; implicit-def: $vgpr7
	s_and_saveexec_b64 s[72:73], vcc
	s_xor_b64 s[72:73], exec, s[72:73]
	s_cbranch_execz .LBB2_2530
; %bb.2529:                             ;   in Loop: Header=BB2_2163 Depth=4
	v_ffbh_u32_e32 v8, v13
	v_min_u32_e32 v8, 32, v8
	v_subrev_u32_e32 v14, 29, v8
	v_bfe_u32 v7, v9, 26, 5
	v_lshlrev_b64 v[14:15], v14, v[12:13]
	v_sub_u32_e32 v8, 30, v8
	v_and_b32_e32 v12, 3, v14
	v_cmp_eq_u32_e32 vcc, 0, v7
	v_cndmask_b32_e32 v7, v7, v8, vcc
	v_cndmask_b32_e32 v8, v13, v12, vcc
	v_bfrev_b32_e32 v12, 28
	v_lshl_add_u32 v7, v7, 23, v12
	v_and_or_b32 v7, v9, s96, v7
	v_lshl_or_b32 v7, v8, 21, v7
                                        ; implicit-def: $vgpr13
.LBB2_2530:                             ;   in Loop: Header=BB2_2163 Depth=4
	s_andn2_saveexec_b64 s[72:73], s[72:73]
; %bb.2531:                             ;   in Loop: Header=BB2_2163 Depth=4
	v_cmp_lt_i64_e32 vcc, -1, v[8:9]
	v_mov_b32_e32 v7, 0xc7600000
	v_mov_b32_e32 v8, 0x47600000
	v_cndmask_b32_e32 v7, v7, v8, vcc
	v_cmp_eq_u32_e32 vcc, 0, v13
	v_mov_b32_e32 v8, 0x7f800001
	v_cndmask_b32_e32 v7, v8, v7, vcc
; %bb.2532:                             ;   in Loop: Header=BB2_2163 Depth=4
	s_or_b64 exec, exec, s[72:73]
.LBB2_2533:                             ;   in Loop: Header=BB2_2163 Depth=4
	s_or_b64 exec, exec, s[70:71]
.LBB2_2534:                             ;   in Loop: Header=BB2_2163 Depth=4
	s_or_b64 exec, exec, s[30:31]
	v_max_f32_e32 v7, v7, v7
	v_max_f32_e32 v0, v0, v0
	v_min_f32_e32 v7, v0, v7
.LBB2_2535:                             ;   in Loop: Header=BB2_2163 Depth=4
	v_and_b32_sdwa v0, v7, s97 dst_sel:DWORD dst_unused:UNUSED_PAD src0_sel:BYTE_3 src1_sel:DWORD
	v_and_b32_e32 v8, 0x7f800000, v7
	v_mov_b32_e32 v9, v51
	v_and_b32_e32 v50, 0x7fffff, v7
	v_or_b32_e32 v26, 0x7b, v0
	v_cmp_ne_u64_e32 vcc, s[52:53], v[8:9]
	s_and_saveexec_b64 s[30:31], vcc
	s_xor_b64 s[70:71], exec, s[30:31]
	s_cbranch_execz .LBB2_2563
; %bb.2536:                             ;   in Loop: Header=BB2_2163 Depth=4
	v_and_b32_e32 v8, 0x7fffffff, v7
	v_mov_b32_e32 v9, v51
	v_cmp_gt_u64_e32 vcc, s[54:55], v[8:9]
	s_and_saveexec_b64 s[72:73], vcc
	s_cbranch_execz .LBB2_2544
; %bb.2537:                             ;   in Loop: Header=BB2_2163 Depth=4
	v_cmp_ne_u32_e32 vcc, 0, v7
	v_mov_b32_e32 v26, 0
	s_and_saveexec_b64 s[74:75], vcc
	s_cbranch_execz .LBB2_2543
; %bb.2538:                             ;   in Loop: Header=BB2_2163 Depth=4
	v_bfe_u32 v7, v7, 23, 8
	v_sub_u32_e32 v9, 0x71, v7
	v_cmp_gt_u32_e32 vcc, s38, v7
	v_add_u32_e32 v8, 0xffffff81, v7
	v_cndmask_b32_e32 v9, 0, v9, vcc
	v_cmp_eq_u32_e32 vcc, 0, v7
	v_mov_b32_e32 v7, 0xffffff82
	v_cndmask_b32_e32 v7, v8, v7, vcc
	v_mov_b32_e32 v8, 0x70
	v_or_b32_e32 v12, 0x800000, v50
	v_cndmask_b32_e32 v13, v9, v8, vcc
	v_cndmask_b32_e32 v50, v12, v50, vcc
	v_add_u32_e32 v8, 21, v13
	v_lshlrev_b64 v[8:9], v8, -1
	v_add_u32_e32 v12, 20, v13
	v_lshrrev_b64 v[24:25], v13, v[50:51]
	v_not_b32_e32 v9, v9
	v_not_b32_e32 v8, v8
	v_lshlrev_b64 v[14:15], v12, 1
	v_lshrrev_b32_e32 v12, 23, v24
	v_and_b32_e32 v9, 0, v9
	v_and_b32_e32 v8, v50, v8
	v_add3_u32 v13, v13, v7, v12
	v_bfe_u32 v7, v24, 21, 1
	v_add_u32_e32 v7, -1, v7
	v_cmp_eq_u64_e32 vcc, v[8:9], v[14:15]
	v_cndmask_b32_e32 v7, 0, v7, vcc
	v_add_u32_e32 v7, v7, v24
	v_and_b32_e32 v7, 0x1fffff, v7
	v_add_co_u32_e32 v8, vcc, v7, v24
	v_add_u32_e32 v12, 14, v13
	v_addc_co_u32_e32 v9, vcc, 0, v25, vcc
	v_cmp_ne_u32_e32 vcc, 0, v12
                                        ; implicit-def: $vgpr7
	s_and_saveexec_b64 s[30:31], vcc
	s_xor_b64 s[30:31], exec, s[30:31]
; %bb.2539:                             ;   in Loop: Header=BB2_2163 Depth=4
	v_add_u32_e32 v7, 15, v13
	v_cmp_lt_u64_e32 vcc, s[56:57], v[8:9]
	v_cndmask_b32_e32 v7, v12, v7, vcc
	v_cndmask_b32_e64 v12, 0, 1, vcc
	v_lshrrev_b64 v[8:9], v12, v[8:9]
; %bb.2540:                             ;   in Loop: Header=BB2_2163 Depth=4
	s_andn2_saveexec_b64 vcc, s[30:31]
; %bb.2541:                             ;   in Loop: Header=BB2_2163 Depth=4
	v_bfe_u32 v7, v8, 23, 1
; %bb.2542:                             ;   in Loop: Header=BB2_2163 Depth=4
	s_or_b64 exec, exec, vcc
	v_lshrrev_b64 v[8:9], 21, v[8:9]
	v_cmp_gt_i32_e32 vcc, 32, v7
	v_cndmask_b32_e32 v9, 0, v9, vcc
	v_cndmask_b32_e32 v8, 3, v8, vcc
	v_cmp_eq_u32_e32 vcc, 0, v7
	v_min_i32_e32 v7, 31, v7
	v_lshlrev_b32_e32 v7, 2, v7
	v_cmp_eq_u64_e64 s[30:31], 0, v[8:9]
	v_and_b32_e32 v7, 0xfc, v7
	v_and_or_b32 v7, v8, 3, v7
	s_and_b64 vcc, vcc, s[30:31]
	v_cndmask_b32_e64 v7, v7, 0, vcc
	v_or_b32_e32 v26, v7, v0
.LBB2_2543:                             ;   in Loop: Header=BB2_2163 Depth=4
	s_or_b64 exec, exec, s[74:75]
.LBB2_2544:                             ;   in Loop: Header=BB2_2163 Depth=4
	s_or_b64 exec, exec, s[72:73]
                                        ; implicit-def: $vgpr7
	s_andn2_saveexec_b64 s[30:31], s[70:71]
	s_cbranch_execnz .LBB2_2564
.LBB2_2545:                             ;   in Loop: Header=BB2_2163 Depth=4
	s_or_b64 exec, exec, s[30:31]
	v_cmp_ne_u16_sdwa s[30:31], v28, v51 src0_sel:BYTE_0 src1_sel:DWORD
	s_and_b64 vcc, exec, s[68:69]
	s_cbranch_vccz .LBB2_2565
.LBB2_2546:                             ;   in Loop: Header=BB2_2163 Depth=4
	v_mov_b32_e32 v7, 0
	v_mov_b32_e32 v0, 0
	s_and_saveexec_b64 s[70:71], s[30:31]
	s_cbranch_execz .LBB2_2554
; %bb.2547:                             ;   in Loop: Header=BB2_2163 Depth=4
	v_cmp_ne_u16_sdwa vcc, sext(v28), s94 src0_sel:BYTE_0 src1_sel:DWORD
	v_bfrev_b32_e32 v0, 1
	s_and_saveexec_b64 s[72:73], vcc
	s_cbranch_execz .LBB2_2553
; %bb.2548:                             ;   in Loop: Header=BB2_2163 Depth=4
	v_and_b32_e32 v0, 0x7c, v28
	v_and_b32_e32 v8, 3, v28
	v_cmp_ne_u32_e32 vcc, s95, v0
                                        ; implicit-def: $vgpr0
	s_and_saveexec_b64 s[74:75], vcc
	s_xor_b64 s[74:75], exec, s[74:75]
	s_cbranch_execz .LBB2_2550
; %bb.2549:                             ;   in Loop: Header=BB2_2163 Depth=4
	v_ffbh_u32_e32 v9, v8
	v_min_u32_e32 v9, 32, v9
	v_subrev_u32_e32 v12, 29, v9
	v_bfe_u32 v0, v28, 2, 5
	v_lshlrev_b64 v[12:13], v12, v[28:29]
	v_sub_u32_e32 v9, 30, v9
	v_and_b32_e32 v12, 3, v12
	v_cmp_eq_u32_e32 vcc, 0, v0
	v_cndmask_b32_e32 v0, v0, v9, vcc
	v_cndmask_b32_e32 v8, v8, v12, vcc
	v_bfrev_b32_e32 v12, 28
	v_lshlrev_b32_e32 v9, 24, v28
	v_lshl_add_u32 v0, v0, 23, v12
	v_and_or_b32 v0, v9, s96, v0
	v_lshl_or_b32 v0, v8, 21, v0
                                        ; implicit-def: $vgpr8
.LBB2_2550:                             ;   in Loop: Header=BB2_2163 Depth=4
	s_andn2_saveexec_b64 s[74:75], s[74:75]
; %bb.2551:                             ;   in Loop: Header=BB2_2163 Depth=4
	v_mov_b32_e32 v0, -1
	v_cmp_gt_i16_sdwa vcc, sext(v28), v0 src0_sel:BYTE_0 src1_sel:DWORD
	v_mov_b32_e32 v0, 0xc7600000
	v_mov_b32_e32 v9, 0x47600000
	v_cndmask_b32_e32 v0, v0, v9, vcc
	v_cmp_eq_u32_e32 vcc, 0, v8
	v_mov_b32_e32 v8, 0x7f800001
	v_cndmask_b32_e32 v0, v8, v0, vcc
; %bb.2552:                             ;   in Loop: Header=BB2_2163 Depth=4
	s_or_b64 exec, exec, s[74:75]
.LBB2_2553:                             ;   in Loop: Header=BB2_2163 Depth=4
	s_or_b64 exec, exec, s[72:73]
.LBB2_2554:                             ;   in Loop: Header=BB2_2163 Depth=4
	s_or_b64 exec, exec, s[70:71]
	v_cmp_ne_u16_sdwa vcc, sext(v10), v51 src0_sel:BYTE_0 src1_sel:DWORD
	s_and_saveexec_b64 s[70:71], vcc
	s_cbranch_execz .LBB2_2562
; %bb.2555:                             ;   in Loop: Header=BB2_2163 Depth=4
	v_cmp_ne_u16_sdwa vcc, sext(v10), s94 src0_sel:BYTE_0 src1_sel:DWORD
	v_bfrev_b32_e32 v7, 1
	s_and_saveexec_b64 s[72:73], vcc
	s_cbranch_execz .LBB2_2561
; %bb.2556:                             ;   in Loop: Header=BB2_2163 Depth=4
	v_and_b32_e32 v7, 0x7c, v10
	v_and_b32_e32 v8, 3, v10
	v_cmp_ne_u32_e32 vcc, s95, v7
                                        ; implicit-def: $vgpr7
	s_and_saveexec_b64 s[74:75], vcc
	s_xor_b64 s[74:75], exec, s[74:75]
	s_cbranch_execz .LBB2_2558
; %bb.2557:                             ;   in Loop: Header=BB2_2163 Depth=4
	v_ffbh_u32_e32 v9, v8
	v_min_u32_e32 v9, 32, v9
	v_subrev_u32_e32 v12, 29, v9
	v_bfe_u32 v7, v10, 2, 5
	v_lshlrev_b64 v[12:13], v12, v[10:11]
	v_sub_u32_e32 v9, 30, v9
	v_and_b32_e32 v12, 3, v12
	v_cmp_eq_u32_e32 vcc, 0, v7
	v_cndmask_b32_e32 v7, v7, v9, vcc
	v_cndmask_b32_e32 v8, v8, v12, vcc
	v_bfrev_b32_e32 v12, 28
	v_lshlrev_b32_e32 v9, 24, v10
	v_lshl_add_u32 v7, v7, 23, v12
	v_and_or_b32 v7, v9, s96, v7
	v_lshl_or_b32 v7, v8, 21, v7
                                        ; implicit-def: $vgpr8
.LBB2_2558:                             ;   in Loop: Header=BB2_2163 Depth=4
	s_andn2_saveexec_b64 s[74:75], s[74:75]
; %bb.2559:                             ;   in Loop: Header=BB2_2163 Depth=4
	v_mov_b32_e32 v7, -1
	v_cmp_gt_i16_sdwa vcc, sext(v10), v7 src0_sel:BYTE_0 src1_sel:DWORD
	v_mov_b32_e32 v7, 0xc7600000
	v_mov_b32_e32 v9, 0x47600000
	v_cndmask_b32_e32 v7, v7, v9, vcc
	v_cmp_eq_u32_e32 vcc, 0, v8
	v_mov_b32_e32 v8, 0x7f800001
	v_cndmask_b32_e32 v7, v8, v7, vcc
; %bb.2560:                             ;   in Loop: Header=BB2_2163 Depth=4
	s_or_b64 exec, exec, s[74:75]
.LBB2_2561:                             ;   in Loop: Header=BB2_2163 Depth=4
	s_or_b64 exec, exec, s[72:73]
.LBB2_2562:                             ;   in Loop: Header=BB2_2163 Depth=4
	s_or_b64 exec, exec, s[70:71]
	v_max_f32_e32 v7, v7, v7
	v_max_f32_e32 v0, v0, v0
	;; [unrolled: 1-line block ×3, first 2 shown]
	s_branch .LBB2_2583
.LBB2_2563:                             ;   in Loop: Header=BB2_2163 Depth=4
	s_andn2_saveexec_b64 s[30:31], s[70:71]
	s_cbranch_execz .LBB2_2545
.LBB2_2564:                             ;   in Loop: Header=BB2_2163 Depth=4
	v_or_b32_sdwa v0, v7, s39 dst_sel:DWORD dst_unused:UNUSED_PAD src0_sel:BYTE_3 src1_sel:DWORD
	v_cmp_eq_u64_e32 vcc, 0, v[50:51]
	v_cndmask_b32_e32 v26, v0, v26, vcc
	s_or_b64 exec, exec, s[30:31]
	v_cmp_ne_u16_sdwa s[30:31], v28, v51 src0_sel:BYTE_0 src1_sel:DWORD
	s_and_b64 vcc, exec, s[68:69]
	s_cbranch_vccnz .LBB2_2546
.LBB2_2565:                             ;   in Loop: Header=BB2_2163 Depth=4
                                        ; implicit-def: $vgpr7
	s_cbranch_execz .LBB2_2583
; %bb.2566:                             ;   in Loop: Header=BB2_2163 Depth=4
	v_mov_b32_e32 v7, 0
	v_mov_b32_e32 v0, 0
	s_and_saveexec_b64 s[70:71], s[30:31]
	s_cbranch_execz .LBB2_2574
; %bb.2567:                             ;   in Loop: Header=BB2_2163 Depth=4
	v_cmp_ne_u16_sdwa vcc, sext(v28), s94 src0_sel:BYTE_0 src1_sel:DWORD
	v_bfrev_b32_e32 v0, 1
	s_and_saveexec_b64 s[30:31], vcc
	s_cbranch_execz .LBB2_2573
; %bb.2568:                             ;   in Loop: Header=BB2_2163 Depth=4
	v_and_b32_e32 v0, 0x7c, v28
	v_and_b32_e32 v8, 3, v28
	v_cmp_ne_u32_e32 vcc, s95, v0
                                        ; implicit-def: $vgpr0
	s_and_saveexec_b64 s[72:73], vcc
	s_xor_b64 s[72:73], exec, s[72:73]
	s_cbranch_execz .LBB2_2570
; %bb.2569:                             ;   in Loop: Header=BB2_2163 Depth=4
	v_ffbh_u32_e32 v9, v8
	v_min_u32_e32 v9, 32, v9
	v_subrev_u32_e32 v12, 29, v9
	v_bfe_u32 v0, v28, 2, 5
	v_lshlrev_b64 v[12:13], v12, v[28:29]
	v_sub_u32_e32 v9, 30, v9
	v_and_b32_e32 v12, 3, v12
	v_cmp_eq_u32_e32 vcc, 0, v0
	v_cndmask_b32_e32 v0, v0, v9, vcc
	v_cndmask_b32_e32 v8, v8, v12, vcc
	v_bfrev_b32_e32 v12, 28
	v_lshlrev_b32_e32 v9, 24, v28
	v_lshl_add_u32 v0, v0, 23, v12
	v_and_or_b32 v0, v9, s96, v0
	v_lshl_or_b32 v0, v8, 21, v0
                                        ; implicit-def: $vgpr8
.LBB2_2570:                             ;   in Loop: Header=BB2_2163 Depth=4
	s_andn2_saveexec_b64 s[72:73], s[72:73]
; %bb.2571:                             ;   in Loop: Header=BB2_2163 Depth=4
	v_mov_b32_e32 v0, -1
	v_cmp_gt_i16_sdwa vcc, sext(v28), v0 src0_sel:BYTE_0 src1_sel:DWORD
	v_mov_b32_e32 v0, 0xc7600000
	v_mov_b32_e32 v9, 0x47600000
	v_cndmask_b32_e32 v0, v0, v9, vcc
	v_cmp_eq_u32_e32 vcc, 0, v8
	v_mov_b32_e32 v8, 0x7f800001
	v_cndmask_b32_e32 v0, v8, v0, vcc
; %bb.2572:                             ;   in Loop: Header=BB2_2163 Depth=4
	s_or_b64 exec, exec, s[72:73]
.LBB2_2573:                             ;   in Loop: Header=BB2_2163 Depth=4
	s_or_b64 exec, exec, s[30:31]
.LBB2_2574:                             ;   in Loop: Header=BB2_2163 Depth=4
	s_or_b64 exec, exec, s[70:71]
	v_cmp_ne_u16_sdwa vcc, sext(v10), v51 src0_sel:BYTE_0 src1_sel:DWORD
	s_and_saveexec_b64 s[30:31], vcc
	s_cbranch_execz .LBB2_2582
; %bb.2575:                             ;   in Loop: Header=BB2_2163 Depth=4
	v_cmp_ne_u16_sdwa vcc, sext(v10), s94 src0_sel:BYTE_0 src1_sel:DWORD
	v_bfrev_b32_e32 v7, 1
	s_and_saveexec_b64 s[70:71], vcc
	s_cbranch_execz .LBB2_2581
; %bb.2576:                             ;   in Loop: Header=BB2_2163 Depth=4
	v_and_b32_e32 v7, 0x7c, v10
	v_and_b32_e32 v8, 3, v10
	v_cmp_ne_u32_e32 vcc, s95, v7
                                        ; implicit-def: $vgpr7
	s_and_saveexec_b64 s[72:73], vcc
	s_xor_b64 s[72:73], exec, s[72:73]
	s_cbranch_execz .LBB2_2578
; %bb.2577:                             ;   in Loop: Header=BB2_2163 Depth=4
	v_ffbh_u32_e32 v9, v8
	v_min_u32_e32 v9, 32, v9
	v_subrev_u32_e32 v12, 29, v9
	v_bfe_u32 v7, v10, 2, 5
	v_lshlrev_b64 v[12:13], v12, v[10:11]
	v_sub_u32_e32 v9, 30, v9
	v_and_b32_e32 v12, 3, v12
	v_cmp_eq_u32_e32 vcc, 0, v7
	v_cndmask_b32_e32 v7, v7, v9, vcc
	v_cndmask_b32_e32 v8, v8, v12, vcc
	v_bfrev_b32_e32 v12, 28
	v_lshlrev_b32_e32 v9, 24, v10
	v_lshl_add_u32 v7, v7, 23, v12
	v_and_or_b32 v7, v9, s96, v7
	v_lshl_or_b32 v7, v8, 21, v7
                                        ; implicit-def: $vgpr8
.LBB2_2578:                             ;   in Loop: Header=BB2_2163 Depth=4
	s_andn2_saveexec_b64 s[72:73], s[72:73]
; %bb.2579:                             ;   in Loop: Header=BB2_2163 Depth=4
	v_mov_b32_e32 v7, -1
	v_cmp_gt_i16_sdwa vcc, sext(v10), v7 src0_sel:BYTE_0 src1_sel:DWORD
	v_mov_b32_e32 v7, 0xc7600000
	v_mov_b32_e32 v9, 0x47600000
	v_cndmask_b32_e32 v7, v7, v9, vcc
	v_cmp_eq_u32_e32 vcc, 0, v8
	v_mov_b32_e32 v8, 0x7f800001
	v_cndmask_b32_e32 v7, v8, v7, vcc
; %bb.2580:                             ;   in Loop: Header=BB2_2163 Depth=4
	s_or_b64 exec, exec, s[72:73]
.LBB2_2581:                             ;   in Loop: Header=BB2_2163 Depth=4
	s_or_b64 exec, exec, s[70:71]
.LBB2_2582:                             ;   in Loop: Header=BB2_2163 Depth=4
	s_or_b64 exec, exec, s[30:31]
	v_max_f32_e32 v7, v7, v7
	v_max_f32_e32 v0, v0, v0
	v_min_f32_e32 v7, v0, v7
.LBB2_2583:                             ;   in Loop: Header=BB2_2163 Depth=4
	v_and_b32_sdwa v0, v7, s97 dst_sel:DWORD dst_unused:UNUSED_PAD src0_sel:BYTE_3 src1_sel:DWORD
	v_and_b32_e32 v8, 0x7f800000, v7
	v_mov_b32_e32 v9, v51
	v_and_b32_e32 v50, 0x7fffff, v7
	v_or_b32_e32 v27, 0x7b, v0
	v_cmp_ne_u64_e32 vcc, s[52:53], v[8:9]
	s_and_saveexec_b64 s[30:31], vcc
	s_xor_b64 s[70:71], exec, s[30:31]
	s_cbranch_execz .LBB2_2593
; %bb.2584:                             ;   in Loop: Header=BB2_2163 Depth=4
	v_and_b32_e32 v8, 0x7fffffff, v7
	v_mov_b32_e32 v9, v51
	v_cmp_gt_u64_e32 vcc, s[54:55], v[8:9]
	s_and_saveexec_b64 s[72:73], vcc
	s_cbranch_execz .LBB2_2592
; %bb.2585:                             ;   in Loop: Header=BB2_2163 Depth=4
	v_cmp_ne_u32_e32 vcc, 0, v7
	v_mov_b32_e32 v27, 0
	s_and_saveexec_b64 s[74:75], vcc
	s_cbranch_execz .LBB2_2591
; %bb.2586:                             ;   in Loop: Header=BB2_2163 Depth=4
	v_bfe_u32 v7, v7, 23, 8
	v_sub_u32_e32 v9, 0x71, v7
	v_cmp_gt_u32_e32 vcc, s38, v7
	v_add_u32_e32 v8, 0xffffff81, v7
	v_cndmask_b32_e32 v9, 0, v9, vcc
	v_cmp_eq_u32_e32 vcc, 0, v7
	v_mov_b32_e32 v7, 0xffffff82
	v_cndmask_b32_e32 v7, v8, v7, vcc
	v_mov_b32_e32 v8, 0x70
	v_or_b32_e32 v12, 0x800000, v50
	v_cndmask_b32_e32 v13, v9, v8, vcc
	v_cndmask_b32_e32 v50, v12, v50, vcc
	v_add_u32_e32 v8, 21, v13
	v_lshlrev_b64 v[8:9], v8, -1
	v_add_u32_e32 v12, 20, v13
	v_lshrrev_b64 v[24:25], v13, v[50:51]
	v_not_b32_e32 v9, v9
	v_not_b32_e32 v8, v8
	v_lshlrev_b64 v[14:15], v12, 1
	v_lshrrev_b32_e32 v12, 23, v24
	v_and_b32_e32 v9, 0, v9
	v_and_b32_e32 v8, v50, v8
	v_add3_u32 v13, v13, v7, v12
	v_bfe_u32 v7, v24, 21, 1
	v_add_u32_e32 v7, -1, v7
	v_cmp_eq_u64_e32 vcc, v[8:9], v[14:15]
	v_cndmask_b32_e32 v7, 0, v7, vcc
	v_add_u32_e32 v7, v7, v24
	v_and_b32_e32 v7, 0x1fffff, v7
	v_add_co_u32_e32 v8, vcc, v7, v24
	v_add_u32_e32 v12, 14, v13
	v_addc_co_u32_e32 v9, vcc, 0, v25, vcc
	v_cmp_ne_u32_e32 vcc, 0, v12
                                        ; implicit-def: $vgpr7
	s_and_saveexec_b64 s[30:31], vcc
	s_xor_b64 s[30:31], exec, s[30:31]
; %bb.2587:                             ;   in Loop: Header=BB2_2163 Depth=4
	v_add_u32_e32 v7, 15, v13
	v_cmp_lt_u64_e32 vcc, s[56:57], v[8:9]
	v_cndmask_b32_e32 v7, v12, v7, vcc
	v_cndmask_b32_e64 v12, 0, 1, vcc
	v_lshrrev_b64 v[8:9], v12, v[8:9]
; %bb.2588:                             ;   in Loop: Header=BB2_2163 Depth=4
	s_andn2_saveexec_b64 vcc, s[30:31]
; %bb.2589:                             ;   in Loop: Header=BB2_2163 Depth=4
	v_bfe_u32 v7, v8, 23, 1
; %bb.2590:                             ;   in Loop: Header=BB2_2163 Depth=4
	s_or_b64 exec, exec, vcc
	v_lshrrev_b64 v[8:9], 21, v[8:9]
	v_cmp_gt_i32_e32 vcc, 32, v7
	v_cndmask_b32_e32 v9, 0, v9, vcc
	v_cndmask_b32_e32 v8, 3, v8, vcc
	v_cmp_eq_u32_e32 vcc, 0, v7
	v_min_i32_e32 v7, 31, v7
	v_cmp_eq_u64_e64 s[30:31], 0, v[8:9]
	v_lshlrev_b32_e32 v7, 2, v7
	v_and_or_b32 v7, v8, 3, v7
	s_and_b64 vcc, vcc, s[30:31]
	v_cndmask_b32_e64 v7, v7, 0, vcc
	v_or_b32_e32 v27, v7, v0
.LBB2_2591:                             ;   in Loop: Header=BB2_2163 Depth=4
	s_or_b64 exec, exec, s[74:75]
.LBB2_2592:                             ;   in Loop: Header=BB2_2163 Depth=4
	s_or_b64 exec, exec, s[72:73]
                                        ; implicit-def: $vgpr7
.LBB2_2593:                             ;   in Loop: Header=BB2_2163 Depth=4
	s_andn2_saveexec_b64 s[30:31], s[70:71]
; %bb.2594:                             ;   in Loop: Header=BB2_2163 Depth=4
	v_or_b32_sdwa v0, v7, s39 dst_sel:DWORD dst_unused:UNUSED_PAD src0_sel:BYTE_3 src1_sel:DWORD
	v_cmp_eq_u64_e32 vcc, 0, v[50:51]
	v_cndmask_b32_e32 v27, v0, v27, vcc
; %bb.2595:                             ;   in Loop: Header=BB2_2163 Depth=4
	s_or_b64 exec, exec, s[30:31]
	v_lshrrev_b16_e32 v50, 8, v28
	v_lshrrev_b16_e32 v8, 8, v10
	v_cmp_ne_u16_e64 s[30:31], 0, v50
	s_and_b64 vcc, exec, s[68:69]
	s_cbranch_vccz .LBB2_2613
; %bb.2596:                             ;   in Loop: Header=BB2_2163 Depth=4
	v_mov_b32_e32 v7, 0
	v_mov_b32_e32 v0, 0
	s_and_saveexec_b64 s[70:71], s[30:31]
	s_cbranch_execz .LBB2_2604
; %bb.2597:                             ;   in Loop: Header=BB2_2163 Depth=4
	v_cmp_ne_u16_e32 vcc, s97, v50
	v_bfrev_b32_e32 v0, 1
	s_and_saveexec_b64 s[72:73], vcc
	s_cbranch_execz .LBB2_2603
; %bb.2598:                             ;   in Loop: Header=BB2_2163 Depth=4
	v_and_b32_e32 v0, 0x7c, v50
	v_and_b32_e32 v9, 3, v50
	v_cmp_ne_u32_e32 vcc, s95, v0
                                        ; implicit-def: $vgpr0
	s_and_saveexec_b64 s[74:75], vcc
	s_xor_b64 s[74:75], exec, s[74:75]
	s_cbranch_execz .LBB2_2600
; %bb.2599:                             ;   in Loop: Header=BB2_2163 Depth=4
	v_ffbh_u32_e32 v12, v9
	v_min_u32_e32 v14, 32, v12
	v_subrev_u32_e32 v12, 29, v14
	v_bfe_u32 v0, v50, 2, 5
	v_lshlrev_b64 v[12:13], v12, v[50:51]
	v_sub_u32_e32 v13, 30, v14
	v_cmp_eq_u32_e32 vcc, 0, v0
	v_and_b32_e32 v12, 3, v12
	v_cndmask_b32_e32 v0, v0, v13, vcc
	v_bfrev_b32_e32 v13, 28
	v_cndmask_b32_e32 v9, v9, v12, vcc
	v_lshlrev_b32_e32 v12, 16, v28
	v_lshl_add_u32 v0, v0, 23, v13
	v_and_or_b32 v0, v12, s96, v0
	v_lshl_or_b32 v0, v9, 21, v0
                                        ; implicit-def: $vgpr9
.LBB2_2600:                             ;   in Loop: Header=BB2_2163 Depth=4
	s_andn2_saveexec_b64 s[74:75], s[74:75]
; %bb.2601:                             ;   in Loop: Header=BB2_2163 Depth=4
	v_cmp_lt_i16_e32 vcc, -1, v28
	v_mov_b32_e32 v0, 0xc7600000
	v_mov_b32_e32 v12, 0x47600000
	v_cndmask_b32_e32 v0, v0, v12, vcc
	v_cmp_eq_u32_e32 vcc, 0, v9
	v_mov_b32_e32 v9, 0x7f800001
	v_cndmask_b32_e32 v0, v9, v0, vcc
; %bb.2602:                             ;   in Loop: Header=BB2_2163 Depth=4
	s_or_b64 exec, exec, s[74:75]
.LBB2_2603:                             ;   in Loop: Header=BB2_2163 Depth=4
	s_or_b64 exec, exec, s[72:73]
.LBB2_2604:                             ;   in Loop: Header=BB2_2163 Depth=4
	s_or_b64 exec, exec, s[70:71]
	v_cmp_ne_u16_e32 vcc, 0, v8
	s_and_saveexec_b64 s[70:71], vcc
	s_cbranch_execz .LBB2_2612
; %bb.2605:                             ;   in Loop: Header=BB2_2163 Depth=4
	v_cmp_ne_u16_e32 vcc, s97, v8
	v_bfrev_b32_e32 v7, 1
	s_and_saveexec_b64 s[72:73], vcc
	s_cbranch_execz .LBB2_2611
; %bb.2606:                             ;   in Loop: Header=BB2_2163 Depth=4
	v_and_b32_e32 v7, 0x7c, v8
	v_and_b32_e32 v12, 3, v8
	v_cmp_ne_u32_e32 vcc, s95, v7
                                        ; implicit-def: $vgpr7
	s_and_saveexec_b64 s[74:75], vcc
	s_xor_b64 s[74:75], exec, s[74:75]
	s_cbranch_execz .LBB2_2608
; %bb.2607:                             ;   in Loop: Header=BB2_2163 Depth=4
	v_ffbh_u32_e32 v13, v12
	v_min_u32_e32 v13, 32, v13
	v_mov_b32_e32 v9, v51
	v_subrev_u32_e32 v14, 29, v13
	v_bfe_u32 v7, v8, 2, 5
	v_lshlrev_b64 v[14:15], v14, v[8:9]
	v_sub_u32_e32 v9, 30, v13
	v_and_b32_e32 v13, 3, v14
	v_cmp_eq_u32_e32 vcc, 0, v7
	v_cndmask_b32_e32 v7, v7, v9, vcc
	v_cndmask_b32_e32 v9, v12, v13, vcc
	v_bfrev_b32_e32 v13, 28
	v_lshlrev_b32_e32 v12, 16, v10
	v_lshl_add_u32 v7, v7, 23, v13
	v_and_or_b32 v7, v12, s96, v7
	v_lshl_or_b32 v7, v9, 21, v7
                                        ; implicit-def: $vgpr12
.LBB2_2608:                             ;   in Loop: Header=BB2_2163 Depth=4
	s_andn2_saveexec_b64 s[74:75], s[74:75]
; %bb.2609:                             ;   in Loop: Header=BB2_2163 Depth=4
	v_cmp_lt_i16_e32 vcc, -1, v10
	v_mov_b32_e32 v7, 0xc7600000
	v_mov_b32_e32 v9, 0x47600000
	v_cndmask_b32_e32 v7, v7, v9, vcc
	v_cmp_eq_u32_e32 vcc, 0, v12
	v_mov_b32_e32 v9, 0x7f800001
	v_cndmask_b32_e32 v7, v9, v7, vcc
; %bb.2610:                             ;   in Loop: Header=BB2_2163 Depth=4
	s_or_b64 exec, exec, s[74:75]
.LBB2_2611:                             ;   in Loop: Header=BB2_2163 Depth=4
	s_or_b64 exec, exec, s[72:73]
.LBB2_2612:                             ;   in Loop: Header=BB2_2163 Depth=4
	s_or_b64 exec, exec, s[70:71]
	v_max_f32_e32 v7, v7, v7
	v_max_f32_e32 v0, v0, v0
	;; [unrolled: 1-line block ×3, first 2 shown]
	s_branch .LBB2_2631
.LBB2_2613:                             ;   in Loop: Header=BB2_2163 Depth=4
                                        ; implicit-def: $vgpr9
	s_cbranch_execz .LBB2_2631
; %bb.2614:                             ;   in Loop: Header=BB2_2163 Depth=4
	v_mov_b32_e32 v7, 0
	v_mov_b32_e32 v0, 0
	s_and_saveexec_b64 s[70:71], s[30:31]
	s_cbranch_execz .LBB2_2622
; %bb.2615:                             ;   in Loop: Header=BB2_2163 Depth=4
	v_cmp_ne_u16_e32 vcc, s97, v50
	v_bfrev_b32_e32 v0, 1
	s_and_saveexec_b64 s[30:31], vcc
	s_cbranch_execz .LBB2_2621
; %bb.2616:                             ;   in Loop: Header=BB2_2163 Depth=4
	v_and_b32_e32 v0, 0x7c, v50
	v_and_b32_e32 v9, 3, v50
	v_cmp_ne_u32_e32 vcc, s95, v0
                                        ; implicit-def: $vgpr0
	s_and_saveexec_b64 s[72:73], vcc
	s_xor_b64 s[72:73], exec, s[72:73]
	s_cbranch_execz .LBB2_2618
; %bb.2617:                             ;   in Loop: Header=BB2_2163 Depth=4
	v_ffbh_u32_e32 v12, v9
	v_min_u32_e32 v14, 32, v12
	v_subrev_u32_e32 v12, 29, v14
	v_bfe_u32 v0, v50, 2, 5
	v_lshlrev_b64 v[12:13], v12, v[50:51]
	v_sub_u32_e32 v13, 30, v14
	v_cmp_eq_u32_e32 vcc, 0, v0
	v_and_b32_e32 v12, 3, v12
	v_cndmask_b32_e32 v0, v0, v13, vcc
	v_bfrev_b32_e32 v13, 28
	v_cndmask_b32_e32 v9, v9, v12, vcc
	v_lshlrev_b32_e32 v12, 16, v28
	v_lshl_add_u32 v0, v0, 23, v13
	v_and_or_b32 v0, v12, s96, v0
	v_lshl_or_b32 v0, v9, 21, v0
                                        ; implicit-def: $vgpr9
.LBB2_2618:                             ;   in Loop: Header=BB2_2163 Depth=4
	s_andn2_saveexec_b64 s[72:73], s[72:73]
; %bb.2619:                             ;   in Loop: Header=BB2_2163 Depth=4
	v_cmp_lt_i16_e32 vcc, -1, v28
	v_mov_b32_e32 v0, 0xc7600000
	v_mov_b32_e32 v12, 0x47600000
	v_cndmask_b32_e32 v0, v0, v12, vcc
	v_cmp_eq_u32_e32 vcc, 0, v9
	v_mov_b32_e32 v9, 0x7f800001
	v_cndmask_b32_e32 v0, v9, v0, vcc
; %bb.2620:                             ;   in Loop: Header=BB2_2163 Depth=4
	s_or_b64 exec, exec, s[72:73]
.LBB2_2621:                             ;   in Loop: Header=BB2_2163 Depth=4
	s_or_b64 exec, exec, s[30:31]
.LBB2_2622:                             ;   in Loop: Header=BB2_2163 Depth=4
	s_or_b64 exec, exec, s[70:71]
	v_cmp_ne_u16_e32 vcc, 0, v8
	s_and_saveexec_b64 s[30:31], vcc
	s_cbranch_execz .LBB2_2630
; %bb.2623:                             ;   in Loop: Header=BB2_2163 Depth=4
	v_cmp_ne_u16_e32 vcc, s97, v8
	v_bfrev_b32_e32 v7, 1
	s_and_saveexec_b64 s[70:71], vcc
	s_cbranch_execz .LBB2_2629
; %bb.2624:                             ;   in Loop: Header=BB2_2163 Depth=4
	v_and_b32_e32 v7, 0x7c, v8
	v_and_b32_e32 v12, 3, v8
	v_cmp_ne_u32_e32 vcc, s95, v7
                                        ; implicit-def: $vgpr7
	s_and_saveexec_b64 s[72:73], vcc
	s_xor_b64 s[72:73], exec, s[72:73]
	s_cbranch_execz .LBB2_2626
; %bb.2625:                             ;   in Loop: Header=BB2_2163 Depth=4
	v_ffbh_u32_e32 v13, v12
	v_min_u32_e32 v13, 32, v13
	v_mov_b32_e32 v9, v51
	v_subrev_u32_e32 v14, 29, v13
	v_bfe_u32 v7, v8, 2, 5
	v_lshlrev_b64 v[8:9], v14, v[8:9]
	v_sub_u32_e32 v9, 30, v13
	v_and_b32_e32 v8, 3, v8
	v_cmp_eq_u32_e32 vcc, 0, v7
	v_cndmask_b32_e32 v7, v7, v9, vcc
	v_cndmask_b32_e32 v8, v12, v8, vcc
	v_bfrev_b32_e32 v12, 28
	v_lshlrev_b32_e32 v9, 16, v10
	v_lshl_add_u32 v7, v7, 23, v12
	v_and_or_b32 v7, v9, s96, v7
	v_lshl_or_b32 v7, v8, 21, v7
                                        ; implicit-def: $vgpr12
.LBB2_2626:                             ;   in Loop: Header=BB2_2163 Depth=4
	s_andn2_saveexec_b64 s[72:73], s[72:73]
; %bb.2627:                             ;   in Loop: Header=BB2_2163 Depth=4
	v_cmp_lt_i16_e32 vcc, -1, v10
	v_mov_b32_e32 v7, 0xc7600000
	v_mov_b32_e32 v8, 0x47600000
	v_cndmask_b32_e32 v7, v7, v8, vcc
	v_cmp_eq_u32_e32 vcc, 0, v12
	v_mov_b32_e32 v8, 0x7f800001
	v_cndmask_b32_e32 v7, v8, v7, vcc
; %bb.2628:                             ;   in Loop: Header=BB2_2163 Depth=4
	s_or_b64 exec, exec, s[72:73]
.LBB2_2629:                             ;   in Loop: Header=BB2_2163 Depth=4
	s_or_b64 exec, exec, s[70:71]
.LBB2_2630:                             ;   in Loop: Header=BB2_2163 Depth=4
	s_or_b64 exec, exec, s[30:31]
	v_max_f32_e32 v7, v7, v7
	v_max_f32_e32 v0, v0, v0
	v_min_f32_e32 v9, v0, v7
.LBB2_2631:                             ;   in Loop: Header=BB2_2163 Depth=4
	v_and_b32_sdwa v0, v9, s97 dst_sel:DWORD dst_unused:UNUSED_PAD src0_sel:BYTE_3 src1_sel:DWORD
	v_and_b32_e32 v12, 0x7f800000, v9
	v_mov_b32_e32 v13, v51
	v_and_b32_e32 v50, 0x7fffff, v9
	v_or_b32_e32 v7, 0x7b, v0
	v_cmp_ne_u64_e32 vcc, s[52:53], v[12:13]
	s_and_saveexec_b64 s[30:31], vcc
	s_xor_b64 s[70:71], exec, s[30:31]
	s_cbranch_execz .LBB2_2641
; %bb.2632:                             ;   in Loop: Header=BB2_2163 Depth=4
	v_and_b32_e32 v12, 0x7fffffff, v9
	v_mov_b32_e32 v13, v51
	v_cmp_gt_u64_e32 vcc, s[54:55], v[12:13]
	s_and_saveexec_b64 s[72:73], vcc
	s_cbranch_execz .LBB2_2640
; %bb.2633:                             ;   in Loop: Header=BB2_2163 Depth=4
	v_cmp_ne_u32_e32 vcc, 0, v9
	v_mov_b32_e32 v7, 0
	s_and_saveexec_b64 s[74:75], vcc
	s_cbranch_execz .LBB2_2639
; %bb.2634:                             ;   in Loop: Header=BB2_2163 Depth=4
	v_bfe_u32 v7, v9, 23, 8
	v_sub_u32_e32 v9, 0x71, v7
	v_cmp_gt_u32_e32 vcc, s38, v7
	v_add_u32_e32 v8, 0xffffff81, v7
	v_cndmask_b32_e32 v9, 0, v9, vcc
	v_cmp_eq_u32_e32 vcc, 0, v7
	v_mov_b32_e32 v7, 0xffffff82
	v_cndmask_b32_e32 v7, v8, v7, vcc
	v_mov_b32_e32 v8, 0x70
	v_or_b32_e32 v12, 0x800000, v50
	v_cndmask_b32_e32 v13, v9, v8, vcc
	v_cndmask_b32_e32 v50, v12, v50, vcc
	v_add_u32_e32 v8, 21, v13
	v_lshlrev_b64 v[8:9], v8, -1
	v_add_u32_e32 v12, 20, v13
	v_lshrrev_b64 v[24:25], v13, v[50:51]
	v_not_b32_e32 v9, v9
	v_not_b32_e32 v8, v8
	v_lshlrev_b64 v[14:15], v12, 1
	v_lshrrev_b32_e32 v12, 23, v24
	v_and_b32_e32 v9, 0, v9
	v_and_b32_e32 v8, v50, v8
	v_add3_u32 v13, v13, v7, v12
	v_bfe_u32 v7, v24, 21, 1
	v_add_u32_e32 v7, -1, v7
	v_cmp_eq_u64_e32 vcc, v[8:9], v[14:15]
	v_cndmask_b32_e32 v7, 0, v7, vcc
	v_add_u32_e32 v7, v7, v24
	v_and_b32_e32 v7, 0x1fffff, v7
	v_add_co_u32_e32 v8, vcc, v7, v24
	v_add_u32_e32 v12, 14, v13
	v_addc_co_u32_e32 v9, vcc, 0, v25, vcc
	v_cmp_ne_u32_e32 vcc, 0, v12
                                        ; implicit-def: $vgpr7
	s_and_saveexec_b64 s[30:31], vcc
	s_xor_b64 s[30:31], exec, s[30:31]
; %bb.2635:                             ;   in Loop: Header=BB2_2163 Depth=4
	v_add_u32_e32 v7, 15, v13
	v_cmp_lt_u64_e32 vcc, s[56:57], v[8:9]
	v_cndmask_b32_e32 v7, v12, v7, vcc
	v_cndmask_b32_e64 v12, 0, 1, vcc
	v_lshrrev_b64 v[8:9], v12, v[8:9]
; %bb.2636:                             ;   in Loop: Header=BB2_2163 Depth=4
	s_andn2_saveexec_b64 vcc, s[30:31]
; %bb.2637:                             ;   in Loop: Header=BB2_2163 Depth=4
	v_bfe_u32 v7, v8, 23, 1
; %bb.2638:                             ;   in Loop: Header=BB2_2163 Depth=4
	s_or_b64 exec, exec, vcc
	v_lshrrev_b64 v[8:9], 21, v[8:9]
	v_cmp_gt_i32_e32 vcc, 32, v7
	v_cndmask_b32_e32 v9, 0, v9, vcc
	v_cndmask_b32_e32 v8, 3, v8, vcc
	v_cmp_eq_u32_e32 vcc, 0, v7
	v_min_i32_e32 v7, 31, v7
	v_cmp_eq_u64_e64 s[30:31], 0, v[8:9]
	v_lshlrev_b32_e32 v7, 2, v7
	v_and_or_b32 v7, v8, 3, v7
	s_and_b64 vcc, vcc, s[30:31]
	v_cndmask_b32_e64 v7, v7, 0, vcc
	v_or_b32_e32 v7, v7, v0
.LBB2_2639:                             ;   in Loop: Header=BB2_2163 Depth=4
	s_or_b64 exec, exec, s[74:75]
.LBB2_2640:                             ;   in Loop: Header=BB2_2163 Depth=4
	s_or_b64 exec, exec, s[72:73]
                                        ; implicit-def: $vgpr9
.LBB2_2641:                             ;   in Loop: Header=BB2_2163 Depth=4
	s_andn2_saveexec_b64 s[30:31], s[70:71]
; %bb.2642:                             ;   in Loop: Header=BB2_2163 Depth=4
	v_or_b32_sdwa v0, v9, s39 dst_sel:DWORD dst_unused:UNUSED_PAD src0_sel:BYTE_3 src1_sel:DWORD
	v_cmp_eq_u64_e32 vcc, 0, v[50:51]
	v_cndmask_b32_e32 v7, v0, v7, vcc
; %bb.2643:                             ;   in Loop: Header=BB2_2163 Depth=4
	s_or_b64 exec, exec, s[30:31]
	v_lshrrev_b32_e32 v12, 16, v28
	v_lshrrev_b32_e32 v8, 16, v10
	v_cmp_ne_u16_sdwa s[30:31], v12, v51 src0_sel:BYTE_0 src1_sel:DWORD
	s_and_b64 vcc, exec, s[68:69]
	s_cbranch_vccz .LBB2_2661
; %bb.2644:                             ;   in Loop: Header=BB2_2163 Depth=4
	v_mov_b32_e32 v9, 0
	v_mov_b32_e32 v0, 0
	s_and_saveexec_b64 s[70:71], s[30:31]
	s_cbranch_execz .LBB2_2652
; %bb.2645:                             ;   in Loop: Header=BB2_2163 Depth=4
	v_cmp_ne_u16_sdwa vcc, v12, s97 src0_sel:BYTE_0 src1_sel:DWORD
	v_bfrev_b32_e32 v0, 1
	s_and_saveexec_b64 s[72:73], vcc
	s_cbranch_execz .LBB2_2651
; %bb.2646:                             ;   in Loop: Header=BB2_2163 Depth=4
	v_and_b32_e32 v0, 0x7c0000, v28
	v_bfe_u32 v13, v28, 16, 2
	v_cmp_ne_u32_e32 vcc, s36, v0
                                        ; implicit-def: $vgpr0
	s_and_saveexec_b64 s[74:75], vcc
	s_xor_b64 s[74:75], exec, s[74:75]
	s_cbranch_execz .LBB2_2648
; %bb.2647:                             ;   in Loop: Header=BB2_2163 Depth=4
	v_ffbh_u32_e32 v14, v13
	v_min_u32_e32 v24, 32, v14
	v_subrev_u32_e32 v14, 29, v24
	v_bfe_u32 v0, v28, 18, 5
	v_lshlrev_b64 v[14:15], v14, v[12:13]
	v_sub_u32_e32 v15, 30, v24
	v_cmp_eq_u32_e32 vcc, 0, v0
	v_and_b32_e32 v14, 3, v14
	v_cndmask_b32_e32 v0, v0, v15, vcc
	v_bfrev_b32_e32 v15, 28
	v_cndmask_b32_e32 v13, v13, v14, vcc
	v_lshlrev_b32_e32 v14, 24, v12
	v_lshl_add_u32 v0, v0, 23, v15
	v_and_or_b32 v0, v14, s96, v0
	v_lshl_or_b32 v0, v13, 21, v0
                                        ; implicit-def: $vgpr13
.LBB2_2648:                             ;   in Loop: Header=BB2_2163 Depth=4
	s_andn2_saveexec_b64 s[74:75], s[74:75]
; %bb.2649:                             ;   in Loop: Header=BB2_2163 Depth=4
	v_mov_b32_e32 v0, -1
	v_cmp_gt_i16_sdwa vcc, sext(v12), v0 src0_sel:BYTE_0 src1_sel:DWORD
	v_mov_b32_e32 v0, 0xc7600000
	v_mov_b32_e32 v14, 0x47600000
	v_cndmask_b32_e32 v0, v0, v14, vcc
	v_cmp_eq_u32_e32 vcc, 0, v13
	v_mov_b32_e32 v13, 0x7f800001
	v_cndmask_b32_e32 v0, v13, v0, vcc
; %bb.2650:                             ;   in Loop: Header=BB2_2163 Depth=4
	s_or_b64 exec, exec, s[74:75]
.LBB2_2651:                             ;   in Loop: Header=BB2_2163 Depth=4
	s_or_b64 exec, exec, s[72:73]
.LBB2_2652:                             ;   in Loop: Header=BB2_2163 Depth=4
	s_or_b64 exec, exec, s[70:71]
	v_cmp_ne_u16_sdwa vcc, v8, v51 src0_sel:BYTE_0 src1_sel:DWORD
	s_and_saveexec_b64 s[70:71], vcc
	s_cbranch_execz .LBB2_2660
; %bb.2653:                             ;   in Loop: Header=BB2_2163 Depth=4
	v_cmp_ne_u16_sdwa vcc, v8, s97 src0_sel:BYTE_0 src1_sel:DWORD
	v_bfrev_b32_e32 v9, 1
	s_and_saveexec_b64 s[72:73], vcc
	s_cbranch_execz .LBB2_2659
; %bb.2654:                             ;   in Loop: Header=BB2_2163 Depth=4
	v_and_b32_e32 v9, 0x7c0000, v10
	v_bfe_u32 v13, v10, 16, 2
	v_cmp_ne_u32_e32 vcc, s36, v9
                                        ; implicit-def: $vgpr9
	s_and_saveexec_b64 s[74:75], vcc
	s_xor_b64 s[74:75], exec, s[74:75]
	s_cbranch_execz .LBB2_2656
; %bb.2655:                             ;   in Loop: Header=BB2_2163 Depth=4
	v_ffbh_u32_e32 v14, v13
	v_min_u32_e32 v24, 32, v14
	v_bfe_u32 v9, v10, 18, 5
	v_subrev_u32_e32 v14, 29, v24
	v_lshlrev_b64 v[14:15], v14, v[8:9]
	v_sub_u32_e32 v15, 30, v24
	v_cmp_eq_u32_e32 vcc, 0, v9
	v_and_b32_e32 v14, 3, v14
	v_cndmask_b32_e32 v9, v9, v15, vcc
	v_bfrev_b32_e32 v15, 28
	v_cndmask_b32_e32 v13, v13, v14, vcc
	v_lshlrev_b32_e32 v14, 24, v8
	v_lshl_add_u32 v9, v9, 23, v15
	v_and_or_b32 v9, v14, s96, v9
	v_lshl_or_b32 v9, v13, 21, v9
                                        ; implicit-def: $vgpr13
.LBB2_2656:                             ;   in Loop: Header=BB2_2163 Depth=4
	s_andn2_saveexec_b64 s[74:75], s[74:75]
; %bb.2657:                             ;   in Loop: Header=BB2_2163 Depth=4
	v_mov_b32_e32 v9, -1
	v_cmp_gt_i16_sdwa vcc, sext(v8), v9 src0_sel:BYTE_0 src1_sel:DWORD
	v_mov_b32_e32 v9, 0xc7600000
	v_mov_b32_e32 v14, 0x47600000
	v_cndmask_b32_e32 v9, v9, v14, vcc
	v_cmp_eq_u32_e32 vcc, 0, v13
	v_mov_b32_e32 v13, 0x7f800001
	v_cndmask_b32_e32 v9, v13, v9, vcc
; %bb.2658:                             ;   in Loop: Header=BB2_2163 Depth=4
	s_or_b64 exec, exec, s[74:75]
.LBB2_2659:                             ;   in Loop: Header=BB2_2163 Depth=4
	s_or_b64 exec, exec, s[72:73]
.LBB2_2660:                             ;   in Loop: Header=BB2_2163 Depth=4
	s_or_b64 exec, exec, s[70:71]
	v_max_f32_e32 v9, v9, v9
	v_max_f32_e32 v0, v0, v0
	;; [unrolled: 1-line block ×3, first 2 shown]
	s_branch .LBB2_2679
.LBB2_2661:                             ;   in Loop: Header=BB2_2163 Depth=4
                                        ; implicit-def: $vgpr9
	s_cbranch_execz .LBB2_2679
; %bb.2662:                             ;   in Loop: Header=BB2_2163 Depth=4
	v_mov_b32_e32 v9, 0
	v_mov_b32_e32 v0, 0
	s_and_saveexec_b64 s[70:71], s[30:31]
	s_cbranch_execz .LBB2_2670
; %bb.2663:                             ;   in Loop: Header=BB2_2163 Depth=4
	v_cmp_ne_u16_sdwa vcc, v12, s97 src0_sel:BYTE_0 src1_sel:DWORD
	v_bfrev_b32_e32 v0, 1
	s_and_saveexec_b64 s[30:31], vcc
	s_cbranch_execz .LBB2_2669
; %bb.2664:                             ;   in Loop: Header=BB2_2163 Depth=4
	v_and_b32_e32 v0, 0x7c0000, v28
	v_bfe_u32 v13, v28, 16, 2
	v_cmp_ne_u32_e32 vcc, s36, v0
                                        ; implicit-def: $vgpr0
	s_and_saveexec_b64 s[72:73], vcc
	s_xor_b64 s[72:73], exec, s[72:73]
	s_cbranch_execz .LBB2_2666
; %bb.2665:                             ;   in Loop: Header=BB2_2163 Depth=4
	v_ffbh_u32_e32 v14, v13
	v_min_u32_e32 v24, 32, v14
	v_subrev_u32_e32 v14, 29, v24
	v_bfe_u32 v0, v28, 18, 5
	v_lshlrev_b64 v[14:15], v14, v[12:13]
	v_sub_u32_e32 v15, 30, v24
	v_and_b32_e32 v14, 3, v14
	v_cmp_eq_u32_e32 vcc, 0, v0
	v_cndmask_b32_e32 v0, v0, v15, vcc
	v_cndmask_b32_e32 v13, v13, v14, vcc
	v_bfrev_b32_e32 v14, 28
	v_lshlrev_b32_e32 v12, 24, v12
	v_lshl_add_u32 v0, v0, 23, v14
	v_and_or_b32 v0, v12, s96, v0
	v_lshl_or_b32 v0, v13, 21, v0
                                        ; implicit-def: $vgpr13
                                        ; implicit-def: $vgpr12
.LBB2_2666:                             ;   in Loop: Header=BB2_2163 Depth=4
	s_andn2_saveexec_b64 s[72:73], s[72:73]
; %bb.2667:                             ;   in Loop: Header=BB2_2163 Depth=4
	v_mov_b32_e32 v0, -1
	v_cmp_gt_i16_sdwa vcc, sext(v12), v0 src0_sel:BYTE_0 src1_sel:DWORD
	v_mov_b32_e32 v0, 0xc7600000
	v_mov_b32_e32 v12, 0x47600000
	v_cndmask_b32_e32 v0, v0, v12, vcc
	v_cmp_eq_u32_e32 vcc, 0, v13
	v_mov_b32_e32 v12, 0x7f800001
	v_cndmask_b32_e32 v0, v12, v0, vcc
; %bb.2668:                             ;   in Loop: Header=BB2_2163 Depth=4
	s_or_b64 exec, exec, s[72:73]
.LBB2_2669:                             ;   in Loop: Header=BB2_2163 Depth=4
	s_or_b64 exec, exec, s[30:31]
.LBB2_2670:                             ;   in Loop: Header=BB2_2163 Depth=4
	s_or_b64 exec, exec, s[70:71]
	v_cmp_ne_u16_sdwa vcc, v8, v51 src0_sel:BYTE_0 src1_sel:DWORD
	s_and_saveexec_b64 s[30:31], vcc
	s_cbranch_execz .LBB2_2678
; %bb.2671:                             ;   in Loop: Header=BB2_2163 Depth=4
	v_cmp_ne_u16_sdwa vcc, v8, s97 src0_sel:BYTE_0 src1_sel:DWORD
	v_bfrev_b32_e32 v9, 1
	s_and_saveexec_b64 s[70:71], vcc
	s_cbranch_execz .LBB2_2677
; %bb.2672:                             ;   in Loop: Header=BB2_2163 Depth=4
	v_and_b32_e32 v9, 0x7c0000, v10
	v_bfe_u32 v12, v10, 16, 2
	v_cmp_ne_u32_e32 vcc, s36, v9
                                        ; implicit-def: $vgpr9
	s_and_saveexec_b64 s[72:73], vcc
	s_xor_b64 s[72:73], exec, s[72:73]
	s_cbranch_execz .LBB2_2674
; %bb.2673:                             ;   in Loop: Header=BB2_2163 Depth=4
	v_ffbh_u32_e32 v13, v12
	v_bfe_u32 v9, v10, 18, 5
	v_min_u32_e32 v13, 32, v13
	v_subrev_u32_e32 v14, 29, v13
	v_sub_u32_e32 v13, 30, v13
	v_cmp_eq_u32_e32 vcc, 0, v9
	v_lshlrev_b64 v[14:15], v14, v[8:9]
	v_cndmask_b32_e32 v9, v9, v13, vcc
	v_bfrev_b32_e32 v13, 28
	v_and_b32_e32 v14, 3, v14
	v_lshlrev_b32_e32 v8, 24, v8
	v_lshl_add_u32 v9, v9, 23, v13
	v_cndmask_b32_e32 v12, v12, v14, vcc
	v_and_or_b32 v8, v8, s96, v9
	v_lshl_or_b32 v9, v12, 21, v8
                                        ; implicit-def: $vgpr12
                                        ; implicit-def: $vgpr8
.LBB2_2674:                             ;   in Loop: Header=BB2_2163 Depth=4
	s_andn2_saveexec_b64 s[72:73], s[72:73]
; %bb.2675:                             ;   in Loop: Header=BB2_2163 Depth=4
	v_mov_b32_e32 v9, -1
	v_cmp_gt_i16_sdwa vcc, sext(v8), v9 src0_sel:BYTE_0 src1_sel:DWORD
	v_mov_b32_e32 v8, 0xc7600000
	v_mov_b32_e32 v9, 0x47600000
	v_cndmask_b32_e32 v8, v8, v9, vcc
	v_cmp_eq_u32_e32 vcc, 0, v12
	v_mov_b32_e32 v9, 0x7f800001
	v_cndmask_b32_e32 v9, v9, v8, vcc
; %bb.2676:                             ;   in Loop: Header=BB2_2163 Depth=4
	s_or_b64 exec, exec, s[72:73]
.LBB2_2677:                             ;   in Loop: Header=BB2_2163 Depth=4
	s_or_b64 exec, exec, s[70:71]
.LBB2_2678:                             ;   in Loop: Header=BB2_2163 Depth=4
	s_or_b64 exec, exec, s[30:31]
	v_max_f32_e32 v8, v9, v9
	v_max_f32_e32 v0, v0, v0
	v_min_f32_e32 v9, v0, v8
.LBB2_2679:                             ;   in Loop: Header=BB2_2163 Depth=4
	v_and_b32_sdwa v0, v9, s97 dst_sel:DWORD dst_unused:UNUSED_PAD src0_sel:BYTE_3 src1_sel:DWORD
	v_and_b32_e32 v12, 0x7f800000, v9
	v_mov_b32_e32 v13, v51
	v_and_b32_e32 v50, 0x7fffff, v9
	v_or_b32_e32 v30, 0x7b, v0
	v_cmp_ne_u64_e32 vcc, s[52:53], v[12:13]
	s_and_saveexec_b64 s[30:31], vcc
	s_xor_b64 s[70:71], exec, s[30:31]
	s_cbranch_execz .LBB2_2689
; %bb.2680:                             ;   in Loop: Header=BB2_2163 Depth=4
	v_and_b32_e32 v12, 0x7fffffff, v9
	v_mov_b32_e32 v13, v51
	v_cmp_gt_u64_e32 vcc, s[54:55], v[12:13]
	s_and_saveexec_b64 s[72:73], vcc
	s_cbranch_execz .LBB2_2688
; %bb.2681:                             ;   in Loop: Header=BB2_2163 Depth=4
	v_cmp_ne_u32_e32 vcc, 0, v9
	v_mov_b32_e32 v30, 0
	s_and_saveexec_b64 s[74:75], vcc
	s_cbranch_execz .LBB2_2687
; %bb.2682:                             ;   in Loop: Header=BB2_2163 Depth=4
	v_bfe_u32 v8, v9, 23, 8
	v_sub_u32_e32 v12, 0x71, v8
	v_cmp_gt_u32_e32 vcc, s38, v8
	v_add_u32_e32 v9, 0xffffff81, v8
	v_cndmask_b32_e32 v12, 0, v12, vcc
	v_cmp_eq_u32_e32 vcc, 0, v8
	v_mov_b32_e32 v8, 0xffffff82
	v_cndmask_b32_e32 v14, v9, v8, vcc
	v_mov_b32_e32 v8, 0x70
	v_or_b32_e32 v13, 0x800000, v50
	v_cndmask_b32_e32 v12, v12, v8, vcc
	v_cndmask_b32_e32 v50, v13, v50, vcc
	v_add_u32_e32 v8, 21, v12
	v_lshlrev_b64 v[8:9], v8, -1
	v_add_u32_e32 v13, 20, v12
	v_lshrrev_b64 v[30:31], v12, v[50:51]
	v_not_b32_e32 v9, v9
	v_not_b32_e32 v8, v8
	v_lshlrev_b64 v[24:25], v13, 1
	v_lshrrev_b32_e32 v13, 23, v30
	v_and_b32_e32 v9, 0, v9
	v_and_b32_e32 v8, v50, v8
	v_add3_u32 v14, v12, v14, v13
	v_bfe_u32 v12, v30, 21, 1
	v_add_u32_e32 v12, -1, v12
	v_cmp_eq_u64_e32 vcc, v[8:9], v[24:25]
	v_cndmask_b32_e32 v8, 0, v12, vcc
	v_add_u32_e32 v8, v8, v30
	v_and_b32_e32 v8, 0x1fffff, v8
	v_add_co_u32_e32 v8, vcc, v8, v30
	v_add_u32_e32 v13, 14, v14
	v_addc_co_u32_e32 v9, vcc, 0, v31, vcc
	v_cmp_ne_u32_e32 vcc, 0, v13
                                        ; implicit-def: $vgpr12
	s_and_saveexec_b64 s[30:31], vcc
	s_xor_b64 s[30:31], exec, s[30:31]
; %bb.2683:                             ;   in Loop: Header=BB2_2163 Depth=4
	v_add_u32_e32 v12, 15, v14
	v_cmp_lt_u64_e32 vcc, s[56:57], v[8:9]
	v_cndmask_b32_e32 v12, v13, v12, vcc
	v_cndmask_b32_e64 v13, 0, 1, vcc
	v_lshrrev_b64 v[8:9], v13, v[8:9]
; %bb.2684:                             ;   in Loop: Header=BB2_2163 Depth=4
	s_andn2_saveexec_b64 vcc, s[30:31]
; %bb.2685:                             ;   in Loop: Header=BB2_2163 Depth=4
	v_bfe_u32 v12, v8, 23, 1
; %bb.2686:                             ;   in Loop: Header=BB2_2163 Depth=4
	s_or_b64 exec, exec, vcc
	v_lshrrev_b64 v[8:9], 21, v[8:9]
	v_cmp_gt_i32_e32 vcc, 32, v12
	v_cndmask_b32_e32 v9, 0, v9, vcc
	v_cndmask_b32_e32 v8, 3, v8, vcc
	v_cmp_eq_u64_e64 s[30:31], 0, v[8:9]
	v_min_i32_e32 v9, 31, v12
	v_cmp_eq_u32_e32 vcc, 0, v12
	v_lshlrev_b32_e32 v9, 2, v9
	v_and_or_b32 v8, v8, 3, v9
	s_and_b64 vcc, vcc, s[30:31]
	v_cndmask_b32_e64 v8, v8, 0, vcc
	v_or_b32_e32 v30, v8, v0
.LBB2_2687:                             ;   in Loop: Header=BB2_2163 Depth=4
	s_or_b64 exec, exec, s[74:75]
.LBB2_2688:                             ;   in Loop: Header=BB2_2163 Depth=4
	s_or_b64 exec, exec, s[72:73]
                                        ; implicit-def: $vgpr9
.LBB2_2689:                             ;   in Loop: Header=BB2_2163 Depth=4
	s_andn2_saveexec_b64 s[30:31], s[70:71]
; %bb.2690:                             ;   in Loop: Header=BB2_2163 Depth=4
	v_or_b32_sdwa v0, v9, s39 dst_sel:DWORD dst_unused:UNUSED_PAD src0_sel:BYTE_3 src1_sel:DWORD
	v_cmp_eq_u64_e32 vcc, 0, v[50:51]
	v_cndmask_b32_e32 v30, v0, v30, vcc
; %bb.2691:                             ;   in Loop: Header=BB2_2163 Depth=4
	s_or_b64 exec, exec, s[30:31]
	v_lshrrev_b32_e32 v12, 24, v28
	v_lshrrev_b32_e32 v8, 24, v10
	v_cmp_lt_u32_e64 s[30:31], s43, v28
	s_and_b64 vcc, exec, s[68:69]
	s_cbranch_vccz .LBB2_2709
; %bb.2692:                             ;   in Loop: Header=BB2_2163 Depth=4
	v_mov_b32_e32 v9, 0
	v_mov_b32_e32 v0, 0
	s_and_saveexec_b64 s[70:71], s[30:31]
	s_cbranch_execz .LBB2_2700
; %bb.2693:                             ;   in Loop: Header=BB2_2163 Depth=4
	v_cmp_ne_u32_e32 vcc, s97, v12
	v_bfrev_b32_e32 v0, 1
	s_and_saveexec_b64 s[72:73], vcc
	s_cbranch_execz .LBB2_2699
; %bb.2694:                             ;   in Loop: Header=BB2_2163 Depth=4
	v_and_b32_e32 v0, 0x7c000000, v28
	v_bfe_u32 v13, v28, 24, 2
	v_cmp_ne_u32_e32 vcc, s37, v0
                                        ; implicit-def: $vgpr0
	s_and_saveexec_b64 s[74:75], vcc
	s_xor_b64 s[74:75], exec, s[74:75]
	s_cbranch_execz .LBB2_2696
; %bb.2695:                             ;   in Loop: Header=BB2_2163 Depth=4
	v_ffbh_u32_e32 v14, v13
	v_min_u32_e32 v24, 32, v14
	v_subrev_u32_e32 v14, 29, v24
	v_bfe_u32 v0, v28, 26, 5
	v_lshlrev_b64 v[14:15], v14, v[12:13]
	v_sub_u32_e32 v15, 30, v24
	v_and_b32_e32 v14, 3, v14
	v_cmp_eq_u32_e32 vcc, 0, v0
	v_cndmask_b32_e32 v0, v0, v15, vcc
	v_cndmask_b32_e32 v13, v13, v14, vcc
	v_bfrev_b32_e32 v14, 28
	v_lshl_add_u32 v0, v0, 23, v14
	v_and_or_b32 v0, v28, s96, v0
	v_lshl_or_b32 v0, v13, 21, v0
                                        ; implicit-def: $vgpr13
.LBB2_2696:                             ;   in Loop: Header=BB2_2163 Depth=4
	s_andn2_saveexec_b64 s[74:75], s[74:75]
; %bb.2697:                             ;   in Loop: Header=BB2_2163 Depth=4
	v_cmp_lt_i32_e32 vcc, -1, v28
	v_mov_b32_e32 v0, 0xc7600000
	v_mov_b32_e32 v14, 0x47600000
	v_cndmask_b32_e32 v0, v0, v14, vcc
	v_cmp_eq_u32_e32 vcc, 0, v13
	v_mov_b32_e32 v13, 0x7f800001
	v_cndmask_b32_e32 v0, v13, v0, vcc
; %bb.2698:                             ;   in Loop: Header=BB2_2163 Depth=4
	s_or_b64 exec, exec, s[74:75]
.LBB2_2699:                             ;   in Loop: Header=BB2_2163 Depth=4
	s_or_b64 exec, exec, s[72:73]
.LBB2_2700:                             ;   in Loop: Header=BB2_2163 Depth=4
	s_or_b64 exec, exec, s[70:71]
	v_cmp_lt_u32_e32 vcc, s43, v10
	s_and_saveexec_b64 s[70:71], vcc
	s_cbranch_execz .LBB2_2708
; %bb.2701:                             ;   in Loop: Header=BB2_2163 Depth=4
	v_cmp_ne_u32_e32 vcc, s97, v8
	v_bfrev_b32_e32 v9, 1
	s_and_saveexec_b64 s[72:73], vcc
	s_cbranch_execz .LBB2_2707
; %bb.2702:                             ;   in Loop: Header=BB2_2163 Depth=4
	v_and_b32_e32 v9, 0x7c000000, v10
	v_bfe_u32 v13, v10, 24, 2
	v_cmp_ne_u32_e32 vcc, s37, v9
                                        ; implicit-def: $vgpr9
	s_and_saveexec_b64 s[74:75], vcc
	s_xor_b64 s[74:75], exec, s[74:75]
	s_cbranch_execz .LBB2_2704
; %bb.2703:                             ;   in Loop: Header=BB2_2163 Depth=4
	v_ffbh_u32_e32 v14, v13
	v_min_u32_e32 v24, 32, v14
	v_bfe_u32 v9, v10, 26, 5
	v_subrev_u32_e32 v14, 29, v24
	v_lshlrev_b64 v[14:15], v14, v[8:9]
	v_sub_u32_e32 v15, 30, v24
	v_and_b32_e32 v14, 3, v14
	v_cmp_eq_u32_e32 vcc, 0, v9
	v_cndmask_b32_e32 v9, v9, v15, vcc
	v_cndmask_b32_e32 v13, v13, v14, vcc
	v_bfrev_b32_e32 v14, 28
	v_lshl_add_u32 v9, v9, 23, v14
	v_and_or_b32 v9, v10, s96, v9
	v_lshl_or_b32 v9, v13, 21, v9
                                        ; implicit-def: $vgpr13
.LBB2_2704:                             ;   in Loop: Header=BB2_2163 Depth=4
	s_andn2_saveexec_b64 s[74:75], s[74:75]
; %bb.2705:                             ;   in Loop: Header=BB2_2163 Depth=4
	v_cmp_lt_i32_e32 vcc, -1, v10
	v_mov_b32_e32 v9, 0xc7600000
	v_mov_b32_e32 v14, 0x47600000
	v_cndmask_b32_e32 v9, v9, v14, vcc
	v_cmp_eq_u32_e32 vcc, 0, v13
	v_mov_b32_e32 v13, 0x7f800001
	v_cndmask_b32_e32 v9, v13, v9, vcc
; %bb.2706:                             ;   in Loop: Header=BB2_2163 Depth=4
	s_or_b64 exec, exec, s[74:75]
.LBB2_2707:                             ;   in Loop: Header=BB2_2163 Depth=4
	s_or_b64 exec, exec, s[72:73]
.LBB2_2708:                             ;   in Loop: Header=BB2_2163 Depth=4
	s_or_b64 exec, exec, s[70:71]
	v_max_f32_e32 v9, v9, v9
	v_max_f32_e32 v0, v0, v0
	;; [unrolled: 1-line block ×3, first 2 shown]
	s_branch .LBB2_2727
.LBB2_2709:                             ;   in Loop: Header=BB2_2163 Depth=4
                                        ; implicit-def: $vgpr9
	s_cbranch_execz .LBB2_2727
; %bb.2710:                             ;   in Loop: Header=BB2_2163 Depth=4
	v_mov_b32_e32 v9, 0
	v_mov_b32_e32 v0, 0
	s_and_saveexec_b64 s[70:71], s[30:31]
	s_cbranch_execz .LBB2_2718
; %bb.2711:                             ;   in Loop: Header=BB2_2163 Depth=4
	v_cmp_ne_u32_e32 vcc, s97, v12
	v_bfrev_b32_e32 v0, 1
	s_and_saveexec_b64 s[30:31], vcc
	s_cbranch_execz .LBB2_2717
; %bb.2712:                             ;   in Loop: Header=BB2_2163 Depth=4
	v_and_b32_e32 v0, 0x7c000000, v28
	v_bfe_u32 v13, v28, 24, 2
	v_cmp_ne_u32_e32 vcc, s37, v0
                                        ; implicit-def: $vgpr0
	s_and_saveexec_b64 s[72:73], vcc
	s_xor_b64 s[72:73], exec, s[72:73]
	s_cbranch_execz .LBB2_2714
; %bb.2713:                             ;   in Loop: Header=BB2_2163 Depth=4
	v_ffbh_u32_e32 v14, v13
	v_min_u32_e32 v24, 32, v14
	v_subrev_u32_e32 v14, 29, v24
	v_bfe_u32 v0, v28, 26, 5
	v_lshlrev_b64 v[14:15], v14, v[12:13]
	v_sub_u32_e32 v12, 30, v24
	v_and_b32_e32 v14, 3, v14
	v_cmp_eq_u32_e32 vcc, 0, v0
	v_cndmask_b32_e32 v0, v0, v12, vcc
	v_cndmask_b32_e32 v12, v13, v14, vcc
	v_bfrev_b32_e32 v13, 28
	v_lshl_add_u32 v0, v0, 23, v13
	v_and_or_b32 v0, v28, s96, v0
	v_lshl_or_b32 v0, v12, 21, v0
                                        ; implicit-def: $vgpr13
.LBB2_2714:                             ;   in Loop: Header=BB2_2163 Depth=4
	s_andn2_saveexec_b64 s[72:73], s[72:73]
; %bb.2715:                             ;   in Loop: Header=BB2_2163 Depth=4
	v_cmp_lt_i32_e32 vcc, -1, v28
	v_mov_b32_e32 v0, 0xc7600000
	v_mov_b32_e32 v12, 0x47600000
	v_cndmask_b32_e32 v0, v0, v12, vcc
	v_cmp_eq_u32_e32 vcc, 0, v13
	v_mov_b32_e32 v12, 0x7f800001
	v_cndmask_b32_e32 v0, v12, v0, vcc
; %bb.2716:                             ;   in Loop: Header=BB2_2163 Depth=4
	s_or_b64 exec, exec, s[72:73]
.LBB2_2717:                             ;   in Loop: Header=BB2_2163 Depth=4
	s_or_b64 exec, exec, s[30:31]
.LBB2_2718:                             ;   in Loop: Header=BB2_2163 Depth=4
	s_or_b64 exec, exec, s[70:71]
	v_cmp_lt_u32_e32 vcc, s43, v10
	s_and_saveexec_b64 s[30:31], vcc
	s_cbranch_execz .LBB2_2726
; %bb.2719:                             ;   in Loop: Header=BB2_2163 Depth=4
	v_cmp_ne_u32_e32 vcc, s97, v8
	v_bfrev_b32_e32 v9, 1
	s_and_saveexec_b64 s[70:71], vcc
	s_cbranch_execz .LBB2_2725
; %bb.2720:                             ;   in Loop: Header=BB2_2163 Depth=4
	v_and_b32_e32 v9, 0x7c000000, v10
	v_bfe_u32 v12, v10, 24, 2
	v_cmp_ne_u32_e32 vcc, s37, v9
                                        ; implicit-def: $vgpr9
	s_and_saveexec_b64 s[72:73], vcc
	s_xor_b64 s[72:73], exec, s[72:73]
	s_cbranch_execz .LBB2_2722
; %bb.2721:                             ;   in Loop: Header=BB2_2163 Depth=4
	v_ffbh_u32_e32 v9, v12
	v_min_u32_e32 v14, 32, v9
	v_subrev_u32_e32 v9, 29, v14
	v_bfe_u32 v13, v10, 26, 5
	v_lshlrev_b64 v[8:9], v9, v[8:9]
	v_sub_u32_e32 v9, 30, v14
	v_and_b32_e32 v8, 3, v8
	v_cmp_eq_u32_e32 vcc, 0, v13
	v_cndmask_b32_e32 v9, v13, v9, vcc
	v_cndmask_b32_e32 v8, v12, v8, vcc
	v_bfrev_b32_e32 v12, 28
	v_lshl_add_u32 v9, v9, 23, v12
	v_and_or_b32 v9, v10, s96, v9
	v_lshl_or_b32 v9, v8, 21, v9
                                        ; implicit-def: $vgpr12
.LBB2_2722:                             ;   in Loop: Header=BB2_2163 Depth=4
	s_andn2_saveexec_b64 s[72:73], s[72:73]
; %bb.2723:                             ;   in Loop: Header=BB2_2163 Depth=4
	v_cmp_lt_i32_e32 vcc, -1, v10
	v_mov_b32_e32 v8, 0xc7600000
	v_mov_b32_e32 v9, 0x47600000
	v_cndmask_b32_e32 v8, v8, v9, vcc
	v_cmp_eq_u32_e32 vcc, 0, v12
	v_mov_b32_e32 v9, 0x7f800001
	v_cndmask_b32_e32 v9, v9, v8, vcc
; %bb.2724:                             ;   in Loop: Header=BB2_2163 Depth=4
	s_or_b64 exec, exec, s[72:73]
.LBB2_2725:                             ;   in Loop: Header=BB2_2163 Depth=4
	s_or_b64 exec, exec, s[70:71]
.LBB2_2726:                             ;   in Loop: Header=BB2_2163 Depth=4
	s_or_b64 exec, exec, s[30:31]
	v_max_f32_e32 v8, v9, v9
	v_max_f32_e32 v0, v0, v0
	v_min_f32_e32 v9, v0, v8
.LBB2_2727:                             ;   in Loop: Header=BB2_2163 Depth=4
	v_and_b32_sdwa v12, v9, s97 dst_sel:DWORD dst_unused:UNUSED_PAD src0_sel:BYTE_3 src1_sel:DWORD
	v_and_b32_e32 v14, 0x7f800000, v9
	v_mov_b32_e32 v15, v51
	v_and_b32_e32 v50, 0x7fffff, v9
	v_or_b32_e32 v0, 0x7b, v12
	v_cmp_ne_u64_e32 vcc, s[52:53], v[14:15]
	s_and_saveexec_b64 s[30:31], vcc
	s_xor_b64 s[70:71], exec, s[30:31]
	s_cbranch_execz .LBB2_2737
; %bb.2728:                             ;   in Loop: Header=BB2_2163 Depth=4
	v_and_b32_e32 v14, 0x7fffffff, v9
	v_mov_b32_e32 v15, v51
	v_cmp_gt_u64_e32 vcc, s[54:55], v[14:15]
	s_and_saveexec_b64 s[72:73], vcc
	s_cbranch_execz .LBB2_2736
; %bb.2729:                             ;   in Loop: Header=BB2_2163 Depth=4
	v_cmp_ne_u32_e32 vcc, 0, v9
	v_mov_b32_e32 v0, 0
	s_and_saveexec_b64 s[74:75], vcc
	s_cbranch_execz .LBB2_2735
; %bb.2730:                             ;   in Loop: Header=BB2_2163 Depth=4
	v_bfe_u32 v0, v9, 23, 8
	v_sub_u32_e32 v9, 0x71, v0
	v_cmp_gt_u32_e32 vcc, s38, v0
	v_add_u32_e32 v8, 0xffffff81, v0
	v_cndmask_b32_e32 v9, 0, v9, vcc
	v_cmp_eq_u32_e32 vcc, 0, v0
	v_mov_b32_e32 v0, 0xffffff82
	v_cndmask_b32_e32 v0, v8, v0, vcc
	v_mov_b32_e32 v8, 0x70
	v_or_b32_e32 v13, 0x800000, v50
	v_cndmask_b32_e32 v14, v9, v8, vcc
	v_cndmask_b32_e32 v50, v13, v50, vcc
	v_add_u32_e32 v8, 21, v14
	v_lshlrev_b64 v[8:9], v8, -1
	v_add_u32_e32 v13, 20, v14
	v_lshrrev_b64 v[54:55], v14, v[50:51]
	v_not_b32_e32 v9, v9
	v_not_b32_e32 v8, v8
	v_lshlrev_b64 v[24:25], v13, 1
	v_lshrrev_b32_e32 v13, 23, v54
	v_and_b32_e32 v9, 0, v9
	v_and_b32_e32 v8, v50, v8
	v_add3_u32 v14, v14, v0, v13
	v_bfe_u32 v0, v54, 21, 1
	v_add_u32_e32 v0, -1, v0
	v_cmp_eq_u64_e32 vcc, v[8:9], v[24:25]
	v_cndmask_b32_e32 v0, 0, v0, vcc
	v_add_u32_e32 v0, v0, v54
	v_and_b32_e32 v0, 0x1fffff, v0
	v_add_co_u32_e32 v8, vcc, v0, v54
	v_add_u32_e32 v13, 14, v14
	v_addc_co_u32_e32 v9, vcc, 0, v55, vcc
	v_cmp_ne_u32_e32 vcc, 0, v13
                                        ; implicit-def: $vgpr0
	s_and_saveexec_b64 s[30:31], vcc
	s_xor_b64 s[30:31], exec, s[30:31]
; %bb.2731:                             ;   in Loop: Header=BB2_2163 Depth=4
	v_add_u32_e32 v0, 15, v14
	v_cmp_lt_u64_e32 vcc, s[56:57], v[8:9]
	v_cndmask_b32_e32 v0, v13, v0, vcc
	v_cndmask_b32_e64 v13, 0, 1, vcc
	v_lshrrev_b64 v[8:9], v13, v[8:9]
; %bb.2732:                             ;   in Loop: Header=BB2_2163 Depth=4
	s_andn2_saveexec_b64 vcc, s[30:31]
; %bb.2733:                             ;   in Loop: Header=BB2_2163 Depth=4
	v_bfe_u32 v0, v8, 23, 1
; %bb.2734:                             ;   in Loop: Header=BB2_2163 Depth=4
	s_or_b64 exec, exec, vcc
	v_lshrrev_b64 v[8:9], 21, v[8:9]
	v_cmp_gt_i32_e32 vcc, 32, v0
	v_cndmask_b32_e32 v9, 0, v9, vcc
	v_cndmask_b32_e32 v8, 3, v8, vcc
	v_cmp_eq_u32_e32 vcc, 0, v0
	v_min_i32_e32 v0, 31, v0
	v_cmp_eq_u64_e64 s[30:31], 0, v[8:9]
	v_lshlrev_b32_e32 v0, 2, v0
	v_and_or_b32 v0, v8, 3, v0
	s_and_b64 vcc, vcc, s[30:31]
	v_cndmask_b32_e64 v0, v0, 0, vcc
	v_or_b32_e32 v0, v0, v12
.LBB2_2735:                             ;   in Loop: Header=BB2_2163 Depth=4
	s_or_b64 exec, exec, s[74:75]
.LBB2_2736:                             ;   in Loop: Header=BB2_2163 Depth=4
	s_or_b64 exec, exec, s[72:73]
                                        ; implicit-def: $vgpr9
.LBB2_2737:                             ;   in Loop: Header=BB2_2163 Depth=4
	s_andn2_saveexec_b64 s[30:31], s[70:71]
; %bb.2738:                             ;   in Loop: Header=BB2_2163 Depth=4
	v_or_b32_sdwa v8, v9, s39 dst_sel:DWORD dst_unused:UNUSED_PAD src0_sel:BYTE_3 src1_sel:DWORD
	v_cmp_eq_u64_e32 vcc, 0, v[50:51]
	v_cndmask_b32_e32 v0, v8, v0, vcc
; %bb.2739:                             ;   in Loop: Header=BB2_2163 Depth=4
	s_or_b64 exec, exec, s[30:31]
	v_mov_b32_e32 v50, v29
	v_mov_b32_e32 v8, v11
	;; [unrolled: 1-line block ×3, first 2 shown]
	v_cmp_ne_u16_sdwa s[30:31], v29, v51 src0_sel:BYTE_0 src1_sel:DWORD
	s_and_b64 vcc, exec, s[68:69]
	s_cbranch_vccz .LBB2_2757
; %bb.2740:                             ;   in Loop: Header=BB2_2163 Depth=4
	v_mov_b32_e32 v13, 0
	v_mov_b32_e32 v12, 0
	s_and_saveexec_b64 s[70:71], s[30:31]
	s_cbranch_execz .LBB2_2748
; %bb.2741:                             ;   in Loop: Header=BB2_2163 Depth=4
	v_cmp_ne_u16_sdwa vcc, v29, s97 src0_sel:BYTE_0 src1_sel:DWORD
	v_bfrev_b32_e32 v12, 1
	s_and_saveexec_b64 s[72:73], vcc
	s_cbranch_execz .LBB2_2747
; %bb.2742:                             ;   in Loop: Header=BB2_2163 Depth=4
	v_and_b32_e32 v12, 0x7c, v29
	v_and_b32_e32 v14, 3, v29
	v_cmp_ne_u32_e32 vcc, s95, v12
                                        ; implicit-def: $vgpr12
	s_and_saveexec_b64 s[74:75], vcc
	s_xor_b64 s[74:75], exec, s[74:75]
	s_cbranch_execz .LBB2_2744
; %bb.2743:                             ;   in Loop: Header=BB2_2163 Depth=4
	v_ffbh_u32_e32 v15, v14
	v_min_u32_e32 v15, 32, v15
	v_subrev_u32_e32 v24, 29, v15
	v_bfe_u32 v12, v29, 2, 5
	v_lshlrev_b64 v[24:25], v24, v[50:51]
	v_sub_u32_e32 v15, 30, v15
	v_and_b32_e32 v24, 3, v24
	v_cmp_eq_u32_e32 vcc, 0, v12
	v_cndmask_b32_e32 v12, v12, v15, vcc
	v_cndmask_b32_e32 v14, v14, v24, vcc
	v_bfrev_b32_e32 v24, 28
	v_lshlrev_b32_e32 v15, 24, v29
	v_lshl_add_u32 v12, v12, 23, v24
	v_and_or_b32 v12, v15, s96, v12
	v_lshl_or_b32 v12, v14, 21, v12
                                        ; implicit-def: $vgpr14
.LBB2_2744:                             ;   in Loop: Header=BB2_2163 Depth=4
	s_andn2_saveexec_b64 s[74:75], s[74:75]
; %bb.2745:                             ;   in Loop: Header=BB2_2163 Depth=4
	v_mov_b32_e32 v12, -1
	v_cmp_gt_i16_sdwa vcc, sext(v29), v12 src0_sel:BYTE_0 src1_sel:DWORD
	v_mov_b32_e32 v12, 0xc7600000
	v_mov_b32_e32 v15, 0x47600000
	v_cndmask_b32_e32 v12, v12, v15, vcc
	v_cmp_eq_u32_e32 vcc, 0, v14
	v_mov_b32_e32 v14, 0x7f800001
	v_cndmask_b32_e32 v12, v14, v12, vcc
; %bb.2746:                             ;   in Loop: Header=BB2_2163 Depth=4
	s_or_b64 exec, exec, s[74:75]
.LBB2_2747:                             ;   in Loop: Header=BB2_2163 Depth=4
	s_or_b64 exec, exec, s[72:73]
.LBB2_2748:                             ;   in Loop: Header=BB2_2163 Depth=4
	s_or_b64 exec, exec, s[70:71]
	v_cmp_ne_u16_sdwa vcc, v11, v51 src0_sel:BYTE_0 src1_sel:DWORD
	s_and_saveexec_b64 s[70:71], vcc
	s_cbranch_execz .LBB2_2756
; %bb.2749:                             ;   in Loop: Header=BB2_2163 Depth=4
	v_cmp_ne_u16_sdwa vcc, v11, s97 src0_sel:BYTE_0 src1_sel:DWORD
	v_bfrev_b32_e32 v13, 1
	s_and_saveexec_b64 s[72:73], vcc
	s_cbranch_execz .LBB2_2755
; %bb.2750:                             ;   in Loop: Header=BB2_2163 Depth=4
	v_and_b32_e32 v13, 0x7c, v11
	v_and_b32_e32 v14, 3, v11
	v_cmp_ne_u32_e32 vcc, s95, v13
                                        ; implicit-def: $vgpr13
	s_and_saveexec_b64 s[74:75], vcc
	s_xor_b64 s[74:75], exec, s[74:75]
	s_cbranch_execz .LBB2_2752
; %bb.2751:                             ;   in Loop: Header=BB2_2163 Depth=4
	v_ffbh_u32_e32 v15, v14
	v_min_u32_e32 v15, 32, v15
	v_subrev_u32_e32 v24, 29, v15
	v_bfe_u32 v13, v11, 2, 5
	v_lshlrev_b64 v[24:25], v24, v[8:9]
	v_sub_u32_e32 v15, 30, v15
	v_and_b32_e32 v24, 3, v24
	v_cmp_eq_u32_e32 vcc, 0, v13
	v_cndmask_b32_e32 v13, v13, v15, vcc
	v_cndmask_b32_e32 v14, v14, v24, vcc
	v_bfrev_b32_e32 v24, 28
	v_lshlrev_b32_e32 v15, 24, v11
	v_lshl_add_u32 v13, v13, 23, v24
	v_and_or_b32 v13, v15, s96, v13
	v_lshl_or_b32 v13, v14, 21, v13
                                        ; implicit-def: $vgpr14
.LBB2_2752:                             ;   in Loop: Header=BB2_2163 Depth=4
	s_andn2_saveexec_b64 s[74:75], s[74:75]
; %bb.2753:                             ;   in Loop: Header=BB2_2163 Depth=4
	v_mov_b32_e32 v13, -1
	v_cmp_gt_i16_sdwa vcc, sext(v11), v13 src0_sel:BYTE_0 src1_sel:DWORD
	v_mov_b32_e32 v13, 0xc7600000
	v_mov_b32_e32 v15, 0x47600000
	v_cndmask_b32_e32 v13, v13, v15, vcc
	v_cmp_eq_u32_e32 vcc, 0, v14
	v_mov_b32_e32 v14, 0x7f800001
	v_cndmask_b32_e32 v13, v14, v13, vcc
; %bb.2754:                             ;   in Loop: Header=BB2_2163 Depth=4
	s_or_b64 exec, exec, s[74:75]
.LBB2_2755:                             ;   in Loop: Header=BB2_2163 Depth=4
	s_or_b64 exec, exec, s[72:73]
.LBB2_2756:                             ;   in Loop: Header=BB2_2163 Depth=4
	s_or_b64 exec, exec, s[70:71]
	v_max_f32_e32 v13, v13, v13
	v_max_f32_e32 v12, v12, v12
	;; [unrolled: 1-line block ×3, first 2 shown]
	s_branch .LBB2_2775
.LBB2_2757:                             ;   in Loop: Header=BB2_2163 Depth=4
                                        ; implicit-def: $vgpr14
	s_cbranch_execz .LBB2_2775
; %bb.2758:                             ;   in Loop: Header=BB2_2163 Depth=4
	v_mov_b32_e32 v13, 0
	v_mov_b32_e32 v12, 0
	s_and_saveexec_b64 s[70:71], s[30:31]
	s_cbranch_execz .LBB2_2766
; %bb.2759:                             ;   in Loop: Header=BB2_2163 Depth=4
	v_cmp_ne_u16_sdwa vcc, v29, s97 src0_sel:BYTE_0 src1_sel:DWORD
	v_bfrev_b32_e32 v12, 1
	s_and_saveexec_b64 s[30:31], vcc
	s_cbranch_execz .LBB2_2765
; %bb.2760:                             ;   in Loop: Header=BB2_2163 Depth=4
	v_and_b32_e32 v12, 0x7c, v29
	v_and_b32_e32 v14, 3, v29
	v_cmp_ne_u32_e32 vcc, s95, v12
                                        ; implicit-def: $vgpr12
	s_and_saveexec_b64 s[72:73], vcc
	s_xor_b64 s[72:73], exec, s[72:73]
	s_cbranch_execz .LBB2_2762
; %bb.2761:                             ;   in Loop: Header=BB2_2163 Depth=4
	v_ffbh_u32_e32 v15, v14
	v_min_u32_e32 v15, 32, v15
	v_subrev_u32_e32 v24, 29, v15
	v_bfe_u32 v12, v29, 2, 5
	v_lshlrev_b64 v[24:25], v24, v[50:51]
	v_sub_u32_e32 v15, 30, v15
	v_and_b32_e32 v24, 3, v24
	v_cmp_eq_u32_e32 vcc, 0, v12
	v_cndmask_b32_e32 v12, v12, v15, vcc
	v_cndmask_b32_e32 v14, v14, v24, vcc
	v_bfrev_b32_e32 v24, 28
	v_lshlrev_b32_e32 v15, 24, v29
	v_lshl_add_u32 v12, v12, 23, v24
	v_and_or_b32 v12, v15, s96, v12
	v_lshl_or_b32 v12, v14, 21, v12
                                        ; implicit-def: $vgpr14
.LBB2_2762:                             ;   in Loop: Header=BB2_2163 Depth=4
	s_andn2_saveexec_b64 s[72:73], s[72:73]
; %bb.2763:                             ;   in Loop: Header=BB2_2163 Depth=4
	v_mov_b32_e32 v12, -1
	v_cmp_gt_i16_sdwa vcc, sext(v29), v12 src0_sel:BYTE_0 src1_sel:DWORD
	v_mov_b32_e32 v12, 0xc7600000
	v_mov_b32_e32 v15, 0x47600000
	v_cndmask_b32_e32 v12, v12, v15, vcc
	v_cmp_eq_u32_e32 vcc, 0, v14
	v_mov_b32_e32 v14, 0x7f800001
	v_cndmask_b32_e32 v12, v14, v12, vcc
; %bb.2764:                             ;   in Loop: Header=BB2_2163 Depth=4
	s_or_b64 exec, exec, s[72:73]
.LBB2_2765:                             ;   in Loop: Header=BB2_2163 Depth=4
	s_or_b64 exec, exec, s[30:31]
.LBB2_2766:                             ;   in Loop: Header=BB2_2163 Depth=4
	s_or_b64 exec, exec, s[70:71]
	v_cmp_ne_u16_sdwa vcc, v11, v51 src0_sel:BYTE_0 src1_sel:DWORD
	s_and_saveexec_b64 s[30:31], vcc
	s_cbranch_execz .LBB2_2774
; %bb.2767:                             ;   in Loop: Header=BB2_2163 Depth=4
	v_cmp_ne_u16_sdwa vcc, v11, s97 src0_sel:BYTE_0 src1_sel:DWORD
	v_bfrev_b32_e32 v13, 1
	s_and_saveexec_b64 s[70:71], vcc
	s_cbranch_execz .LBB2_2773
; %bb.2768:                             ;   in Loop: Header=BB2_2163 Depth=4
	v_and_b32_e32 v13, 0x7c, v11
	v_and_b32_e32 v14, 3, v11
	v_cmp_ne_u32_e32 vcc, s95, v13
                                        ; implicit-def: $vgpr13
	s_and_saveexec_b64 s[72:73], vcc
	s_xor_b64 s[72:73], exec, s[72:73]
	s_cbranch_execz .LBB2_2770
; %bb.2769:                             ;   in Loop: Header=BB2_2163 Depth=4
	v_ffbh_u32_e32 v15, v14
	v_min_u32_e32 v15, 32, v15
	v_subrev_u32_e32 v24, 29, v15
	v_bfe_u32 v13, v11, 2, 5
	v_lshlrev_b64 v[24:25], v24, v[8:9]
	v_sub_u32_e32 v9, 30, v15
	v_and_b32_e32 v15, 3, v24
	v_cmp_eq_u32_e32 vcc, 0, v13
	v_cndmask_b32_e32 v9, v13, v9, vcc
	v_cndmask_b32_e32 v13, v14, v15, vcc
	v_bfrev_b32_e32 v15, 28
	v_lshlrev_b32_e32 v14, 24, v11
	v_lshl_add_u32 v9, v9, 23, v15
	v_and_or_b32 v9, v14, s96, v9
	v_lshl_or_b32 v13, v13, 21, v9
                                        ; implicit-def: $vgpr14
.LBB2_2770:                             ;   in Loop: Header=BB2_2163 Depth=4
	s_andn2_saveexec_b64 s[72:73], s[72:73]
; %bb.2771:                             ;   in Loop: Header=BB2_2163 Depth=4
	v_mov_b32_e32 v9, -1
	v_cmp_gt_i16_sdwa vcc, sext(v11), v9 src0_sel:BYTE_0 src1_sel:DWORD
	v_mov_b32_e32 v9, 0xc7600000
	v_mov_b32_e32 v13, 0x47600000
	v_cndmask_b32_e32 v9, v9, v13, vcc
	v_cmp_eq_u32_e32 vcc, 0, v14
	v_mov_b32_e32 v13, 0x7f800001
	v_cndmask_b32_e32 v13, v13, v9, vcc
; %bb.2772:                             ;   in Loop: Header=BB2_2163 Depth=4
	s_or_b64 exec, exec, s[72:73]
.LBB2_2773:                             ;   in Loop: Header=BB2_2163 Depth=4
	s_or_b64 exec, exec, s[70:71]
.LBB2_2774:                             ;   in Loop: Header=BB2_2163 Depth=4
	s_or_b64 exec, exec, s[30:31]
	v_max_f32_e32 v9, v13, v13
	v_max_f32_e32 v12, v12, v12
	v_min_f32_e32 v14, v12, v9
.LBB2_2775:                             ;   in Loop: Header=BB2_2163 Depth=4
	v_and_b32_sdwa v9, v14, s97 dst_sel:DWORD dst_unused:UNUSED_PAD src0_sel:BYTE_3 src1_sel:DWORD
	v_and_b32_e32 v24, 0x7f800000, v14
	v_mov_b32_e32 v25, v51
	v_and_b32_e32 v12, 0x7fffff, v14
	v_mov_b32_e32 v13, v51
	v_or_b32_e32 v31, 0x7b, v9
	v_cmp_ne_u64_e32 vcc, s[52:53], v[24:25]
	s_and_saveexec_b64 s[30:31], vcc
	s_xor_b64 s[70:71], exec, s[30:31]
	s_cbranch_execz .LBB2_2785
; %bb.2776:                             ;   in Loop: Header=BB2_2163 Depth=4
	v_and_b32_e32 v24, 0x7fffffff, v14
	v_mov_b32_e32 v25, v51
	v_cmp_gt_u64_e32 vcc, s[54:55], v[24:25]
	s_and_saveexec_b64 s[72:73], vcc
	s_cbranch_execz .LBB2_2784
; %bb.2777:                             ;   in Loop: Header=BB2_2163 Depth=4
	v_cmp_ne_u32_e32 vcc, 0, v14
	v_mov_b32_e32 v31, 0
	s_and_saveexec_b64 s[74:75], vcc
	s_cbranch_execz .LBB2_2783
; %bb.2778:                             ;   in Loop: Header=BB2_2163 Depth=4
	v_bfe_u32 v14, v14, 23, 8
	v_sub_u32_e32 v24, 0x71, v14
	v_cmp_gt_u32_e32 vcc, s38, v14
	v_add_u32_e32 v15, 0xffffff81, v14
	v_cndmask_b32_e32 v24, 0, v24, vcc
	v_cmp_eq_u32_e32 vcc, 0, v14
	v_mov_b32_e32 v14, 0xffffff82
	v_cndmask_b32_e32 v31, v15, v14, vcc
	v_mov_b32_e32 v14, 0x70
	v_cndmask_b32_e32 v40, v24, v14, vcc
	v_add_u32_e32 v14, 21, v40
	v_or_b32_e32 v25, 0x800000, v12
	v_lshlrev_b64 v[14:15], v14, -1
	v_cndmask_b32_e32 v12, v25, v12, vcc
	v_not_b32_e32 v14, v14
	v_and_b32_e32 v24, v12, v14
	v_add_u32_e32 v14, 20, v40
	v_lshrrev_b64 v[12:13], v40, v[12:13]
	v_not_b32_e32 v15, v15
	v_lshlrev_b64 v[54:55], v14, 1
	v_lshrrev_b32_e32 v14, 23, v12
	v_and_b32_e32 v25, 0, v15
	v_add3_u32 v31, v40, v31, v14
	v_bfe_u32 v14, v12, 21, 1
	v_add_u32_e32 v14, -1, v14
	v_cmp_eq_u64_e32 vcc, v[24:25], v[54:55]
	v_cndmask_b32_e32 v14, 0, v14, vcc
	v_add_u32_e32 v14, v14, v12
	v_and_b32_e32 v14, 0x1fffff, v14
	v_add_co_u32_e32 v12, vcc, v14, v12
	v_add_u32_e32 v15, 14, v31
	v_addc_co_u32_e32 v13, vcc, 0, v13, vcc
	v_cmp_ne_u32_e32 vcc, 0, v15
                                        ; implicit-def: $vgpr14
	s_and_saveexec_b64 s[30:31], vcc
	s_xor_b64 s[30:31], exec, s[30:31]
; %bb.2779:                             ;   in Loop: Header=BB2_2163 Depth=4
	v_add_u32_e32 v14, 15, v31
	v_cmp_lt_u64_e32 vcc, s[56:57], v[12:13]
	v_cndmask_b32_e32 v14, v15, v14, vcc
	v_cndmask_b32_e64 v15, 0, 1, vcc
	v_lshrrev_b64 v[12:13], v15, v[12:13]
; %bb.2780:                             ;   in Loop: Header=BB2_2163 Depth=4
	s_andn2_saveexec_b64 vcc, s[30:31]
; %bb.2781:                             ;   in Loop: Header=BB2_2163 Depth=4
	v_bfe_u32 v14, v12, 23, 1
; %bb.2782:                             ;   in Loop: Header=BB2_2163 Depth=4
	s_or_b64 exec, exec, vcc
	v_lshrrev_b64 v[12:13], 21, v[12:13]
	v_cmp_gt_i32_e32 vcc, 32, v14
	v_cndmask_b32_e32 v13, 0, v13, vcc
	v_cndmask_b32_e32 v12, 3, v12, vcc
	v_cmp_eq_u64_e64 s[30:31], 0, v[12:13]
	v_min_i32_e32 v13, 31, v14
	v_cmp_eq_u32_e32 vcc, 0, v14
	v_lshlrev_b32_e32 v13, 2, v13
	v_and_or_b32 v12, v12, 3, v13
	s_and_b64 vcc, vcc, s[30:31]
	v_cndmask_b32_e64 v12, v12, 0, vcc
	v_or_b32_e32 v31, v12, v9
.LBB2_2783:                             ;   in Loop: Header=BB2_2163 Depth=4
	s_or_b64 exec, exec, s[74:75]
.LBB2_2784:                             ;   in Loop: Header=BB2_2163 Depth=4
	s_or_b64 exec, exec, s[72:73]
                                        ; implicit-def: $vgpr14
                                        ; implicit-def: $vgpr12_vgpr13
.LBB2_2785:                             ;   in Loop: Header=BB2_2163 Depth=4
	s_andn2_saveexec_b64 s[30:31], s[70:71]
; %bb.2786:                             ;   in Loop: Header=BB2_2163 Depth=4
	v_or_b32_sdwa v9, v14, s39 dst_sel:DWORD dst_unused:UNUSED_PAD src0_sel:BYTE_3 src1_sel:DWORD
	v_cmp_eq_u64_e32 vcc, 0, v[12:13]
	v_cndmask_b32_e32 v31, v9, v31, vcc
; %bb.2787:                             ;   in Loop: Header=BB2_2163 Depth=4
	s_or_b64 exec, exec, s[30:31]
	v_lshrrev_b16_e32 v14, 8, v50
	v_lshrrev_b16_e32 v12, 8, v8
	v_cmp_ne_u16_e64 s[30:31], 0, v14
	s_and_b64 vcc, exec, s[68:69]
	s_cbranch_vccz .LBB2_2805
; %bb.2788:                             ;   in Loop: Header=BB2_2163 Depth=4
	v_mov_b32_e32 v13, 0
	v_mov_b32_e32 v9, 0
	s_and_saveexec_b64 s[70:71], s[30:31]
	s_cbranch_execz .LBB2_2796
; %bb.2789:                             ;   in Loop: Header=BB2_2163 Depth=4
	v_cmp_ne_u16_e32 vcc, s97, v14
	v_bfrev_b32_e32 v9, 1
	s_and_saveexec_b64 s[72:73], vcc
	s_cbranch_execz .LBB2_2795
; %bb.2790:                             ;   in Loop: Header=BB2_2163 Depth=4
	v_and_b32_e32 v9, 0x7c, v14
	v_and_b32_e32 v54, 3, v14
	v_cmp_ne_u32_e32 vcc, s95, v9
                                        ; implicit-def: $vgpr9
	s_and_saveexec_b64 s[74:75], vcc
	s_xor_b64 s[74:75], exec, s[74:75]
	s_cbranch_execz .LBB2_2792
; %bb.2791:                             ;   in Loop: Header=BB2_2163 Depth=4
	v_ffbh_u32_e32 v24, v54
	v_min_u32_e32 v55, 32, v24
	v_mov_b32_e32 v15, v51
	v_bfe_u32 v9, v14, 2, 5
	v_subrev_u32_e32 v24, 29, v55
	v_lshlrev_b64 v[24:25], v24, v[14:15]
	v_sub_u32_e32 v15, 30, v55
	v_cmp_eq_u32_e32 vcc, 0, v9
	v_and_b32_e32 v24, 3, v24
	v_cndmask_b32_e32 v9, v9, v15, vcc
	v_bfrev_b32_e32 v25, 28
	v_cndmask_b32_e32 v15, v54, v24, vcc
	v_lshlrev_b32_e32 v24, 16, v50
	v_lshl_add_u32 v9, v9, 23, v25
	v_and_or_b32 v9, v24, s96, v9
	v_lshl_or_b32 v9, v15, 21, v9
                                        ; implicit-def: $vgpr54
.LBB2_2792:                             ;   in Loop: Header=BB2_2163 Depth=4
	s_andn2_saveexec_b64 s[74:75], s[74:75]
; %bb.2793:                             ;   in Loop: Header=BB2_2163 Depth=4
	v_cmp_lt_i16_e32 vcc, -1, v50
	v_mov_b32_e32 v9, 0xc7600000
	v_mov_b32_e32 v15, 0x47600000
	v_cndmask_b32_e32 v9, v9, v15, vcc
	v_cmp_eq_u32_e32 vcc, 0, v54
	v_mov_b32_e32 v15, 0x7f800001
	v_cndmask_b32_e32 v9, v15, v9, vcc
; %bb.2794:                             ;   in Loop: Header=BB2_2163 Depth=4
	s_or_b64 exec, exec, s[74:75]
.LBB2_2795:                             ;   in Loop: Header=BB2_2163 Depth=4
	s_or_b64 exec, exec, s[72:73]
.LBB2_2796:                             ;   in Loop: Header=BB2_2163 Depth=4
	s_or_b64 exec, exec, s[70:71]
	v_cmp_ne_u16_e32 vcc, 0, v12
	s_and_saveexec_b64 s[70:71], vcc
	s_cbranch_execz .LBB2_2804
; %bb.2797:                             ;   in Loop: Header=BB2_2163 Depth=4
	v_cmp_ne_u16_e32 vcc, s97, v12
	v_bfrev_b32_e32 v13, 1
	s_and_saveexec_b64 s[72:73], vcc
	s_cbranch_execz .LBB2_2803
; %bb.2798:                             ;   in Loop: Header=BB2_2163 Depth=4
	v_and_b32_e32 v13, 0x7c, v12
	v_and_b32_e32 v15, 3, v12
	v_cmp_ne_u32_e32 vcc, s95, v13
                                        ; implicit-def: $vgpr13
	s_and_saveexec_b64 s[74:75], vcc
	s_xor_b64 s[74:75], exec, s[74:75]
	s_cbranch_execz .LBB2_2800
; %bb.2799:                             ;   in Loop: Header=BB2_2163 Depth=4
	v_ffbh_u32_e32 v24, v15
	v_min_u32_e32 v55, 32, v24
	v_mov_b32_e32 v13, v51
	v_bfe_u32 v54, v12, 2, 5
	v_subrev_u32_e32 v24, 29, v55
	v_lshlrev_b64 v[24:25], v24, v[12:13]
	v_sub_u32_e32 v13, 30, v55
	v_cmp_eq_u32_e32 vcc, 0, v54
	v_and_b32_e32 v24, 3, v24
	v_cndmask_b32_e32 v13, v54, v13, vcc
	v_bfrev_b32_e32 v25, 28
	v_cndmask_b32_e32 v15, v15, v24, vcc
	v_lshlrev_b32_e32 v24, 16, v8
	v_lshl_add_u32 v13, v13, 23, v25
	v_and_or_b32 v13, v24, s96, v13
	v_lshl_or_b32 v13, v15, 21, v13
                                        ; implicit-def: $vgpr15
.LBB2_2800:                             ;   in Loop: Header=BB2_2163 Depth=4
	s_andn2_saveexec_b64 s[74:75], s[74:75]
; %bb.2801:                             ;   in Loop: Header=BB2_2163 Depth=4
	v_cmp_lt_i16_e32 vcc, -1, v8
	v_mov_b32_e32 v13, 0xc7600000
	v_mov_b32_e32 v24, 0x47600000
	v_cndmask_b32_e32 v13, v13, v24, vcc
	v_cmp_eq_u32_e32 vcc, 0, v15
	v_mov_b32_e32 v15, 0x7f800001
	v_cndmask_b32_e32 v13, v15, v13, vcc
; %bb.2802:                             ;   in Loop: Header=BB2_2163 Depth=4
	s_or_b64 exec, exec, s[74:75]
.LBB2_2803:                             ;   in Loop: Header=BB2_2163 Depth=4
	s_or_b64 exec, exec, s[72:73]
.LBB2_2804:                             ;   in Loop: Header=BB2_2163 Depth=4
	s_or_b64 exec, exec, s[70:71]
	v_max_f32_e32 v13, v13, v13
	v_max_f32_e32 v9, v9, v9
	;; [unrolled: 1-line block ×3, first 2 shown]
	s_branch .LBB2_2823
.LBB2_2805:                             ;   in Loop: Header=BB2_2163 Depth=4
                                        ; implicit-def: $vgpr9
	s_cbranch_execz .LBB2_2823
; %bb.2806:                             ;   in Loop: Header=BB2_2163 Depth=4
	v_mov_b32_e32 v13, 0
	v_mov_b32_e32 v15, 0
	s_and_saveexec_b64 s[70:71], s[30:31]
	s_cbranch_execz .LBB2_2814
; %bb.2807:                             ;   in Loop: Header=BB2_2163 Depth=4
	v_cmp_ne_u16_e32 vcc, s97, v14
	v_bfrev_b32_e32 v15, 1
	s_and_saveexec_b64 s[30:31], vcc
	s_cbranch_execz .LBB2_2813
; %bb.2808:                             ;   in Loop: Header=BB2_2163 Depth=4
	v_and_b32_e32 v15, 0x7c, v14
	v_and_b32_e32 v9, 3, v14
	v_cmp_ne_u32_e32 vcc, s95, v15
                                        ; implicit-def: $vgpr15
	s_and_saveexec_b64 s[72:73], vcc
	s_xor_b64 s[72:73], exec, s[72:73]
	s_cbranch_execz .LBB2_2810
; %bb.2809:                             ;   in Loop: Header=BB2_2163 Depth=4
	v_ffbh_u32_e32 v25, v9
	v_min_u32_e32 v25, 32, v25
	v_mov_b32_e32 v15, v51
	v_subrev_u32_e32 v54, 29, v25
	v_bfe_u32 v24, v14, 2, 5
	v_lshlrev_b64 v[14:15], v54, v[14:15]
	v_sub_u32_e32 v15, 30, v25
	v_cmp_eq_u32_e32 vcc, 0, v24
	v_and_b32_e32 v14, 3, v14
	v_cndmask_b32_e32 v15, v24, v15, vcc
	v_bfrev_b32_e32 v24, 28
	v_cndmask_b32_e32 v9, v9, v14, vcc
	v_lshlrev_b32_e32 v14, 16, v50
	v_lshl_add_u32 v15, v15, 23, v24
	v_and_or_b32 v14, v14, s96, v15
	v_lshl_or_b32 v15, v9, 21, v14
                                        ; implicit-def: $vgpr9
.LBB2_2810:                             ;   in Loop: Header=BB2_2163 Depth=4
	s_andn2_saveexec_b64 s[72:73], s[72:73]
; %bb.2811:                             ;   in Loop: Header=BB2_2163 Depth=4
	v_cmp_lt_i16_e32 vcc, -1, v50
	v_mov_b32_e32 v14, 0xc7600000
	v_mov_b32_e32 v15, 0x47600000
	v_cndmask_b32_e32 v14, v14, v15, vcc
	v_cmp_eq_u32_e32 vcc, 0, v9
	v_mov_b32_e32 v9, 0x7f800001
	v_cndmask_b32_e32 v15, v9, v14, vcc
; %bb.2812:                             ;   in Loop: Header=BB2_2163 Depth=4
	s_or_b64 exec, exec, s[72:73]
.LBB2_2813:                             ;   in Loop: Header=BB2_2163 Depth=4
	s_or_b64 exec, exec, s[30:31]
.LBB2_2814:                             ;   in Loop: Header=BB2_2163 Depth=4
	s_or_b64 exec, exec, s[70:71]
	v_cmp_ne_u16_e32 vcc, 0, v12
	s_and_saveexec_b64 s[30:31], vcc
	s_cbranch_execz .LBB2_2822
; %bb.2815:                             ;   in Loop: Header=BB2_2163 Depth=4
	v_cmp_ne_u16_e32 vcc, s97, v12
	v_bfrev_b32_e32 v13, 1
	s_and_saveexec_b64 s[70:71], vcc
	s_cbranch_execz .LBB2_2821
; %bb.2816:                             ;   in Loop: Header=BB2_2163 Depth=4
	v_and_b32_e32 v9, 0x7c, v12
	v_and_b32_e32 v14, 3, v12
	v_cmp_ne_u32_e32 vcc, s95, v9
                                        ; implicit-def: $vgpr13
	s_and_saveexec_b64 s[72:73], vcc
	s_xor_b64 s[72:73], exec, s[72:73]
	s_cbranch_execz .LBB2_2818
; %bb.2817:                             ;   in Loop: Header=BB2_2163 Depth=4
	v_ffbh_u32_e32 v24, v14
	v_min_u32_e32 v24, 32, v24
	v_mov_b32_e32 v13, v51
	v_subrev_u32_e32 v25, 29, v24
	v_bfe_u32 v9, v12, 2, 5
	v_lshlrev_b64 v[12:13], v25, v[12:13]
	v_sub_u32_e32 v13, 30, v24
	v_cmp_eq_u32_e32 vcc, 0, v9
	v_cndmask_b32_e32 v9, v9, v13, vcc
	v_bfrev_b32_e32 v13, 28
	v_and_b32_e32 v12, 3, v12
	v_lshlrev_b32_e32 v8, 16, v8
	v_lshl_add_u32 v9, v9, 23, v13
	v_cndmask_b32_e32 v12, v14, v12, vcc
	v_and_or_b32 v8, v8, s96, v9
	v_lshl_or_b32 v13, v12, 21, v8
                                        ; implicit-def: $vgpr14
                                        ; implicit-def: $vgpr8_vgpr9
.LBB2_2818:                             ;   in Loop: Header=BB2_2163 Depth=4
	s_andn2_saveexec_b64 s[72:73], s[72:73]
; %bb.2819:                             ;   in Loop: Header=BB2_2163 Depth=4
	v_cmp_lt_i16_e32 vcc, -1, v8
	v_mov_b32_e32 v8, 0xc7600000
	v_mov_b32_e32 v9, 0x47600000
	v_cndmask_b32_e32 v8, v8, v9, vcc
	v_cmp_eq_u32_e32 vcc, 0, v14
	v_mov_b32_e32 v9, 0x7f800001
	v_cndmask_b32_e32 v13, v9, v8, vcc
; %bb.2820:                             ;   in Loop: Header=BB2_2163 Depth=4
	s_or_b64 exec, exec, s[72:73]
.LBB2_2821:                             ;   in Loop: Header=BB2_2163 Depth=4
	s_or_b64 exec, exec, s[70:71]
.LBB2_2822:                             ;   in Loop: Header=BB2_2163 Depth=4
	s_or_b64 exec, exec, s[30:31]
	v_max_f32_e32 v8, v13, v13
	v_max_f32_e32 v9, v15, v15
	v_min_f32_e32 v9, v9, v8
.LBB2_2823:                             ;   in Loop: Header=BB2_2163 Depth=4
	v_and_b32_sdwa v12, v9, s97 dst_sel:DWORD dst_unused:UNUSED_PAD src0_sel:BYTE_3 src1_sel:DWORD
	v_and_b32_e32 v14, 0x7f800000, v9
	v_mov_b32_e32 v15, v51
	v_and_b32_e32 v50, 0x7fffff, v9
	v_or_b32_e32 v13, 0x7b, v12
	v_cmp_ne_u64_e32 vcc, s[52:53], v[14:15]
	s_and_saveexec_b64 s[30:31], vcc
	s_xor_b64 s[70:71], exec, s[30:31]
	s_cbranch_execz .LBB2_2833
; %bb.2824:                             ;   in Loop: Header=BB2_2163 Depth=4
	v_and_b32_e32 v14, 0x7fffffff, v9
	v_mov_b32_e32 v15, v51
	v_cmp_gt_u64_e32 vcc, s[54:55], v[14:15]
	s_and_saveexec_b64 s[72:73], vcc
	s_cbranch_execz .LBB2_2832
; %bb.2825:                             ;   in Loop: Header=BB2_2163 Depth=4
	v_cmp_ne_u32_e32 vcc, 0, v9
	v_mov_b32_e32 v13, 0
	s_and_saveexec_b64 s[74:75], vcc
	s_cbranch_execz .LBB2_2831
; %bb.2826:                             ;   in Loop: Header=BB2_2163 Depth=4
	v_bfe_u32 v8, v9, 23, 8
	v_sub_u32_e32 v13, 0x71, v8
	v_cmp_gt_u32_e32 vcc, s38, v8
	v_add_u32_e32 v9, 0xffffff81, v8
	v_cndmask_b32_e32 v13, 0, v13, vcc
	v_cmp_eq_u32_e32 vcc, 0, v8
	v_mov_b32_e32 v8, 0xffffff82
	v_cndmask_b32_e32 v15, v9, v8, vcc
	v_mov_b32_e32 v8, 0x70
	v_or_b32_e32 v14, 0x800000, v50
	v_cndmask_b32_e32 v13, v13, v8, vcc
	v_cndmask_b32_e32 v50, v14, v50, vcc
	v_add_u32_e32 v8, 21, v13
	v_lshlrev_b64 v[8:9], v8, -1
	v_add_u32_e32 v14, 20, v13
	v_lshrrev_b64 v[54:55], v13, v[50:51]
	v_not_b32_e32 v9, v9
	v_not_b32_e32 v8, v8
	v_lshlrev_b64 v[24:25], v14, 1
	v_lshrrev_b32_e32 v14, 23, v54
	v_and_b32_e32 v9, 0, v9
	v_and_b32_e32 v8, v50, v8
	v_add3_u32 v15, v13, v15, v14
	v_bfe_u32 v13, v54, 21, 1
	v_add_u32_e32 v13, -1, v13
	v_cmp_eq_u64_e32 vcc, v[8:9], v[24:25]
	v_cndmask_b32_e32 v8, 0, v13, vcc
	v_add_u32_e32 v8, v8, v54
	v_and_b32_e32 v8, 0x1fffff, v8
	v_add_co_u32_e32 v8, vcc, v8, v54
	v_add_u32_e32 v14, 14, v15
	v_addc_co_u32_e32 v9, vcc, 0, v55, vcc
	v_cmp_ne_u32_e32 vcc, 0, v14
                                        ; implicit-def: $vgpr13
	s_and_saveexec_b64 s[30:31], vcc
	s_xor_b64 s[30:31], exec, s[30:31]
; %bb.2827:                             ;   in Loop: Header=BB2_2163 Depth=4
	v_add_u32_e32 v13, 15, v15
	v_cmp_lt_u64_e32 vcc, s[56:57], v[8:9]
	v_cndmask_b32_e32 v13, v14, v13, vcc
	v_cndmask_b32_e64 v14, 0, 1, vcc
	v_lshrrev_b64 v[8:9], v14, v[8:9]
; %bb.2828:                             ;   in Loop: Header=BB2_2163 Depth=4
	s_andn2_saveexec_b64 vcc, s[30:31]
; %bb.2829:                             ;   in Loop: Header=BB2_2163 Depth=4
	v_bfe_u32 v13, v8, 23, 1
; %bb.2830:                             ;   in Loop: Header=BB2_2163 Depth=4
	s_or_b64 exec, exec, vcc
	v_lshrrev_b64 v[8:9], 21, v[8:9]
	v_cmp_gt_i32_e32 vcc, 32, v13
	v_cndmask_b32_e32 v9, 0, v9, vcc
	v_cndmask_b32_e32 v8, 3, v8, vcc
	v_cmp_eq_u64_e64 s[30:31], 0, v[8:9]
	v_min_i32_e32 v9, 31, v13
	v_cmp_eq_u32_e32 vcc, 0, v13
	v_lshlrev_b32_e32 v9, 2, v9
	v_and_or_b32 v8, v8, 3, v9
	s_and_b64 vcc, vcc, s[30:31]
	v_cndmask_b32_e64 v8, v8, 0, vcc
	v_or_b32_e32 v13, v8, v12
.LBB2_2831:                             ;   in Loop: Header=BB2_2163 Depth=4
	s_or_b64 exec, exec, s[74:75]
.LBB2_2832:                             ;   in Loop: Header=BB2_2163 Depth=4
	s_or_b64 exec, exec, s[72:73]
                                        ; implicit-def: $vgpr9
.LBB2_2833:                             ;   in Loop: Header=BB2_2163 Depth=4
	s_andn2_saveexec_b64 s[30:31], s[70:71]
; %bb.2834:                             ;   in Loop: Header=BB2_2163 Depth=4
	v_or_b32_sdwa v8, v9, s39 dst_sel:DWORD dst_unused:UNUSED_PAD src0_sel:BYTE_3 src1_sel:DWORD
	v_cmp_eq_u64_e32 vcc, 0, v[50:51]
	v_cndmask_b32_e32 v13, v8, v13, vcc
; %bb.2835:                             ;   in Loop: Header=BB2_2163 Depth=4
	s_or_b64 exec, exec, s[30:31]
	v_lshrrev_b32_e32 v12, 16, v29
	v_lshrrev_b32_e32 v8, 16, v11
	v_cmp_ne_u16_sdwa s[30:31], v12, v51 src0_sel:BYTE_0 src1_sel:DWORD
	s_and_b64 vcc, exec, s[68:69]
	s_cbranch_vccz .LBB2_2853
; %bb.2836:                             ;   in Loop: Header=BB2_2163 Depth=4
	v_mov_b32_e32 v14, 0
	v_mov_b32_e32 v9, 0
	s_and_saveexec_b64 s[70:71], s[30:31]
	s_cbranch_execz .LBB2_2844
; %bb.2837:                             ;   in Loop: Header=BB2_2163 Depth=4
	v_cmp_ne_u16_sdwa vcc, v12, s97 src0_sel:BYTE_0 src1_sel:DWORD
	v_bfrev_b32_e32 v9, 1
	s_and_saveexec_b64 s[72:73], vcc
	s_cbranch_execz .LBB2_2843
; %bb.2838:                             ;   in Loop: Header=BB2_2163 Depth=4
	v_and_b32_e32 v9, 0x7c0000, v29
	v_bfe_u32 v15, v29, 16, 2
	v_cmp_ne_u32_e32 vcc, s36, v9
                                        ; implicit-def: $vgpr9
	s_and_saveexec_b64 s[74:75], vcc
	s_xor_b64 s[74:75], exec, s[74:75]
	s_cbranch_execz .LBB2_2840
; %bb.2839:                             ;   in Loop: Header=BB2_2163 Depth=4
	v_ffbh_u32_e32 v24, v15
	v_min_u32_e32 v50, 32, v24
	v_subrev_u32_e32 v24, 29, v50
	v_bfe_u32 v9, v29, 18, 5
	v_lshlrev_b64 v[24:25], v24, v[12:13]
	v_sub_u32_e32 v25, 30, v50
	v_cmp_eq_u32_e32 vcc, 0, v9
	v_and_b32_e32 v24, 3, v24
	v_cndmask_b32_e32 v9, v9, v25, vcc
	v_bfrev_b32_e32 v25, 28
	v_cndmask_b32_e32 v15, v15, v24, vcc
	v_lshlrev_b32_e32 v24, 24, v12
	v_lshl_add_u32 v9, v9, 23, v25
	v_and_or_b32 v9, v24, s96, v9
	v_lshl_or_b32 v9, v15, 21, v9
                                        ; implicit-def: $vgpr15
.LBB2_2840:                             ;   in Loop: Header=BB2_2163 Depth=4
	s_andn2_saveexec_b64 s[74:75], s[74:75]
; %bb.2841:                             ;   in Loop: Header=BB2_2163 Depth=4
	v_mov_b32_e32 v9, -1
	v_cmp_gt_i16_sdwa vcc, sext(v12), v9 src0_sel:BYTE_0 src1_sel:DWORD
	v_mov_b32_e32 v9, 0xc7600000
	v_mov_b32_e32 v24, 0x47600000
	v_cndmask_b32_e32 v9, v9, v24, vcc
	v_cmp_eq_u32_e32 vcc, 0, v15
	v_mov_b32_e32 v15, 0x7f800001
	v_cndmask_b32_e32 v9, v15, v9, vcc
; %bb.2842:                             ;   in Loop: Header=BB2_2163 Depth=4
	s_or_b64 exec, exec, s[74:75]
.LBB2_2843:                             ;   in Loop: Header=BB2_2163 Depth=4
	s_or_b64 exec, exec, s[72:73]
.LBB2_2844:                             ;   in Loop: Header=BB2_2163 Depth=4
	s_or_b64 exec, exec, s[70:71]
	v_cmp_ne_u16_sdwa vcc, v8, v51 src0_sel:BYTE_0 src1_sel:DWORD
	s_and_saveexec_b64 s[70:71], vcc
	s_cbranch_execz .LBB2_2852
; %bb.2845:                             ;   in Loop: Header=BB2_2163 Depth=4
	v_cmp_ne_u16_sdwa vcc, v8, s97 src0_sel:BYTE_0 src1_sel:DWORD
	v_bfrev_b32_e32 v14, 1
	s_and_saveexec_b64 s[72:73], vcc
	s_cbranch_execz .LBB2_2851
; %bb.2846:                             ;   in Loop: Header=BB2_2163 Depth=4
	v_and_b32_e32 v14, 0x7c0000, v11
	v_bfe_u32 v15, v11, 16, 2
	v_cmp_ne_u32_e32 vcc, s36, v14
                                        ; implicit-def: $vgpr14
	s_and_saveexec_b64 s[74:75], vcc
	s_xor_b64 s[74:75], exec, s[74:75]
	s_cbranch_execz .LBB2_2848
; %bb.2847:                             ;   in Loop: Header=BB2_2163 Depth=4
	v_ffbh_u32_e32 v24, v15
	v_min_u32_e32 v50, 32, v24
	v_subrev_u32_e32 v24, 29, v50
	v_bfe_u32 v14, v11, 18, 5
	v_lshlrev_b64 v[24:25], v24, v[8:9]
	v_sub_u32_e32 v25, 30, v50
	v_cmp_eq_u32_e32 vcc, 0, v14
	v_and_b32_e32 v24, 3, v24
	v_cndmask_b32_e32 v14, v14, v25, vcc
	v_bfrev_b32_e32 v25, 28
	v_cndmask_b32_e32 v15, v15, v24, vcc
	v_lshlrev_b32_e32 v24, 24, v8
	v_lshl_add_u32 v14, v14, 23, v25
	v_and_or_b32 v14, v24, s96, v14
	v_lshl_or_b32 v14, v15, 21, v14
                                        ; implicit-def: $vgpr15
.LBB2_2848:                             ;   in Loop: Header=BB2_2163 Depth=4
	s_andn2_saveexec_b64 s[74:75], s[74:75]
; %bb.2849:                             ;   in Loop: Header=BB2_2163 Depth=4
	v_mov_b32_e32 v14, -1
	v_cmp_gt_i16_sdwa vcc, sext(v8), v14 src0_sel:BYTE_0 src1_sel:DWORD
	v_mov_b32_e32 v14, 0xc7600000
	v_mov_b32_e32 v24, 0x47600000
	v_cndmask_b32_e32 v14, v14, v24, vcc
	v_cmp_eq_u32_e32 vcc, 0, v15
	v_mov_b32_e32 v15, 0x7f800001
	v_cndmask_b32_e32 v14, v15, v14, vcc
; %bb.2850:                             ;   in Loop: Header=BB2_2163 Depth=4
	s_or_b64 exec, exec, s[74:75]
.LBB2_2851:                             ;   in Loop: Header=BB2_2163 Depth=4
	s_or_b64 exec, exec, s[72:73]
.LBB2_2852:                             ;   in Loop: Header=BB2_2163 Depth=4
	s_or_b64 exec, exec, s[70:71]
	v_max_f32_e32 v14, v14, v14
	v_max_f32_e32 v9, v9, v9
	;; [unrolled: 1-line block ×3, first 2 shown]
	s_branch .LBB2_2871
.LBB2_2853:                             ;   in Loop: Header=BB2_2163 Depth=4
                                        ; implicit-def: $vgpr9
	s_cbranch_execz .LBB2_2871
; %bb.2854:                             ;   in Loop: Header=BB2_2163 Depth=4
	v_mov_b32_e32 v14, 0
	v_mov_b32_e32 v9, 0
	s_and_saveexec_b64 s[70:71], s[30:31]
	s_cbranch_execz .LBB2_2862
; %bb.2855:                             ;   in Loop: Header=BB2_2163 Depth=4
	v_cmp_ne_u16_sdwa vcc, v12, s97 src0_sel:BYTE_0 src1_sel:DWORD
	v_bfrev_b32_e32 v9, 1
	s_and_saveexec_b64 s[30:31], vcc
	s_cbranch_execz .LBB2_2861
; %bb.2856:                             ;   in Loop: Header=BB2_2163 Depth=4
	v_and_b32_e32 v9, 0x7c0000, v29
	v_bfe_u32 v15, v29, 16, 2
	v_cmp_ne_u32_e32 vcc, s36, v9
                                        ; implicit-def: $vgpr9
	s_and_saveexec_b64 s[72:73], vcc
	s_xor_b64 s[72:73], exec, s[72:73]
	s_cbranch_execz .LBB2_2858
; %bb.2857:                             ;   in Loop: Header=BB2_2163 Depth=4
	v_ffbh_u32_e32 v24, v15
	v_min_u32_e32 v50, 32, v24
	v_subrev_u32_e32 v24, 29, v50
	v_bfe_u32 v9, v29, 18, 5
	v_lshlrev_b64 v[24:25], v24, v[12:13]
	v_sub_u32_e32 v25, 30, v50
	v_and_b32_e32 v24, 3, v24
	v_cmp_eq_u32_e32 vcc, 0, v9
	v_cndmask_b32_e32 v9, v9, v25, vcc
	v_cndmask_b32_e32 v15, v15, v24, vcc
	v_bfrev_b32_e32 v24, 28
	v_lshlrev_b32_e32 v12, 24, v12
	v_lshl_add_u32 v9, v9, 23, v24
	v_and_or_b32 v9, v12, s96, v9
	v_lshl_or_b32 v9, v15, 21, v9
                                        ; implicit-def: $vgpr15
                                        ; implicit-def: $vgpr12
.LBB2_2858:                             ;   in Loop: Header=BB2_2163 Depth=4
	s_andn2_saveexec_b64 s[72:73], s[72:73]
; %bb.2859:                             ;   in Loop: Header=BB2_2163 Depth=4
	v_mov_b32_e32 v9, -1
	v_cmp_gt_i16_sdwa vcc, sext(v12), v9 src0_sel:BYTE_0 src1_sel:DWORD
	v_mov_b32_e32 v9, 0xc7600000
	v_mov_b32_e32 v12, 0x47600000
	v_cndmask_b32_e32 v9, v9, v12, vcc
	v_cmp_eq_u32_e32 vcc, 0, v15
	v_mov_b32_e32 v12, 0x7f800001
	v_cndmask_b32_e32 v9, v12, v9, vcc
; %bb.2860:                             ;   in Loop: Header=BB2_2163 Depth=4
	s_or_b64 exec, exec, s[72:73]
.LBB2_2861:                             ;   in Loop: Header=BB2_2163 Depth=4
	s_or_b64 exec, exec, s[30:31]
.LBB2_2862:                             ;   in Loop: Header=BB2_2163 Depth=4
	s_or_b64 exec, exec, s[70:71]
	v_cmp_ne_u16_sdwa vcc, v8, v51 src0_sel:BYTE_0 src1_sel:DWORD
	s_and_saveexec_b64 s[30:31], vcc
	s_cbranch_execz .LBB2_2870
; %bb.2863:                             ;   in Loop: Header=BB2_2163 Depth=4
	v_cmp_ne_u16_sdwa vcc, v8, s97 src0_sel:BYTE_0 src1_sel:DWORD
	v_bfrev_b32_e32 v14, 1
	s_and_saveexec_b64 s[70:71], vcc
	s_cbranch_execz .LBB2_2869
; %bb.2864:                             ;   in Loop: Header=BB2_2163 Depth=4
	v_and_b32_e32 v14, 0x7c0000, v11
	v_bfe_u32 v12, v11, 16, 2
	v_cmp_ne_u32_e32 vcc, s36, v14
                                        ; implicit-def: $vgpr14
	s_and_saveexec_b64 s[72:73], vcc
	s_xor_b64 s[72:73], exec, s[72:73]
	s_cbranch_execz .LBB2_2866
; %bb.2865:                             ;   in Loop: Header=BB2_2163 Depth=4
	v_ffbh_u32_e32 v14, v12
	v_min_u32_e32 v25, 32, v14
	v_subrev_u32_e32 v14, 29, v25
	v_bfe_u32 v24, v11, 18, 5
	v_lshlrev_b64 v[14:15], v14, v[8:9]
	v_sub_u32_e32 v15, 30, v25
	v_and_b32_e32 v14, 3, v14
	v_cmp_eq_u32_e32 vcc, 0, v24
	v_cndmask_b32_e32 v15, v24, v15, vcc
	v_cndmask_b32_e32 v12, v12, v14, vcc
	v_bfrev_b32_e32 v14, 28
	v_lshlrev_b32_e32 v8, 24, v8
	v_lshl_add_u32 v14, v15, 23, v14
	v_and_or_b32 v8, v8, s96, v14
	v_lshl_or_b32 v14, v12, 21, v8
                                        ; implicit-def: $vgpr12
                                        ; implicit-def: $vgpr8
.LBB2_2866:                             ;   in Loop: Header=BB2_2163 Depth=4
	s_andn2_saveexec_b64 s[72:73], s[72:73]
; %bb.2867:                             ;   in Loop: Header=BB2_2163 Depth=4
	v_mov_b32_e32 v14, -1
	v_cmp_gt_i16_sdwa vcc, sext(v8), v14 src0_sel:BYTE_0 src1_sel:DWORD
	v_mov_b32_e32 v8, 0xc7600000
	v_mov_b32_e32 v14, 0x47600000
	v_cndmask_b32_e32 v8, v8, v14, vcc
	v_cmp_eq_u32_e32 vcc, 0, v12
	v_mov_b32_e32 v12, 0x7f800001
	v_cndmask_b32_e32 v14, v12, v8, vcc
; %bb.2868:                             ;   in Loop: Header=BB2_2163 Depth=4
	s_or_b64 exec, exec, s[72:73]
.LBB2_2869:                             ;   in Loop: Header=BB2_2163 Depth=4
	s_or_b64 exec, exec, s[70:71]
.LBB2_2870:                             ;   in Loop: Header=BB2_2163 Depth=4
	s_or_b64 exec, exec, s[30:31]
	v_max_f32_e32 v8, v14, v14
	v_max_f32_e32 v9, v9, v9
	v_min_f32_e32 v9, v9, v8
.LBB2_2871:                             ;   in Loop: Header=BB2_2163 Depth=4
	v_and_b32_sdwa v12, v9, s97 dst_sel:DWORD dst_unused:UNUSED_PAD src0_sel:BYTE_3 src1_sel:DWORD
	v_and_b32_e32 v24, 0x7f800000, v9
	v_mov_b32_e32 v25, v51
	v_and_b32_e32 v50, 0x7fffff, v9
	v_or_b32_e32 v14, 0x7b, v12
	v_cmp_ne_u64_e32 vcc, s[52:53], v[24:25]
	s_and_saveexec_b64 s[30:31], vcc
	s_xor_b64 s[70:71], exec, s[30:31]
	s_cbranch_execz .LBB2_2881
; %bb.2872:                             ;   in Loop: Header=BB2_2163 Depth=4
	v_and_b32_e32 v24, 0x7fffffff, v9
	v_mov_b32_e32 v25, v51
	v_cmp_gt_u64_e32 vcc, s[54:55], v[24:25]
	s_and_saveexec_b64 s[72:73], vcc
	s_cbranch_execz .LBB2_2880
; %bb.2873:                             ;   in Loop: Header=BB2_2163 Depth=4
	v_cmp_ne_u32_e32 vcc, 0, v9
	v_mov_b32_e32 v14, 0
	s_and_saveexec_b64 s[74:75], vcc
	s_cbranch_execz .LBB2_2879
; %bb.2874:                             ;   in Loop: Header=BB2_2163 Depth=4
	v_bfe_u32 v8, v9, 23, 8
	v_sub_u32_e32 v14, 0x71, v8
	v_cmp_gt_u32_e32 vcc, s38, v8
	v_add_u32_e32 v9, 0xffffff81, v8
	v_cndmask_b32_e32 v14, 0, v14, vcc
	v_cmp_eq_u32_e32 vcc, 0, v8
	v_mov_b32_e32 v8, 0xffffff82
	v_cndmask_b32_e32 v24, v9, v8, vcc
	v_mov_b32_e32 v8, 0x70
	v_or_b32_e32 v15, 0x800000, v50
	v_cndmask_b32_e32 v14, v14, v8, vcc
	v_cndmask_b32_e32 v50, v15, v50, vcc
	v_add_u32_e32 v8, 21, v14
	v_lshlrev_b64 v[8:9], v8, -1
	v_add_u32_e32 v15, 20, v14
	v_lshrrev_b64 v[42:43], v14, v[50:51]
	v_not_b32_e32 v9, v9
	v_not_b32_e32 v8, v8
	v_lshlrev_b64 v[54:55], v15, 1
	v_lshrrev_b32_e32 v15, 23, v42
	v_and_b32_e32 v9, 0, v9
	v_and_b32_e32 v8, v50, v8
	v_add3_u32 v24, v14, v24, v15
	v_bfe_u32 v14, v42, 21, 1
	v_add_u32_e32 v14, -1, v14
	v_cmp_eq_u64_e32 vcc, v[8:9], v[54:55]
	v_cndmask_b32_e32 v8, 0, v14, vcc
	v_add_u32_e32 v8, v8, v42
	v_and_b32_e32 v8, 0x1fffff, v8
	v_add_co_u32_e32 v8, vcc, v8, v42
	v_add_u32_e32 v15, 14, v24
	v_addc_co_u32_e32 v9, vcc, 0, v43, vcc
	v_cmp_ne_u32_e32 vcc, 0, v15
                                        ; implicit-def: $vgpr14
	s_and_saveexec_b64 s[30:31], vcc
	s_xor_b64 s[30:31], exec, s[30:31]
; %bb.2875:                             ;   in Loop: Header=BB2_2163 Depth=4
	v_add_u32_e32 v14, 15, v24
	v_cmp_lt_u64_e32 vcc, s[56:57], v[8:9]
	v_cndmask_b32_e32 v14, v15, v14, vcc
	v_cndmask_b32_e64 v15, 0, 1, vcc
	v_lshrrev_b64 v[8:9], v15, v[8:9]
; %bb.2876:                             ;   in Loop: Header=BB2_2163 Depth=4
	s_andn2_saveexec_b64 vcc, s[30:31]
; %bb.2877:                             ;   in Loop: Header=BB2_2163 Depth=4
	v_bfe_u32 v14, v8, 23, 1
; %bb.2878:                             ;   in Loop: Header=BB2_2163 Depth=4
	s_or_b64 exec, exec, vcc
	v_lshrrev_b64 v[8:9], 21, v[8:9]
	v_cmp_gt_i32_e32 vcc, 32, v14
	v_cndmask_b32_e32 v9, 0, v9, vcc
	v_cndmask_b32_e32 v8, 3, v8, vcc
	v_cmp_eq_u64_e64 s[30:31], 0, v[8:9]
	v_min_i32_e32 v9, 31, v14
	v_cmp_eq_u32_e32 vcc, 0, v14
	v_lshlrev_b32_e32 v9, 2, v9
	v_and_or_b32 v8, v8, 3, v9
	s_and_b64 vcc, vcc, s[30:31]
	v_cndmask_b32_e64 v8, v8, 0, vcc
	v_accvgpr_read_b32 v43, a7
	v_or_b32_e32 v14, v8, v12
	v_accvgpr_read_b32 v42, a6
.LBB2_2879:                             ;   in Loop: Header=BB2_2163 Depth=4
	s_or_b64 exec, exec, s[74:75]
.LBB2_2880:                             ;   in Loop: Header=BB2_2163 Depth=4
	s_or_b64 exec, exec, s[72:73]
                                        ; implicit-def: $vgpr9
.LBB2_2881:                             ;   in Loop: Header=BB2_2163 Depth=4
	s_andn2_saveexec_b64 s[30:31], s[70:71]
; %bb.2882:                             ;   in Loop: Header=BB2_2163 Depth=4
	v_or_b32_sdwa v8, v9, s39 dst_sel:DWORD dst_unused:UNUSED_PAD src0_sel:BYTE_3 src1_sel:DWORD
	v_cmp_eq_u64_e32 vcc, 0, v[50:51]
	v_cndmask_b32_e32 v14, v8, v14, vcc
; %bb.2883:                             ;   in Loop: Header=BB2_2163 Depth=4
	s_or_b64 exec, exec, s[30:31]
	v_lshrrev_b32_e32 v12, 24, v29
	v_lshrrev_b32_e32 v8, 24, v11
	v_cmp_lt_u64_e64 s[30:31], s[42:43], v[28:29]
	s_and_b64 vcc, exec, s[68:69]
	s_cbranch_vccz .LBB2_2901
; %bb.2884:                             ;   in Loop: Header=BB2_2163 Depth=4
	v_mov_b32_e32 v15, 0
	v_mov_b32_e32 v9, 0
	s_and_saveexec_b64 s[70:71], s[30:31]
	s_cbranch_execz .LBB2_2892
; %bb.2885:                             ;   in Loop: Header=BB2_2163 Depth=4
	v_cmp_ne_u32_e32 vcc, s97, v12
	v_bfrev_b32_e32 v9, 1
	s_and_saveexec_b64 s[72:73], vcc
	s_cbranch_execz .LBB2_2891
; %bb.2886:                             ;   in Loop: Header=BB2_2163 Depth=4
	v_and_b32_e32 v9, 0x7c000000, v29
	v_bfe_u32 v24, v29, 24, 2
	v_cmp_ne_u32_e32 vcc, s37, v9
                                        ; implicit-def: $vgpr9
	s_and_saveexec_b64 s[74:75], vcc
	s_xor_b64 s[74:75], exec, s[74:75]
	s_cbranch_execz .LBB2_2888
; %bb.2887:                             ;   in Loop: Header=BB2_2163 Depth=4
	v_ffbh_u32_e32 v25, v24
	v_bfe_u32 v9, v29, 26, 5
	v_min_u32_e32 v25, 32, v25
	v_subrev_u32_e32 v50, 29, v25
	v_sub_u32_e32 v25, 30, v25
	v_cmp_eq_u32_e32 vcc, 0, v9
	v_lshlrev_b64 v[54:55], v50, v[12:13]
	v_cndmask_b32_e32 v9, v9, v25, vcc
	v_bfrev_b32_e32 v25, 28
	v_and_b32_e32 v50, 3, v54
	v_lshl_add_u32 v9, v9, 23, v25
	v_cndmask_b32_e32 v24, v24, v50, vcc
	v_and_or_b32 v9, v29, s96, v9
	v_lshl_or_b32 v9, v24, 21, v9
                                        ; implicit-def: $vgpr24
.LBB2_2888:                             ;   in Loop: Header=BB2_2163 Depth=4
	s_andn2_saveexec_b64 s[74:75], s[74:75]
; %bb.2889:                             ;   in Loop: Header=BB2_2163 Depth=4
	v_cmp_lt_i64_e32 vcc, -1, v[28:29]
	v_mov_b32_e32 v9, 0xc7600000
	v_mov_b32_e32 v25, 0x47600000
	v_cndmask_b32_e32 v9, v9, v25, vcc
	v_cmp_eq_u32_e32 vcc, 0, v24
	v_mov_b32_e32 v24, 0x7f800001
	v_cndmask_b32_e32 v9, v24, v9, vcc
; %bb.2890:                             ;   in Loop: Header=BB2_2163 Depth=4
	s_or_b64 exec, exec, s[74:75]
.LBB2_2891:                             ;   in Loop: Header=BB2_2163 Depth=4
	s_or_b64 exec, exec, s[72:73]
.LBB2_2892:                             ;   in Loop: Header=BB2_2163 Depth=4
	s_or_b64 exec, exec, s[70:71]
	v_cmp_lt_u64_e32 vcc, s[42:43], v[10:11]
	s_and_saveexec_b64 s[70:71], vcc
	s_cbranch_execz .LBB2_2900
; %bb.2893:                             ;   in Loop: Header=BB2_2163 Depth=4
	v_cmp_ne_u32_e32 vcc, s97, v8
	v_bfrev_b32_e32 v15, 1
	s_and_saveexec_b64 s[72:73], vcc
	s_cbranch_execz .LBB2_2899
; %bb.2894:                             ;   in Loop: Header=BB2_2163 Depth=4
	v_and_b32_e32 v15, 0x7c000000, v11
	v_bfe_u32 v24, v11, 24, 2
	v_cmp_ne_u32_e32 vcc, s37, v15
                                        ; implicit-def: $vgpr15
	s_and_saveexec_b64 s[74:75], vcc
	s_xor_b64 s[74:75], exec, s[74:75]
	s_cbranch_execz .LBB2_2896
; %bb.2895:                             ;   in Loop: Header=BB2_2163 Depth=4
	v_ffbh_u32_e32 v25, v24
	v_bfe_u32 v15, v11, 26, 5
	v_min_u32_e32 v25, 32, v25
	v_subrev_u32_e32 v50, 29, v25
	v_sub_u32_e32 v25, 30, v25
	v_cmp_eq_u32_e32 vcc, 0, v15
	v_lshlrev_b64 v[54:55], v50, v[8:9]
	v_cndmask_b32_e32 v15, v15, v25, vcc
	v_bfrev_b32_e32 v25, 28
	v_and_b32_e32 v50, 3, v54
	v_lshl_add_u32 v15, v15, 23, v25
	v_cndmask_b32_e32 v24, v24, v50, vcc
	v_and_or_b32 v15, v11, s96, v15
	v_lshl_or_b32 v15, v24, 21, v15
                                        ; implicit-def: $vgpr24
.LBB2_2896:                             ;   in Loop: Header=BB2_2163 Depth=4
	s_andn2_saveexec_b64 s[74:75], s[74:75]
; %bb.2897:                             ;   in Loop: Header=BB2_2163 Depth=4
	v_cmp_lt_i64_e32 vcc, -1, v[10:11]
	v_mov_b32_e32 v15, 0xc7600000
	v_mov_b32_e32 v25, 0x47600000
	v_cndmask_b32_e32 v15, v15, v25, vcc
	v_cmp_eq_u32_e32 vcc, 0, v24
	v_mov_b32_e32 v24, 0x7f800001
	v_cndmask_b32_e32 v15, v24, v15, vcc
; %bb.2898:                             ;   in Loop: Header=BB2_2163 Depth=4
	s_or_b64 exec, exec, s[74:75]
.LBB2_2899:                             ;   in Loop: Header=BB2_2163 Depth=4
	s_or_b64 exec, exec, s[72:73]
.LBB2_2900:                             ;   in Loop: Header=BB2_2163 Depth=4
	s_or_b64 exec, exec, s[70:71]
	v_max_f32_e32 v15, v15, v15
	v_max_f32_e32 v9, v9, v9
	;; [unrolled: 1-line block ×3, first 2 shown]
	s_branch .LBB2_2919
.LBB2_2901:                             ;   in Loop: Header=BB2_2163 Depth=4
                                        ; implicit-def: $vgpr9
	s_cbranch_execz .LBB2_2919
; %bb.2902:                             ;   in Loop: Header=BB2_2163 Depth=4
	v_mov_b32_e32 v15, 0
	v_mov_b32_e32 v9, 0
	s_and_saveexec_b64 s[70:71], s[30:31]
	s_cbranch_execz .LBB2_2910
; %bb.2903:                             ;   in Loop: Header=BB2_2163 Depth=4
	v_cmp_ne_u32_e32 vcc, s97, v12
	v_bfrev_b32_e32 v9, 1
	s_and_saveexec_b64 s[30:31], vcc
	s_cbranch_execz .LBB2_2909
; %bb.2904:                             ;   in Loop: Header=BB2_2163 Depth=4
	v_and_b32_e32 v9, 0x7c000000, v29
	v_bfe_u32 v24, v29, 24, 2
	v_cmp_ne_u32_e32 vcc, s37, v9
                                        ; implicit-def: $vgpr9
	s_and_saveexec_b64 s[72:73], vcc
	s_xor_b64 s[72:73], exec, s[72:73]
	s_cbranch_execz .LBB2_2906
; %bb.2905:                             ;   in Loop: Header=BB2_2163 Depth=4
	v_ffbh_u32_e32 v25, v24
	v_min_u32_e32 v25, 32, v25
	v_subrev_u32_e32 v28, 29, v25
	v_bfe_u32 v9, v29, 26, 5
	v_lshlrev_b64 v[54:55], v28, v[12:13]
	v_sub_u32_e32 v12, 30, v25
	v_and_b32_e32 v25, 3, v54
	v_cmp_eq_u32_e32 vcc, 0, v9
	v_cndmask_b32_e32 v9, v9, v12, vcc
	v_cndmask_b32_e32 v12, v24, v25, vcc
	v_bfrev_b32_e32 v24, 28
	v_lshl_add_u32 v9, v9, 23, v24
	v_and_or_b32 v9, v29, s96, v9
	v_lshl_or_b32 v9, v12, 21, v9
                                        ; implicit-def: $vgpr24
                                        ; implicit-def: $vgpr28_vgpr29
.LBB2_2906:                             ;   in Loop: Header=BB2_2163 Depth=4
	s_andn2_saveexec_b64 s[72:73], s[72:73]
; %bb.2907:                             ;   in Loop: Header=BB2_2163 Depth=4
	v_cmp_lt_i64_e32 vcc, -1, v[28:29]
	v_mov_b32_e32 v9, 0xc7600000
	v_mov_b32_e32 v12, 0x47600000
	v_cndmask_b32_e32 v9, v9, v12, vcc
	v_cmp_eq_u32_e32 vcc, 0, v24
	v_mov_b32_e32 v12, 0x7f800001
	v_cndmask_b32_e32 v9, v12, v9, vcc
; %bb.2908:                             ;   in Loop: Header=BB2_2163 Depth=4
	s_or_b64 exec, exec, s[72:73]
.LBB2_2909:                             ;   in Loop: Header=BB2_2163 Depth=4
	s_or_b64 exec, exec, s[30:31]
.LBB2_2910:                             ;   in Loop: Header=BB2_2163 Depth=4
	s_or_b64 exec, exec, s[70:71]
	v_cmp_lt_u64_e32 vcc, s[42:43], v[10:11]
	s_and_saveexec_b64 s[30:31], vcc
	s_cbranch_execz .LBB2_2918
; %bb.2911:                             ;   in Loop: Header=BB2_2163 Depth=4
	v_cmp_ne_u32_e32 vcc, s97, v8
	v_bfrev_b32_e32 v15, 1
	s_and_saveexec_b64 s[70:71], vcc
	s_cbranch_execz .LBB2_2917
; %bb.2912:                             ;   in Loop: Header=BB2_2163 Depth=4
	v_and_b32_e32 v15, 0x7c000000, v11
	v_bfe_u32 v12, v11, 24, 2
	v_cmp_ne_u32_e32 vcc, s37, v15
                                        ; implicit-def: $vgpr15
	s_and_saveexec_b64 s[72:73], vcc
	s_xor_b64 s[72:73], exec, s[72:73]
	s_cbranch_execz .LBB2_2914
; %bb.2913:                             ;   in Loop: Header=BB2_2163 Depth=4
	v_ffbh_u32_e32 v15, v12
	v_min_u32_e32 v15, 32, v15
	v_subrev_u32_e32 v24, 29, v15
	v_bfe_u32 v10, v11, 26, 5
	v_lshlrev_b64 v[24:25], v24, v[8:9]
	v_sub_u32_e32 v8, 30, v15
	v_and_b32_e32 v15, 3, v24
	v_cmp_eq_u32_e32 vcc, 0, v10
	v_cndmask_b32_e32 v8, v10, v8, vcc
	v_cndmask_b32_e32 v10, v12, v15, vcc
	v_bfrev_b32_e32 v12, 28
	v_lshl_add_u32 v8, v8, 23, v12
	v_and_or_b32 v8, v11, s96, v8
	v_lshl_or_b32 v15, v10, 21, v8
                                        ; implicit-def: $vgpr12
                                        ; implicit-def: $vgpr10_vgpr11
.LBB2_2914:                             ;   in Loop: Header=BB2_2163 Depth=4
	s_andn2_saveexec_b64 s[72:73], s[72:73]
; %bb.2915:                             ;   in Loop: Header=BB2_2163 Depth=4
	v_cmp_lt_i64_e32 vcc, -1, v[10:11]
	v_mov_b32_e32 v8, 0xc7600000
	v_mov_b32_e32 v10, 0x47600000
	v_cndmask_b32_e32 v8, v8, v10, vcc
	v_cmp_eq_u32_e32 vcc, 0, v12
	v_mov_b32_e32 v10, 0x7f800001
	v_cndmask_b32_e32 v15, v10, v8, vcc
; %bb.2916:                             ;   in Loop: Header=BB2_2163 Depth=4
	s_or_b64 exec, exec, s[72:73]
.LBB2_2917:                             ;   in Loop: Header=BB2_2163 Depth=4
	s_or_b64 exec, exec, s[70:71]
.LBB2_2918:                             ;   in Loop: Header=BB2_2163 Depth=4
	s_or_b64 exec, exec, s[30:31]
	v_max_f32_e32 v8, v15, v15
	v_max_f32_e32 v9, v9, v9
	v_min_f32_e32 v9, v9, v8
.LBB2_2919:                             ;   in Loop: Header=BB2_2163 Depth=4
	v_and_b32_sdwa v10, v9, s97 dst_sel:DWORD dst_unused:UNUSED_PAD src0_sel:BYTE_3 src1_sel:DWORD
	v_and_b32_e32 v24, 0x7f800000, v9
	v_mov_b32_e32 v25, v51
	v_and_b32_e32 v50, 0x7fffff, v9
	v_or_b32_e32 v8, 0x7b, v10
	v_cmp_ne_u64_e32 vcc, s[52:53], v[24:25]
	s_and_saveexec_b64 s[30:31], vcc
	s_xor_b64 s[70:71], exec, s[30:31]
	s_cbranch_execz .LBB2_2929
; %bb.2920:                             ;   in Loop: Header=BB2_2163 Depth=4
	v_and_b32_e32 v24, 0x7fffffff, v9
	v_mov_b32_e32 v25, v51
	v_cmp_gt_u64_e32 vcc, s[54:55], v[24:25]
	s_and_saveexec_b64 s[72:73], vcc
	s_cbranch_execz .LBB2_2928
; %bb.2921:                             ;   in Loop: Header=BB2_2163 Depth=4
	v_cmp_ne_u32_e32 vcc, 0, v9
	v_mov_b32_e32 v8, 0
	s_and_saveexec_b64 s[74:75], vcc
	s_cbranch_execz .LBB2_2927
; %bb.2922:                             ;   in Loop: Header=BB2_2163 Depth=4
	v_bfe_u32 v8, v9, 23, 8
	v_sub_u32_e32 v11, 0x71, v8
	v_cmp_gt_u32_e32 vcc, s38, v8
	v_add_u32_e32 v9, 0xffffff81, v8
	v_cndmask_b32_e32 v11, 0, v11, vcc
	v_cmp_eq_u32_e32 vcc, 0, v8
	v_mov_b32_e32 v8, 0xffffff82
	v_cndmask_b32_e32 v15, v9, v8, vcc
	v_mov_b32_e32 v8, 0x70
	v_or_b32_e32 v12, 0x800000, v50
	v_cndmask_b32_e32 v11, v11, v8, vcc
	v_cndmask_b32_e32 v50, v12, v50, vcc
	v_add_u32_e32 v8, 21, v11
	v_lshlrev_b64 v[8:9], v8, -1
	v_add_u32_e32 v12, 20, v11
	v_lshrrev_b64 v[28:29], v11, v[50:51]
	v_not_b32_e32 v9, v9
	v_not_b32_e32 v8, v8
	v_lshlrev_b64 v[24:25], v12, 1
	v_lshrrev_b32_e32 v12, 23, v28
	v_and_b32_e32 v9, 0, v9
	v_and_b32_e32 v8, v50, v8
	v_add3_u32 v15, v11, v15, v12
	v_bfe_u32 v11, v28, 21, 1
	v_add_u32_e32 v11, -1, v11
	v_cmp_eq_u64_e32 vcc, v[8:9], v[24:25]
	v_cndmask_b32_e32 v8, 0, v11, vcc
	v_add_u32_e32 v8, v8, v28
	v_and_b32_e32 v8, 0x1fffff, v8
	v_add_co_u32_e32 v8, vcc, v8, v28
	v_add_u32_e32 v12, 14, v15
	v_addc_co_u32_e32 v9, vcc, 0, v29, vcc
	v_cmp_ne_u32_e32 vcc, 0, v12
                                        ; implicit-def: $vgpr11
	s_and_saveexec_b64 s[30:31], vcc
	s_xor_b64 s[30:31], exec, s[30:31]
; %bb.2923:                             ;   in Loop: Header=BB2_2163 Depth=4
	v_add_u32_e32 v11, 15, v15
	v_cmp_lt_u64_e32 vcc, s[56:57], v[8:9]
	v_cndmask_b32_e32 v11, v12, v11, vcc
	v_cndmask_b32_e64 v12, 0, 1, vcc
	v_lshrrev_b64 v[8:9], v12, v[8:9]
; %bb.2924:                             ;   in Loop: Header=BB2_2163 Depth=4
	s_andn2_saveexec_b64 vcc, s[30:31]
; %bb.2925:                             ;   in Loop: Header=BB2_2163 Depth=4
	v_bfe_u32 v11, v8, 23, 1
; %bb.2926:                             ;   in Loop: Header=BB2_2163 Depth=4
	s_or_b64 exec, exec, vcc
	v_lshrrev_b64 v[8:9], 21, v[8:9]
	v_cmp_gt_i32_e32 vcc, 32, v11
	v_cndmask_b32_e32 v9, 0, v9, vcc
	v_cndmask_b32_e32 v8, 3, v8, vcc
	v_cmp_eq_u64_e64 s[30:31], 0, v[8:9]
	v_min_i32_e32 v9, 31, v11
	v_lshlrev_b32_e32 v9, 2, v9
	v_cmp_eq_u32_e32 vcc, 0, v11
	v_and_b32_e32 v9, 0xfc, v9
	v_and_or_b32 v8, v8, 3, v9
	s_and_b64 vcc, vcc, s[30:31]
	v_cndmask_b32_e64 v8, v8, 0, vcc
	v_or_b32_e32 v8, v8, v10
.LBB2_2927:                             ;   in Loop: Header=BB2_2163 Depth=4
	s_or_b64 exec, exec, s[74:75]
.LBB2_2928:                             ;   in Loop: Header=BB2_2163 Depth=4
	s_or_b64 exec, exec, s[72:73]
                                        ; implicit-def: $vgpr9
.LBB2_2929:                             ;   in Loop: Header=BB2_2163 Depth=4
	s_andn2_saveexec_b64 s[30:31], s[70:71]
	s_cbranch_execz .LBB2_2162
; %bb.2930:                             ;   in Loop: Header=BB2_2163 Depth=4
	v_or_b32_sdwa v9, v9, s39 dst_sel:DWORD dst_unused:UNUSED_PAD src0_sel:BYTE_3 src1_sel:DWORD
	v_cmp_eq_u64_e32 vcc, 0, v[50:51]
	v_cndmask_b32_e32 v8, v9, v8, vcc
	s_branch .LBB2_2162
.LBB2_2931:                             ;   in Loop: Header=BB2_274 Depth=3
	s_or_b64 exec, exec, s[66:67]
.LBB2_2932:                             ;   in Loop: Header=BB2_274 Depth=3
	s_or_b64 exec, exec, s[64:65]
	v_and_b32_e32 v4, 15, v56
	v_cndmask_b32_e64 v30, v23, v4, s[28:29]
	v_cmp_ne_u32_e32 vcc, 0, v30
	s_mov_b64 s[30:31], 0
	v_mov_b32_e32 v7, 0
                                        ; implicit-def: $vgpr31
                                        ; implicit-def: $vgpr0
	s_and_saveexec_b64 s[64:65], vcc
	s_cbranch_execz .LBB2_2934
; %bb.2933:                             ;   in Loop: Header=BB2_274 Depth=3
	v_sub_u32_e32 v0, v23, v4
	v_cndmask_b32_e64 v0, 0, v0, s[28:29]
	v_cmp_lt_i32_e32 vcc, 0, v22
	v_add3_u32 v7, v6, v1, v0
	v_cndmask_b32_e32 v0, 0, v44, vcc
	v_sub_u32_e32 v0, v0, v22
	v_lshl_add_u32 v31, v0, 6, v3
	v_ashrrev_i32_e32 v0, 31, v31
	v_lshrrev_b32_e32 v0, 26, v0
	v_add_u32_e32 v0, v31, v0
	s_mov_b64 s[30:31], exec
	v_ashrrev_i32_e32 v0, 6, v0
.LBB2_2934:                             ;   in Loop: Header=BB2_274 Depth=3
	s_or_b64 exec, exec, s[64:65]
	s_and_b64 s[28:29], s[30:31], exec
.LBB2_2935:                             ;   in Loop: Header=BB2_274 Depth=3
	s_or_b64 exec, exec, s[34:35]
	v_accvgpr_read_b32 v40, a3
	s_and_saveexec_b64 s[64:65], s[28:29]
	s_cbranch_execnz .LBB2_345
.LBB2_2936:                             ;   in Loop: Header=BB2_274 Depth=3
	s_or_b64 exec, exec, s[64:65]
	s_and_saveexec_b64 s[28:29], s[10:11]
	s_cbranch_execz .LBB2_557
.LBB2_2937:                             ;   in Loop: Header=BB2_274 Depth=3
	s_and_saveexec_b64 vcc, s[44:45]
	s_xor_b64 s[30:31], exec, vcc
	s_cbranch_execz .LBB2_2952
; %bb.2938:                             ;   in Loop: Header=BB2_274 Depth=3
	s_and_saveexec_b64 s[34:35], s[16:17]
	s_cbranch_execz .LBB2_2951
; %bb.2939:                             ;   in Loop: Header=BB2_274 Depth=3
	s_mov_b64 s[66:67], exec
	v_mbcnt_lo_u32_b32 v0, s66, 0
	v_mbcnt_hi_u32_b32 v0, s67, v0
	v_cmp_eq_u32_e32 vcc, 0, v0
	s_waitcnt vmcnt(0) lgkmcnt(0)
	buffer_wbinvl1_vol
	s_and_saveexec_b64 s[64:65], vcc
	s_cbranch_execz .LBB2_2941
; %bb.2940:                             ;   in Loop: Header=BB2_274 Depth=3
	s_bcnt1_i32_b64 vcc_lo, s[66:67]
	v_mov_b32_e32 v50, vcc_lo
	ds_add_u64 v0, v[50:51]
	s_trap 2
.LBB2_2941:                             ;   in Loop: Header=BB2_274 Depth=3
	s_or_b64 exec, exec, s[64:65]
	s_trap 2
	ds_read_b64 v[0:1], v0
	v_accvgpr_read_b32 v4, a14
	v_accvgpr_read_b32 v5, a15
	v_add_co_u32_e32 v4, vcc, v4, v44
	v_addc_co_u32_e32 v5, vcc, 0, v5, vcc
	v_accvgpr_write_b32 a15, v5
	v_accvgpr_write_b32 a14, v4
	s_waitcnt lgkmcnt(0)
	v_cmp_lt_u64_e32 vcc, v[0:1], v[4:5]
	s_and_saveexec_b64 s[64:65], vcc
	s_cbranch_execz .LBB2_2950
; %bb.2942:                             ;   in Loop: Header=BB2_274 Depth=3
	s_mov_b32 s76, 0
	s_mov_b64 s[66:67], 0
                                        ; implicit-def: $sgpr68_sgpr69
                                        ; implicit-def: $sgpr70_sgpr71
	s_branch .LBB2_2944
.LBB2_2943:                             ;   in Loop: Header=BB2_2944 Depth=4
	s_or_b64 exec, exec, s[74:75]
	s_and_b64 vcc, exec, vcc
	s_or_b64 s[66:67], vcc, s[66:67]
	s_andn2_b64 vcc, s[68:69], exec
	s_and_b64 s[46:47], s[70:71], exec
	s_or_b64 s[68:69], vcc, s[46:47]
	s_andn2_b64 exec, exec, s[66:67]
	s_cbranch_execz .LBB2_2948
.LBB2_2944:                             ;   Parent Loop BB2_47 Depth=1
                                        ;     Parent Loop BB2_271 Depth=2
                                        ;       Parent Loop BB2_274 Depth=3
                                        ; =>      This Inner Loop Header: Depth=4
	s_add_i32 s76, s76, 1
	s_cmpk_lg_i32 s76, 0x2710
	s_cselect_b64 s[72:73], -1, 0
	s_and_b64 vcc, exec, s[72:73]
                                        ; implicit-def: $sgpr74_sgpr75
	s_cbranch_vccnz .LBB2_2946
; %bb.2945:                             ;   in Loop: Header=BB2_2944 Depth=4
	s_trap 2
	ds_read_b64 v[0:1], v0
	s_andn2_b64 s[46:47], s[72:73], exec
	s_mov_b32 s76, 0
	s_mov_b64 s[74:75], -1
	s_waitcnt lgkmcnt(0)
	flat_load_dword v0, v[0:1] glc
	s_waitcnt vmcnt(0) lgkmcnt(0)
	buffer_invl2
	buffer_wbinvl1_vol
	v_cmp_eq_u32_e32 vcc, 0, v0
	s_and_b64 vcc, vcc, exec
	s_or_b64 s[72:73], s[46:47], vcc
.LBB2_2946:                             ;   in Loop: Header=BB2_2944 Depth=4
	s_andn2_b64 s[46:47], s[70:71], exec
	s_and_b64 s[70:71], s[74:75], exec
	s_mov_b64 vcc, -1
	s_or_b64 s[70:71], s[46:47], s[70:71]
	s_and_saveexec_b64 s[74:75], s[72:73]
	s_cbranch_execz .LBB2_2943
; %bb.2947:                             ;   in Loop: Header=BB2_2944 Depth=4
	s_sleep 1
	s_trap 2
	ds_read_b64 v[0:1], v0
	v_accvgpr_read_b32 v4, a14
	v_accvgpr_read_b32 v5, a15
	s_andn2_b64 s[70:71], s[70:71], exec
	s_waitcnt lgkmcnt(0)
	v_cmp_ge_u64_e32 vcc, v[0:1], v[4:5]
	s_orn2_b64 vcc, vcc, exec
	s_branch .LBB2_2943
.LBB2_2948:                             ;   in Loop: Header=BB2_274 Depth=3
	s_or_b64 exec, exec, s[66:67]
	s_and_saveexec_b64 vcc, s[68:69]
	s_xor_b64 vcc, exec, vcc
	s_cbranch_execz .LBB2_2950
; %bb.2949:                             ;   in Loop: Header=BB2_274 Depth=3
	v_mov_b32_e32 v0, 1
	ds_write_b32 v0, v0
	s_trap 2
.LBB2_2950:                             ;   in Loop: Header=BB2_274 Depth=3
	s_or_b64 exec, exec, s[64:65]
	;;#ASMSTART
	s_wakeup
	;;#ASMEND
.LBB2_2951:                             ;   in Loop: Header=BB2_274 Depth=3
	s_or_b64 exec, exec, s[34:35]
.LBB2_2952:                             ;   in Loop: Header=BB2_274 Depth=3
	s_andn2_saveexec_b64 vcc, s[30:31]
	s_cbranch_execz .LBB2_2954
; %bb.2953:                             ;   in Loop: Header=BB2_274 Depth=3
	s_waitcnt vmcnt(0) lgkmcnt(0)
	buffer_wbinvl1_vol
	s_barrier
.LBB2_2954:                             ;   in Loop: Header=BB2_274 Depth=3
	s_or_b64 exec, exec, vcc
	s_or_b64 exec, exec, s[28:29]
                                        ; implicit-def: $vgpr0
	s_and_saveexec_b64 s[28:29], s[24:25]
	s_xor_b64 s[30:31], exec, s[28:29]
	s_cbranch_execnz .LBB2_558
.LBB2_2955:                             ;   in Loop: Header=BB2_274 Depth=3
	s_andn2_saveexec_b64 s[28:29], s[30:31]
	s_cbranch_execz .LBB2_2974
.LBB2_2956:                             ;   in Loop: Header=BB2_274 Depth=3
	s_and_saveexec_b64 vcc, s[44:45]
	s_xor_b64 s[30:31], exec, vcc
	s_cbranch_execz .LBB2_2971
; %bb.2957:                             ;   in Loop: Header=BB2_274 Depth=3
	s_and_saveexec_b64 s[34:35], s[16:17]
	s_cbranch_execz .LBB2_2970
; %bb.2958:                             ;   in Loop: Header=BB2_274 Depth=3
	s_mov_b64 s[66:67], exec
	v_mbcnt_lo_u32_b32 v0, s66, 0
	v_mbcnt_hi_u32_b32 v0, s67, v0
	v_cmp_eq_u32_e32 vcc, 0, v0
	;;#ASMSTART
	s_waitcnt lgkmcnt(0) vmcnt(0)
	;;#ASMEND
	s_and_saveexec_b64 s[64:65], vcc
	s_cbranch_execz .LBB2_2960
; %bb.2959:                             ;   in Loop: Header=BB2_274 Depth=3
	s_bcnt1_i32_b64 vcc_lo, s[66:67]
	v_mov_b32_e32 v50, vcc_lo
	ds_add_u64 v0, v[50:51]
	s_trap 2
.LBB2_2960:                             ;   in Loop: Header=BB2_274 Depth=3
	s_or_b64 exec, exec, s[64:65]
	s_trap 2
	ds_read_b64 v[0:1], v0
	v_accvgpr_read_b32 v4, a14
	v_accvgpr_read_b32 v5, a15
	v_add_co_u32_e32 v4, vcc, v4, v44
	v_addc_co_u32_e32 v5, vcc, 0, v5, vcc
	v_accvgpr_write_b32 a15, v5
	v_accvgpr_write_b32 a14, v4
	s_waitcnt lgkmcnt(0)
	v_cmp_lt_u64_e32 vcc, v[0:1], v[4:5]
	s_and_saveexec_b64 s[64:65], vcc
	s_cbranch_execz .LBB2_2969
; %bb.2961:                             ;   in Loop: Header=BB2_274 Depth=3
	s_mov_b32 s76, 0
	s_mov_b64 s[66:67], 0
                                        ; implicit-def: $sgpr68_sgpr69
                                        ; implicit-def: $sgpr70_sgpr71
	s_branch .LBB2_2963
.LBB2_2962:                             ;   in Loop: Header=BB2_2963 Depth=4
	s_or_b64 exec, exec, s[74:75]
	s_and_b64 vcc, exec, vcc
	s_or_b64 s[66:67], vcc, s[66:67]
	s_andn2_b64 vcc, s[68:69], exec
	s_and_b64 s[46:47], s[70:71], exec
	s_or_b64 s[68:69], vcc, s[46:47]
	s_andn2_b64 exec, exec, s[66:67]
	s_cbranch_execz .LBB2_2967
.LBB2_2963:                             ;   Parent Loop BB2_47 Depth=1
                                        ;     Parent Loop BB2_271 Depth=2
                                        ;       Parent Loop BB2_274 Depth=3
                                        ; =>      This Inner Loop Header: Depth=4
	s_add_i32 s76, s76, 1
	s_cmpk_lg_i32 s76, 0x2710
	s_cselect_b64 s[72:73], -1, 0
	s_and_b64 vcc, exec, s[72:73]
                                        ; implicit-def: $sgpr74_sgpr75
	s_cbranch_vccnz .LBB2_2965
; %bb.2964:                             ;   in Loop: Header=BB2_2963 Depth=4
	s_trap 2
	ds_read_b64 v[0:1], v0
	s_andn2_b64 s[46:47], s[72:73], exec
	s_mov_b32 s76, 0
	s_mov_b64 s[74:75], -1
	s_waitcnt vmcnt(0) lgkmcnt(0)
	flat_load_dword v0, v[0:1] glc
	s_waitcnt vmcnt(0) lgkmcnt(0)
	buffer_invl2
	buffer_wbinvl1_vol
	v_cmp_eq_u32_e32 vcc, 0, v0
	s_and_b64 vcc, vcc, exec
	s_or_b64 s[72:73], s[46:47], vcc
.LBB2_2965:                             ;   in Loop: Header=BB2_2963 Depth=4
	s_andn2_b64 s[46:47], s[70:71], exec
	s_and_b64 s[70:71], s[74:75], exec
	s_mov_b64 vcc, -1
	s_or_b64 s[70:71], s[46:47], s[70:71]
	s_and_saveexec_b64 s[74:75], s[72:73]
	s_cbranch_execz .LBB2_2962
; %bb.2966:                             ;   in Loop: Header=BB2_2963 Depth=4
	s_sleep 1
	s_trap 2
	ds_read_b64 v[0:1], v0
	v_accvgpr_read_b32 v4, a14
	v_accvgpr_read_b32 v5, a15
	s_andn2_b64 s[70:71], s[70:71], exec
	s_waitcnt lgkmcnt(0)
	v_cmp_ge_u64_e32 vcc, v[0:1], v[4:5]
	s_orn2_b64 vcc, vcc, exec
	s_branch .LBB2_2962
.LBB2_2967:                             ;   in Loop: Header=BB2_274 Depth=3
	s_or_b64 exec, exec, s[66:67]
	s_and_saveexec_b64 vcc, s[68:69]
	s_xor_b64 vcc, exec, vcc
	s_cbranch_execz .LBB2_2969
; %bb.2968:                             ;   in Loop: Header=BB2_274 Depth=3
	v_mov_b32_e32 v0, 1
	ds_write_b32 v0, v0
	s_trap 2
.LBB2_2969:                             ;   in Loop: Header=BB2_274 Depth=3
	s_or_b64 exec, exec, s[64:65]
	;;#ASMSTART
	s_wakeup
	;;#ASMEND
.LBB2_2970:                             ;   in Loop: Header=BB2_274 Depth=3
	s_or_b64 exec, exec, s[34:35]
.LBB2_2971:                             ;   in Loop: Header=BB2_274 Depth=3
	s_andn2_saveexec_b64 vcc, s[30:31]
	s_cbranch_execz .LBB2_2973
; %bb.2972:                             ;   in Loop: Header=BB2_274 Depth=3
	;;#ASMSTART
	s_waitcnt lgkmcnt(0) vmcnt(0)
	;;#ASMEND
	s_barrier
.LBB2_2973:                             ;   in Loop: Header=BB2_274 Depth=3
	s_or_b64 exec, exec, vcc
	v_and_b32_e32 v0, 16, v60
.LBB2_2974:                             ;   in Loop: Header=BB2_274 Depth=3
	s_or_b64 exec, exec, s[28:29]
	v_cmp_ne_u32_e32 vcc, 0, v0
	s_xor_b64 s[28:29], s[12:13], -1
	s_and_b64 vcc, vcc, s[28:29]
	s_and_saveexec_b64 s[28:29], vcc
	s_cbranch_execz .LBB2_2976
; %bb.2975:                             ;   in Loop: Header=BB2_274 Depth=3
	v_accvgpr_read_b32 v0, a20
	v_accvgpr_read_b32 v1, a21
	v_mov_b32_e32 v3, 1
	flat_store_dword v[0:1], v3
.LBB2_2976:                             ;   in Loop: Header=BB2_274 Depth=3
	s_or_b64 exec, exec, s[28:29]
	v_and_b32_e32 v0, 48, v60
	v_cmp_ne_u32_e32 vcc, 0, v0
	s_and_saveexec_b64 s[28:29], vcc
	s_cbranch_execz .LBB2_273
; %bb.2977:                             ;   in Loop: Header=BB2_274 Depth=3
	v_add_co_u32_e32 v32, vcc, 2, v32
	v_addc_co_u32_e32 v33, vcc, 0, v33, vcc
	flat_store_dwordx2 v[34:35], v[32:33]
	s_branch .LBB2_273
.LBB2_2978:                             ;   in Loop: Header=BB2_271 Depth=2
	s_or_b64 exec, exec, s[58:59]
	v_cmp_gt_i32_e32 vcc, 2, v0
	s_and_saveexec_b64 s[30:31], vcc
	s_cbranch_execz .LBB2_270
	s_branch .LBB2_2980
.LBB2_2979:                             ;   in Loop: Header=BB2_271 Depth=2
	s_or_b64 exec, exec, s[60:61]
	s_or_b64 exec, exec, s[58:59]
	v_cmp_gt_i32_e32 vcc, 2, v0
	s_and_saveexec_b64 s[30:31], vcc
	s_cbranch_execz .LBB2_270
.LBB2_2980:                             ;   in Loop: Header=BB2_271 Depth=2
	v_cmp_eq_u32_e64 s[28:29], 0, v0
	s_mov_b64 s[34:35], 0
	s_branch .LBB2_2982
.LBB2_2981:                             ;   in Loop: Header=BB2_2982 Depth=3
	s_or_b64 exec, exec, s[28:29]
	v_add_u32_e32 v41, v2, v41
	s_mov_b64 s[28:29], 0
	s_andn2_b64 exec, exec, s[34:35]
	s_cbranch_execz .LBB2_269
.LBB2_2982:                             ;   Parent Loop BB2_47 Depth=1
                                        ;     Parent Loop BB2_271 Depth=2
                                        ; =>    This Loop Header: Depth=3
                                        ;         Child Loop BB2_2988 Depth 4
                                        ;         Child Loop BB2_3026 Depth 4
	;; [unrolled: 1-line block ×3, first 2 shown]
	v_and_b32_e32 v0, 12, v60
	s_mov_b64 s[60:61], -1
	v_cmp_ne_u32_e32 vcc, 0, v0
	s_and_saveexec_b64 s[58:59], vcc
	s_cbranch_execz .LBB2_2994
; %bb.2983:                             ;   in Loop: Header=BB2_2982 Depth=3
	v_and_b32_e32 v4, 8, v60
	v_add_co_u32_e32 v0, vcc, v48, v4
	v_addc_co_u32_e32 v1, vcc, 0, v49, vcc
	v_add_co_u32_e32 v8, vcc, 2, v32
	v_addc_co_u32_e32 v9, vcc, 0, v33, vcc
	v_cmp_lt_u64_e32 vcc, v[0:1], v[8:9]
	v_mov_b32_e32 v0, 1
	s_and_saveexec_b64 s[60:61], vcc
	s_cbranch_execz .LBB2_2993
; %bb.2984:                             ;   in Loop: Header=BB2_2982 Depth=3
	s_mov_b64 s[62:63], 0
	v_mov_b32_e32 v0, 0
                                        ; implicit-def: $sgpr64_sgpr65
	s_branch .LBB2_2988
.LBB2_2985:                             ;   in Loop: Header=BB2_2988 Depth=4
	s_or_b64 exec, exec, s[72:73]
	v_mov_b32_e32 v1, 0
	s_orn2_b64 s[70:71], s[70:71], exec
.LBB2_2986:                             ;   in Loop: Header=BB2_2988 Depth=4
	s_or_b64 exec, exec, s[68:69]
	s_andn2_b64 vcc, s[64:65], exec
	s_and_b64 s[46:47], s[70:71], exec
	s_or_b64 s[64:65], vcc, s[46:47]
	v_mov_b32_e32 v0, v1
.LBB2_2987:                             ;   in Loop: Header=BB2_2988 Depth=4
	s_or_b64 exec, exec, s[66:67]
	s_waitcnt vmcnt(0) lgkmcnt(0)
	v_add_co_u32_e32 v6, vcc, v48, v4
	v_addc_co_u32_e32 v7, vcc, 0, v49, vcc
	v_cmp_ge_u64_e32 vcc, v[6:7], v[8:9]
	s_xor_b64 s[46:47], s[64:65], -1
	s_or_b64 vcc, s[46:47], vcc
	s_and_b64 vcc, exec, vcc
	s_or_b64 s[62:63], vcc, s[62:63]
	s_andn2_b64 exec, exec, s[62:63]
	s_cbranch_execz .LBB2_2992
.LBB2_2988:                             ;   Parent Loop BB2_47 Depth=1
                                        ;     Parent Loop BB2_271 Depth=2
                                        ;       Parent Loop BB2_2982 Depth=3
                                        ; =>      This Inner Loop Header: Depth=4
	s_sleep 1
	flat_load_dwordx2 v[48:49], v[34:35] glc
	v_and_b32_e32 v1, 64, v60
	v_cmp_eq_u32_e32 vcc, 0, v1
	s_andn2_b64 s[64:65], s[64:65], exec
	s_and_saveexec_b64 s[66:67], vcc
	s_cbranch_execz .LBB2_2987
; %bb.2989:                             ;   in Loop: Header=BB2_2988 Depth=4
	v_add_u32_e32 v1, 1, v0
	v_cmp_lt_i32_e32 vcc, s91, v0
	s_mov_b64 s[70:71], -1
	s_and_saveexec_b64 s[68:69], vcc
	s_cbranch_execz .LBB2_2986
; %bb.2990:                             ;   in Loop: Header=BB2_2988 Depth=4
	s_trap 2
	ds_read_b64 v[0:1], v0
	s_waitcnt vmcnt(0) lgkmcnt(0)
	flat_load_dword v0, v[0:1] glc
	s_waitcnt vmcnt(0) lgkmcnt(0)
	buffer_invl2
	buffer_wbinvl1_vol
	v_cmp_ne_u32_e32 vcc, 0, v0
	s_and_saveexec_b64 s[72:73], vcc
	s_cbranch_execz .LBB2_2985
; %bb.2991:                             ;   in Loop: Header=BB2_2988 Depth=4
	v_or_b32_e32 v60, 64, v60
	s_xor_b64 s[70:71], exec, -1
	ds_write_b32 v0, v0
	s_trap 2
	s_branch .LBB2_2985
.LBB2_2992:                             ;   in Loop: Header=BB2_2982 Depth=3
	s_or_b64 exec, exec, s[62:63]
	v_and_b32_e32 v0, 12, v60
.LBB2_2993:                             ;   in Loop: Header=BB2_2982 Depth=3
	s_or_b64 exec, exec, s[60:61]
	v_cmp_eq_u32_e32 vcc, 0, v0
	s_orn2_b64 s[60:61], vcc, exec
	;;#ASMSTART
	s_wakeup
	;;#ASMEND
.LBB2_2994:                             ;   in Loop: Header=BB2_2982 Depth=3
	s_or_b64 exec, exec, s[58:59]
	s_xor_b64 s[28:29], s[28:29], -1
	s_and_b64 s[28:29], exec, s[28:29]
	s_or_b64 s[34:35], s[28:29], s[34:35]
	v_sub_u32_e32 v0, v45, v41
	s_xor_b64 s[28:29], s[60:61], -1
	v_min_i32_e32 v2, v2, v0
	s_and_saveexec_b64 s[58:59], s[28:29]
	s_cbranch_execz .LBB2_3018
; %bb.2995:                             ;   in Loop: Header=BB2_2982 Depth=3
	v_and_b32_e32 v0, 0x108, v60
	v_cmp_ne_u32_e32 vcc, s92, v0
	v_and_b32_e32 v4, 7, v32
	s_and_saveexec_b64 s[28:29], vcc
	s_xor_b64 s[28:29], exec, s[28:29]
	s_andn2_saveexec_b64 s[28:29], s[28:29]
	s_cbranch_execz .LBB2_2997
; %bb.2996:                             ;   in Loop: Header=BB2_2982 Depth=3
	v_accvgpr_read_b32 v0, a12
	v_accvgpr_read_b32 v1, a13
	v_mad_u64_u32 v[0:1], vcc, v4, 24, v[0:1]
	v_ashrrev_i32_e32 v3, 31, v2
	flat_store_dwordx2 v[0:1], v[2:3] offset:8
.LBB2_2997:                             ;   in Loop: Header=BB2_2982 Depth=3
	s_or_b64 exec, exec, s[28:29]
	v_and_b32_e32 v0, 0x100, v60
	v_cmp_ne_u32_e32 vcc, 0, v0
	s_mov_b64 s[28:29], -1
                                        ; implicit-def: $vgpr8_vgpr9
	s_and_saveexec_b64 s[60:61], vcc
	s_cbranch_execz .LBB2_3001
; %bb.2998:                             ;   in Loop: Header=BB2_2982 Depth=3
	v_accvgpr_read_b32 v0, a12
	v_accvgpr_read_b32 v1, a13
	v_mad_u64_u32 v[10:11], s[28:29], v4, 24, v[0:1]
	v_mov_b32_e32 v0, v11
	v_mad_u64_u32 v[0:1], s[28:29], v51, 24, v[0:1]
	v_mov_b32_e32 v11, v0
	flat_load_dword v0, v[10:11]
                                        ; implicit-def: $vgpr8_vgpr9
	s_waitcnt vmcnt(0) lgkmcnt(0)
	v_cmp_ne_u32_e32 vcc, 1, v0
	v_cmp_eq_u32_e64 s[28:29], 1, v0
	s_and_saveexec_b64 s[62:63], s[28:29]
	s_cbranch_execz .LBB2_3000
; %bb.2999:                             ;   in Loop: Header=BB2_2982 Depth=3
	flat_load_dword v8, v[10:11] offset:4 glc
	s_waitcnt vmcnt(0) lgkmcnt(0)
	v_ashrrev_i32_e32 v9, 31, v8
.LBB2_3000:                             ;   in Loop: Header=BB2_2982 Depth=3
	s_or_b64 exec, exec, s[62:63]
	s_orn2_b64 s[28:29], vcc, exec
.LBB2_3001:                             ;   in Loop: Header=BB2_2982 Depth=3
	s_or_b64 exec, exec, s[60:61]
	s_and_saveexec_b64 vcc, s[28:29]
; %bb.3002:                             ;   in Loop: Header=BB2_2982 Depth=3
	v_accvgpr_read_b32 v6, a16
	v_accvgpr_read_b32 v1, a17
	v_mul_lo_u32 v0, v51, v6
	v_mul_lo_u32 v1, v4, v1
	v_mad_u64_u32 v[8:9], s[28:29], v4, v6, 0
	v_add3_u32 v9, v9, v1, v0
; %bb.3003:                             ;   in Loop: Header=BB2_2982 Depth=3
	s_or_b64 exec, exec, vcc
	v_accvgpr_read_b32 v0, a18
	v_accvgpr_read_b32 v1, a19
	v_add_co_u32_e32 v0, vcc, v0, v8
	v_addc_co_u32_e32 v1, vcc, v1, v9, vcc
	s_trap 2
	ds_write_b64 v0, v[0:1]
	v_and_b32_e32 v0, 0x2000, v60
	v_cmp_ne_u32_e32 vcc, 0, v0
	s_and_saveexec_b64 s[28:29], vcc
	s_cbranch_execz .LBB2_3005
; %bb.3004:                             ;   in Loop: Header=BB2_2982 Depth=3
	ds_read_b64 v[0:1], v0 offset:584
	s_waitcnt lgkmcnt(0)
	v_add_co_u32_e32 v0, vcc, 1, v0
	v_addc_co_u32_e32 v1, vcc, 0, v1, vcc
	ds_write_b64 v0, v[0:1] offset:584
.LBB2_3005:                             ;   in Loop: Header=BB2_2982 Depth=3
	s_or_b64 exec, exec, s[28:29]
	v_add_co_u32_e32 v32, vcc, 2, v32
	v_addc_co_u32_e32 v33, vcc, 0, v33, vcc
	s_or_b64 exec, exec, s[58:59]
	s_and_saveexec_b64 s[28:29], s[10:11]
	s_cbranch_execnz .LBB2_3019
.LBB2_3006:                             ;   in Loop: Header=BB2_2982 Depth=3
	s_or_b64 exec, exec, s[28:29]
                                        ; implicit-def: $vgpr0
	s_and_saveexec_b64 s[28:29], s[48:49]
	s_xor_b64 s[28:29], exec, s[28:29]
	s_cbranch_execz .LBB2_3044
.LBB2_3007:                             ;   in Loop: Header=BB2_2982 Depth=3
	s_and_saveexec_b64 vcc, s[44:45]
	s_xor_b64 s[58:59], exec, vcc
	s_cbranch_execz .LBB2_3034
; %bb.3008:                             ;   in Loop: Header=BB2_2982 Depth=3
	s_and_saveexec_b64 s[60:61], s[16:17]
	s_cbranch_execz .LBB2_3033
; %bb.3009:                             ;   in Loop: Header=BB2_2982 Depth=3
	s_mov_b64 s[64:65], exec
	v_mbcnt_lo_u32_b32 v0, s64, 0
	v_mbcnt_hi_u32_b32 v0, s65, v0
	v_cmp_eq_u32_e32 vcc, 0, v0
	;;#ASMSTART
	s_waitcnt lgkmcnt(0) vmcnt(0)
	;;#ASMEND
	s_and_saveexec_b64 s[62:63], vcc
	s_cbranch_execz .LBB2_3011
; %bb.3010:                             ;   in Loop: Header=BB2_2982 Depth=3
	s_bcnt1_i32_b64 vcc_lo, s[64:65]
	v_mov_b32_e32 v50, vcc_lo
	ds_add_u64 v0, v[50:51]
	s_trap 2
.LBB2_3011:                             ;   in Loop: Header=BB2_2982 Depth=3
	s_or_b64 exec, exec, s[62:63]
	s_trap 2
	ds_read_b64 v[0:1], v0
	v_accvgpr_read_b32 v4, a14
	v_accvgpr_read_b32 v5, a15
	v_add_co_u32_e32 v4, vcc, v4, v44
	v_addc_co_u32_e32 v5, vcc, 0, v5, vcc
	v_accvgpr_write_b32 a15, v5
	v_accvgpr_write_b32 a14, v4
	s_waitcnt lgkmcnt(0)
	v_cmp_lt_u64_e32 vcc, v[0:1], v[4:5]
	s_and_saveexec_b64 s[62:63], vcc
	s_cbranch_execz .LBB2_3032
; %bb.3012:                             ;   in Loop: Header=BB2_2982 Depth=3
	s_mov_b32 s74, 0
	s_mov_b64 s[64:65], 0
                                        ; implicit-def: $sgpr66_sgpr67
                                        ; implicit-def: $sgpr68_sgpr69
	s_branch .LBB2_3014
.LBB2_3013:                             ;   in Loop: Header=BB2_3014 Depth=4
	s_or_b64 exec, exec, s[72:73]
	s_and_b64 vcc, exec, vcc
	s_or_b64 s[64:65], vcc, s[64:65]
	s_andn2_b64 vcc, s[66:67], exec
	s_and_b64 s[46:47], s[68:69], exec
	s_or_b64 s[66:67], vcc, s[46:47]
	s_andn2_b64 exec, exec, s[64:65]
	s_cbranch_execz .LBB2_3030
.LBB2_3014:                             ;   Parent Loop BB2_47 Depth=1
                                        ;     Parent Loop BB2_271 Depth=2
                                        ;       Parent Loop BB2_2982 Depth=3
                                        ; =>      This Inner Loop Header: Depth=4
	s_add_i32 s74, s74, 1
	s_cmpk_lg_i32 s74, 0x2710
	s_cselect_b64 s[70:71], -1, 0
	s_and_b64 vcc, exec, s[70:71]
                                        ; implicit-def: $sgpr72_sgpr73
	s_cbranch_vccnz .LBB2_3016
; %bb.3015:                             ;   in Loop: Header=BB2_3014 Depth=4
	s_trap 2
	ds_read_b64 v[0:1], v0
	s_andn2_b64 s[46:47], s[70:71], exec
	s_mov_b32 s74, 0
	s_mov_b64 s[72:73], -1
	s_waitcnt vmcnt(0) lgkmcnt(0)
	flat_load_dword v0, v[0:1] glc
	s_waitcnt vmcnt(0) lgkmcnt(0)
	buffer_invl2
	buffer_wbinvl1_vol
	v_cmp_eq_u32_e32 vcc, 0, v0
	s_and_b64 vcc, vcc, exec
	s_or_b64 s[70:71], s[46:47], vcc
.LBB2_3016:                             ;   in Loop: Header=BB2_3014 Depth=4
	s_andn2_b64 s[46:47], s[68:69], exec
	s_and_b64 s[68:69], s[72:73], exec
	s_mov_b64 vcc, -1
	s_or_b64 s[68:69], s[46:47], s[68:69]
	s_and_saveexec_b64 s[72:73], s[70:71]
	s_cbranch_execz .LBB2_3013
; %bb.3017:                             ;   in Loop: Header=BB2_3014 Depth=4
	s_sleep 1
	s_trap 2
	ds_read_b64 v[0:1], v0
	v_accvgpr_read_b32 v4, a14
	v_accvgpr_read_b32 v5, a15
	s_andn2_b64 s[68:69], s[68:69], exec
	s_waitcnt lgkmcnt(0)
	v_cmp_ge_u64_e32 vcc, v[0:1], v[4:5]
	s_orn2_b64 vcc, vcc, exec
	s_branch .LBB2_3013
.LBB2_3018:                             ;   in Loop: Header=BB2_2982 Depth=3
	s_or_b64 exec, exec, s[58:59]
	s_and_saveexec_b64 s[28:29], s[10:11]
	s_cbranch_execz .LBB2_3006
.LBB2_3019:                             ;   in Loop: Header=BB2_2982 Depth=3
	s_and_saveexec_b64 vcc, s[44:45]
	s_xor_b64 s[58:59], exec, vcc
	s_cbranch_execz .LBB2_3041
; %bb.3020:                             ;   in Loop: Header=BB2_2982 Depth=3
	s_and_saveexec_b64 s[60:61], s[16:17]
	s_cbranch_execz .LBB2_3040
; %bb.3021:                             ;   in Loop: Header=BB2_2982 Depth=3
	s_mov_b64 s[64:65], exec
	v_mbcnt_lo_u32_b32 v0, s64, 0
	v_mbcnt_hi_u32_b32 v0, s65, v0
	v_cmp_eq_u32_e32 vcc, 0, v0
	s_waitcnt vmcnt(0) lgkmcnt(0)
	buffer_wbinvl1_vol
	s_and_saveexec_b64 s[62:63], vcc
	s_cbranch_execz .LBB2_3023
; %bb.3022:                             ;   in Loop: Header=BB2_2982 Depth=3
	s_bcnt1_i32_b64 vcc_lo, s[64:65]
	v_mov_b32_e32 v50, vcc_lo
	ds_add_u64 v0, v[50:51]
	s_trap 2
.LBB2_3023:                             ;   in Loop: Header=BB2_2982 Depth=3
	s_or_b64 exec, exec, s[62:63]
	s_trap 2
	ds_read_b64 v[0:1], v0
	v_accvgpr_read_b32 v4, a14
	v_accvgpr_read_b32 v5, a15
	v_add_co_u32_e32 v4, vcc, v4, v44
	v_addc_co_u32_e32 v5, vcc, 0, v5, vcc
	v_accvgpr_write_b32 a15, v5
	v_accvgpr_write_b32 a14, v4
	s_waitcnt lgkmcnt(0)
	v_cmp_lt_u64_e32 vcc, v[0:1], v[4:5]
	s_and_saveexec_b64 s[62:63], vcc
	s_cbranch_execz .LBB2_3039
; %bb.3024:                             ;   in Loop: Header=BB2_2982 Depth=3
	s_mov_b32 s74, 0
	s_mov_b64 s[64:65], 0
                                        ; implicit-def: $sgpr66_sgpr67
                                        ; implicit-def: $sgpr68_sgpr69
	s_branch .LBB2_3026
.LBB2_3025:                             ;   in Loop: Header=BB2_3026 Depth=4
	s_or_b64 exec, exec, s[72:73]
	s_and_b64 vcc, exec, vcc
	s_or_b64 s[64:65], vcc, s[64:65]
	s_andn2_b64 vcc, s[66:67], exec
	s_and_b64 s[46:47], s[68:69], exec
	s_or_b64 s[66:67], vcc, s[46:47]
	s_andn2_b64 exec, exec, s[64:65]
	s_cbranch_execz .LBB2_3037
.LBB2_3026:                             ;   Parent Loop BB2_47 Depth=1
                                        ;     Parent Loop BB2_271 Depth=2
                                        ;       Parent Loop BB2_2982 Depth=3
                                        ; =>      This Inner Loop Header: Depth=4
	s_add_i32 s74, s74, 1
	s_cmpk_lg_i32 s74, 0x2710
	s_cselect_b64 s[70:71], -1, 0
	s_and_b64 vcc, exec, s[70:71]
                                        ; implicit-def: $sgpr72_sgpr73
	s_cbranch_vccnz .LBB2_3028
; %bb.3027:                             ;   in Loop: Header=BB2_3026 Depth=4
	s_trap 2
	ds_read_b64 v[0:1], v0
	s_andn2_b64 s[46:47], s[70:71], exec
	s_mov_b32 s74, 0
	s_mov_b64 s[72:73], -1
	s_waitcnt lgkmcnt(0)
	flat_load_dword v0, v[0:1] glc
	s_waitcnt vmcnt(0) lgkmcnt(0)
	buffer_invl2
	buffer_wbinvl1_vol
	v_cmp_eq_u32_e32 vcc, 0, v0
	s_and_b64 vcc, vcc, exec
	s_or_b64 s[70:71], s[46:47], vcc
.LBB2_3028:                             ;   in Loop: Header=BB2_3026 Depth=4
	s_andn2_b64 s[46:47], s[68:69], exec
	s_and_b64 s[68:69], s[72:73], exec
	s_mov_b64 vcc, -1
	s_or_b64 s[68:69], s[46:47], s[68:69]
	s_and_saveexec_b64 s[72:73], s[70:71]
	s_cbranch_execz .LBB2_3025
; %bb.3029:                             ;   in Loop: Header=BB2_3026 Depth=4
	s_sleep 1
	s_trap 2
	ds_read_b64 v[0:1], v0
	v_accvgpr_read_b32 v4, a14
	v_accvgpr_read_b32 v5, a15
	s_andn2_b64 s[68:69], s[68:69], exec
	s_waitcnt lgkmcnt(0)
	v_cmp_ge_u64_e32 vcc, v[0:1], v[4:5]
	s_orn2_b64 vcc, vcc, exec
	s_branch .LBB2_3025
.LBB2_3030:                             ;   in Loop: Header=BB2_2982 Depth=3
	s_or_b64 exec, exec, s[64:65]
	s_and_saveexec_b64 vcc, s[66:67]
	s_xor_b64 vcc, exec, vcc
	s_cbranch_execz .LBB2_3032
; %bb.3031:                             ;   in Loop: Header=BB2_2982 Depth=3
	v_mov_b32_e32 v0, 1
	ds_write_b32 v0, v0
	s_trap 2
.LBB2_3032:                             ;   in Loop: Header=BB2_2982 Depth=3
	s_or_b64 exec, exec, s[62:63]
	;;#ASMSTART
	s_wakeup
	;;#ASMEND
.LBB2_3033:                             ;   in Loop: Header=BB2_2982 Depth=3
	s_or_b64 exec, exec, s[60:61]
.LBB2_3034:                             ;   in Loop: Header=BB2_2982 Depth=3
	s_andn2_saveexec_b64 vcc, s[58:59]
	s_cbranch_execz .LBB2_3036
; %bb.3035:                             ;   in Loop: Header=BB2_2982 Depth=3
	;;#ASMSTART
	s_waitcnt lgkmcnt(0) vmcnt(0)
	;;#ASMEND
	s_barrier
.LBB2_3036:                             ;   in Loop: Header=BB2_2982 Depth=3
	s_or_b64 exec, exec, vcc
	v_and_b32_e32 v0, 16, v60
	s_andn2_saveexec_b64 s[28:29], s[28:29]
	s_cbranch_execz .LBB2_3048
	s_branch .LBB2_3045
.LBB2_3037:                             ;   in Loop: Header=BB2_2982 Depth=3
	s_or_b64 exec, exec, s[64:65]
	s_and_saveexec_b64 vcc, s[66:67]
	s_xor_b64 vcc, exec, vcc
	s_cbranch_execz .LBB2_3039
; %bb.3038:                             ;   in Loop: Header=BB2_2982 Depth=3
	v_mov_b32_e32 v0, 1
	ds_write_b32 v0, v0
	s_trap 2
.LBB2_3039:                             ;   in Loop: Header=BB2_2982 Depth=3
	s_or_b64 exec, exec, s[62:63]
	;;#ASMSTART
	s_wakeup
	;;#ASMEND
.LBB2_3040:                             ;   in Loop: Header=BB2_2982 Depth=3
	s_or_b64 exec, exec, s[60:61]
.LBB2_3041:                             ;   in Loop: Header=BB2_2982 Depth=3
	s_andn2_saveexec_b64 vcc, s[58:59]
	s_cbranch_execz .LBB2_3043
; %bb.3042:                             ;   in Loop: Header=BB2_2982 Depth=3
	s_waitcnt vmcnt(0) lgkmcnt(0)
	buffer_wbinvl1_vol
	s_barrier
.LBB2_3043:                             ;   in Loop: Header=BB2_2982 Depth=3
	s_or_b64 exec, exec, vcc
	s_or_b64 exec, exec, s[28:29]
                                        ; implicit-def: $vgpr0
	s_and_saveexec_b64 s[28:29], s[48:49]
	s_xor_b64 s[28:29], exec, s[28:29]
	s_cbranch_execnz .LBB2_3007
.LBB2_3044:                             ;   in Loop: Header=BB2_2982 Depth=3
	s_andn2_saveexec_b64 s[28:29], s[28:29]
	s_cbranch_execz .LBB2_3048
.LBB2_3045:                             ;   in Loop: Header=BB2_2982 Depth=3
	s_trap 2
	ds_read_b32 v1, v0
	v_cmp_lt_i32_e32 vcc, 0, v2
	v_and_b32_e32 v3, 16, v60
	v_and_b32_e32 v0, 16, v60
	s_waitcnt lgkmcnt(0)
	v_readfirstlane_b32 s46, v1
	s_cmp_eq_u32 s46, 0
	s_cselect_b64 s[46:47], -1, 0
	s_and_b64 s[46:47], vcc, s[46:47]
	v_cmp_ne_u32_e32 vcc, 0, v3
	s_and_b64 s[46:47], vcc, s[46:47]
	s_and_saveexec_b64 vcc, s[46:47]
	s_cbranch_execz .LBB2_3047
; %bb.3046:                             ;   in Loop: Header=BB2_2982 Depth=3
	v_mov_b32_e32 v0, 1
	s_waitcnt vmcnt(0)
	buffer_wbinvl1_vol
.LBB2_3047:                             ;   in Loop: Header=BB2_2982 Depth=3
	s_or_b64 exec, exec, vcc
.LBB2_3048:                             ;   in Loop: Header=BB2_2982 Depth=3
	s_or_b64 exec, exec, s[28:29]
	v_cmp_ne_u32_e32 vcc, 0, v0
	s_xor_b64 s[28:29], s[12:13], -1
	s_and_b64 vcc, vcc, s[28:29]
	s_and_saveexec_b64 s[28:29], vcc
	s_cbranch_execz .LBB2_3050
; %bb.3049:                             ;   in Loop: Header=BB2_2982 Depth=3
	v_accvgpr_read_b32 v0, a20
	v_accvgpr_read_b32 v1, a21
	v_mov_b32_e32 v3, 1
	flat_store_dword v[0:1], v3
.LBB2_3050:                             ;   in Loop: Header=BB2_2982 Depth=3
	s_or_b64 exec, exec, s[28:29]
	v_and_b32_e32 v0, 48, v60
	v_cmp_ne_u32_e32 vcc, 0, v0
	s_and_saveexec_b64 s[28:29], vcc
	s_cbranch_execz .LBB2_2981
; %bb.3051:                             ;   in Loop: Header=BB2_2982 Depth=3
	v_add_co_u32_e32 v32, vcc, 2, v32
	v_addc_co_u32_e32 v33, vcc, 0, v33, vcc
	flat_store_dwordx2 v[34:35], v[32:33]
	s_branch .LBB2_2981
.LBB2_3052:                             ;   in Loop: Header=BB2_47 Depth=1
	v_accvgpr_read_b32 v41, a23
.LBB2_3053:                             ;   in Loop: Header=BB2_47 Depth=1
	v_accvgpr_read_b32 v2, a50
	v_accvgpr_read_b32 v3, a51
	v_mul_lo_u32 v0, v3, s78
	v_mul_lo_u32 v1, v2, s79
	v_mad_u64_u32 v[4:5], s[28:29], v2, s78, 0
	v_add3_u32 v5, v5, v1, v0
	v_accvgpr_read_b32 v0, a52
	v_accvgpr_read_b32 v1, a53
	v_sub_co_u32_e32 v0, vcc, v0, v4
	v_subb_co_u32_e32 v1, vcc, v1, v5, vcc
	v_cmp_lt_i64_e32 vcc, v[2:3], v[0:1]
	v_cndmask_b32_e32 v0, v0, v2, vcc
	v_max_i32_e32 v1, 0, v0
	v_accvgpr_write_b32 a57, v1
	v_add_u32_e32 v1, 31, v1
	v_lshrrev_b32_e32 v1, 1, v1
	v_and_b32_e32 v1, 0x3ffffff0, v1
	v_max_i32_e32 v2, s86, v1
	v_cmp_lt_i32_e32 vcc, 0, v0
	v_accvgpr_write_b32 a56, v2
	s_and_b64 s[28:29], s[50:51], vcc
	v_mov_b32_e32 v0, 0
	v_mov_b32_e32 v47, 0
	s_and_saveexec_b64 s[58:59], s[28:29]
	s_cbranch_execnz .LBB2_3054
; %bb.8948:                             ;   in Loop: Header=BB2_47 Depth=1
	s_getpc_b64 s[98:99]
.Lpost_getpc3:
	s_add_u32 s98, s98, (.LBB2_8359-.Lpost_getpc3)&4294967295
	s_addc_u32 s99, s99, (.LBB2_8359-.Lpost_getpc3)>>32
	s_setpc_b64 s[98:99]
.LBB2_3054:                             ;   in Loop: Header=BB2_47 Depth=1
	v_accvgpr_read_b32 v0, a54
	v_add_co_u32_e32 v0, vcc, v4, v0
	v_accvgpr_write_b32 a58, v0
	v_accvgpr_read_b32 v0, a55
	v_addc_co_u32_e32 v0, vcc, v5, v0, vcc
	v_accvgpr_write_b32 a59, v0
	s_mov_b32 s8, 1
	s_mov_b64 s[62:63], -1
	s_mov_b64 s[60:61], 0
	v_mov_b32_e32 v47, 0
	s_branch .LBB2_3056
.LBB2_3055:                             ;   in Loop: Header=BB2_3056 Depth=2
	s_or_b64 exec, exec, s[28:29]
	v_accvgpr_read_b32 v0, a56
	v_mov_b32_e32 v1, v47
	v_add_u32_e32 v1, v0, v1
	v_accvgpr_read_b32 v0, a57
	v_cmp_ge_i32_e32 vcc, v1, v0
	s_xor_b64 s[28:29], s[62:63], -1
	s_or_b64 s[28:29], s[28:29], vcc
	s_and_b64 s[28:29], exec, s[28:29]
	v_mov_b32_e32 v47, v1
	s_or_b64 s[60:61], s[28:29], s[60:61]
	s_mov_b64 s[62:63], 0
	v_mov_b32_e32 v0, s8
	s_mov_b32 s8, 2
	s_andn2_b64 exec, exec, s[60:61]
	s_cbranch_execnz .LBB2_3056
; %bb.8950:                             ;   in Loop: Header=BB2_47 Depth=1
	s_getpc_b64 s[98:99]
.Lpost_getpc4:
	s_add_u32 s98, s98, (.LBB2_8432-.Lpost_getpc4)&4294967295
	s_addc_u32 s99, s99, (.LBB2_8432-.Lpost_getpc4)>>32
	s_setpc_b64 s[98:99]
.LBB2_3056:                             ;   Parent Loop BB2_47 Depth=1
                                        ; =>  This Loop Header: Depth=2
                                        ;       Child Loop BB2_3064 Depth 3
                                        ;       Child Loop BB2_3090 Depth 3
	;; [unrolled: 1-line block ×9, first 2 shown]
                                        ;         Child Loop BB2_5488 Depth 4
                                        ;       Child Loop BB2_5498 Depth 3
                                        ;       Child Loop BB2_5710 Depth 3
                                        ;         Child Loop BB2_5763 Depth 4
                                        ;       Child Loop BB2_3137 Depth 3
                                        ;       Child Loop BB2_4700 Depth 3
	s_and_saveexec_b64 s[28:29], s[4:5]
	s_cbranch_execz .LBB2_3058
; %bb.3057:                             ;   in Loop: Header=BB2_3056 Depth=2
	s_trap 2
	ds_read2_b64 v[0:3], v0 offset1:1
	v_accvgpr_read_b32 v8, a58
	v_accvgpr_read_b32 v9, a59
	v_mov_b32_e32 v7, v47
	v_ashrrev_i32_e32 v6, 31, v7
	s_waitcnt lgkmcnt(0)
	ds_read_b64 v[4:5], v0
	v_add_co_u32_e32 v0, vcc, v0, v8
	v_addc_co_u32_e32 v1, vcc, v1, v9, vcc
	v_add_co_u32_e32 v0, vcc, v0, v7
	v_addc_co_u32_e32 v1, vcc, v1, v6, vcc
	ds_write_b64 v0, v[0:1]
	v_add_co_u32_e32 v0, vcc, v2, v8
	v_addc_co_u32_e32 v1, vcc, v3, v9, vcc
	v_add_co_u32_e32 v0, vcc, v0, v7
	v_addc_co_u32_e32 v1, vcc, v1, v6, vcc
	ds_write_b64 v0, v[0:1]
	s_waitcnt lgkmcnt(0)
	v_add_co_u32_e32 v0, vcc, v4, v8
	v_addc_co_u32_e32 v1, vcc, v5, v9, vcc
	v_add_co_u32_e32 v0, vcc, v0, v7
	v_addc_co_u32_e32 v1, vcc, v1, v6, vcc
	v_cmp_ne_u64_e32 vcc, 0, v[4:5]
	v_cndmask_b32_e32 v1, 0, v1, vcc
	v_cndmask_b32_e32 v0, 0, v0, vcc
	ds_write_b64 v0, v[0:1]
.LBB2_3058:                             ;   in Loop: Header=BB2_3056 Depth=2
	s_or_b64 exec, exec, s[28:29]
	v_and_b32_e32 v0, 12, v60
	v_cmp_ne_u32_e32 vcc, 0, v0
	s_mov_b64 s[30:31], -1
	s_and_saveexec_b64 s[28:29], vcc
	s_cbranch_execz .LBB2_3070
; %bb.3059:                             ;   in Loop: Header=BB2_3056 Depth=2
	v_and_b32_e32 v4, 8, v60
	v_add_co_u32_e32 v0, vcc, v48, v4
	v_addc_co_u32_e32 v1, vcc, 0, v49, vcc
	v_add_co_u32_e32 v8, vcc, 2, v32
	v_addc_co_u32_e32 v9, vcc, 0, v33, vcc
	v_cmp_lt_u64_e32 vcc, v[0:1], v[8:9]
	v_mov_b32_e32 v0, 1
	s_and_saveexec_b64 s[30:31], vcc
	s_cbranch_execz .LBB2_3069
; %bb.3060:                             ;   in Loop: Header=BB2_3056 Depth=2
	s_mov_b64 s[34:35], 0
	v_mov_b32_e32 v0, 0
                                        ; implicit-def: $sgpr64_sgpr65
	s_branch .LBB2_3064
.LBB2_3061:                             ;   in Loop: Header=BB2_3064 Depth=3
	s_or_b64 exec, exec, s[72:73]
	v_mov_b32_e32 v1, 0
	s_orn2_b64 s[70:71], s[70:71], exec
.LBB2_3062:                             ;   in Loop: Header=BB2_3064 Depth=3
	s_or_b64 exec, exec, s[68:69]
	s_andn2_b64 vcc, s[64:65], exec
	s_and_b64 s[64:65], s[70:71], exec
	s_or_b64 s[64:65], vcc, s[64:65]
	v_mov_b32_e32 v0, v1
.LBB2_3063:                             ;   in Loop: Header=BB2_3064 Depth=3
	s_or_b64 exec, exec, s[66:67]
	s_waitcnt vmcnt(0) lgkmcnt(0)
	v_add_co_u32_e32 v2, vcc, v48, v4
	v_addc_co_u32_e32 v3, vcc, 0, v49, vcc
	v_cmp_ge_u64_e32 vcc, v[2:3], v[8:9]
	s_xor_b64 s[66:67], s[64:65], -1
	s_or_b64 vcc, s[66:67], vcc
	s_and_b64 vcc, exec, vcc
	s_or_b64 s[34:35], vcc, s[34:35]
	s_andn2_b64 exec, exec, s[34:35]
	s_cbranch_execz .LBB2_3068
.LBB2_3064:                             ;   Parent Loop BB2_47 Depth=1
                                        ;     Parent Loop BB2_3056 Depth=2
                                        ; =>    This Inner Loop Header: Depth=3
	s_sleep 1
	flat_load_dwordx2 v[48:49], v[34:35] glc
	v_and_b32_e32 v1, 64, v60
	v_cmp_eq_u32_e32 vcc, 0, v1
	s_andn2_b64 s[64:65], s[64:65], exec
	s_and_saveexec_b64 s[66:67], vcc
	s_cbranch_execz .LBB2_3063
; %bb.3065:                             ;   in Loop: Header=BB2_3064 Depth=3
	v_add_u32_e32 v1, 1, v0
	v_cmp_lt_i32_e32 vcc, s91, v0
	s_mov_b64 s[70:71], -1
	s_and_saveexec_b64 s[68:69], vcc
	s_cbranch_execz .LBB2_3062
; %bb.3066:                             ;   in Loop: Header=BB2_3064 Depth=3
	s_trap 2
	ds_read_b64 v[0:1], v0
	s_waitcnt vmcnt(0) lgkmcnt(0)
	flat_load_dword v0, v[0:1] glc
	s_waitcnt vmcnt(0) lgkmcnt(0)
	buffer_invl2
	buffer_wbinvl1_vol
	v_cmp_ne_u32_e32 vcc, 0, v0
	s_and_saveexec_b64 s[72:73], vcc
	s_cbranch_execz .LBB2_3061
; %bb.3067:                             ;   in Loop: Header=BB2_3064 Depth=3
	v_or_b32_e32 v60, 64, v60
	s_xor_b64 s[70:71], exec, -1
	ds_write_b32 v0, v0
	s_trap 2
	s_branch .LBB2_3061
.LBB2_3068:                             ;   in Loop: Header=BB2_3056 Depth=2
	s_or_b64 exec, exec, s[34:35]
	v_and_b32_e32 v0, 12, v60
.LBB2_3069:                             ;   in Loop: Header=BB2_3056 Depth=2
	s_or_b64 exec, exec, s[30:31]
	v_cmp_eq_u32_e32 vcc, 0, v0
	s_orn2_b64 s[30:31], vcc, exec
	;;#ASMSTART
	s_wakeup
	;;#ASMEND
.LBB2_3070:                             ;   in Loop: Header=BB2_3056 Depth=2
	s_or_b64 exec, exec, s[28:29]
	v_mov_b32_e32 v0, v47
	v_accvgpr_read_b32 v1, a57
	v_sub_u32_e32 v0, v1, v0
	v_accvgpr_read_b32 v2, a56
	v_min_i32_e32 v2, v2, v0
	s_xor_b64 s[28:29], s[30:31], -1
	v_accvgpr_write_b32 a56, v2
	s_and_saveexec_b64 s[30:31], s[28:29]
	s_cbranch_execz .LBB2_3082
; %bb.3071:                             ;   in Loop: Header=BB2_3056 Depth=2
	v_and_b32_e32 v0, 0x108, v60
	v_cmp_ne_u32_e32 vcc, s92, v0
	v_and_b32_e32 v4, 7, v32
	s_and_saveexec_b64 s[28:29], vcc
	s_xor_b64 s[28:29], exec, s[28:29]
	s_andn2_saveexec_b64 s[28:29], s[28:29]
	s_cbranch_execz .LBB2_3073
; %bb.3072:                             ;   in Loop: Header=BB2_3056 Depth=2
	v_accvgpr_read_b32 v0, a12
	v_accvgpr_read_b32 v1, a13
	;; [unrolled: 1-line block ×3, first 2 shown]
	v_mad_u64_u32 v[0:1], vcc, v4, 24, v[0:1]
	v_ashrrev_i32_e32 v3, 31, v2
	flat_store_dwordx2 v[0:1], v[2:3] offset:8
.LBB2_3073:                             ;   in Loop: Header=BB2_3056 Depth=2
	s_or_b64 exec, exec, s[28:29]
	v_and_b32_e32 v0, 0x100, v60
	v_cmp_ne_u32_e32 vcc, 0, v0
	s_mov_b64 s[28:29], -1
                                        ; implicit-def: $vgpr8_vgpr9
	s_and_saveexec_b64 s[34:35], vcc
	s_cbranch_execz .LBB2_3077
; %bb.3074:                             ;   in Loop: Header=BB2_3056 Depth=2
	v_accvgpr_read_b32 v0, a12
	v_accvgpr_read_b32 v1, a13
	v_mad_u64_u32 v[10:11], s[28:29], v4, 24, v[0:1]
	v_mov_b32_e32 v0, v11
	v_mad_u64_u32 v[0:1], s[28:29], v51, 24, v[0:1]
	v_mov_b32_e32 v11, v0
	flat_load_dword v0, v[10:11]
                                        ; implicit-def: $vgpr8_vgpr9
	s_waitcnt vmcnt(0) lgkmcnt(0)
	v_cmp_ne_u32_e32 vcc, 1, v0
	v_cmp_eq_u32_e64 s[28:29], 1, v0
	s_and_saveexec_b64 s[64:65], s[28:29]
	s_cbranch_execz .LBB2_3076
; %bb.3075:                             ;   in Loop: Header=BB2_3056 Depth=2
	flat_load_dword v8, v[10:11] offset:4 glc
	s_waitcnt vmcnt(0) lgkmcnt(0)
	v_ashrrev_i32_e32 v9, 31, v8
.LBB2_3076:                             ;   in Loop: Header=BB2_3056 Depth=2
	s_or_b64 exec, exec, s[64:65]
	s_orn2_b64 s[28:29], vcc, exec
.LBB2_3077:                             ;   in Loop: Header=BB2_3056 Depth=2
	s_or_b64 exec, exec, s[34:35]
	s_and_saveexec_b64 vcc, s[28:29]
; %bb.3078:                             ;   in Loop: Header=BB2_3056 Depth=2
	v_accvgpr_read_b32 v2, a16
	v_accvgpr_read_b32 v1, a17
	v_mul_lo_u32 v0, v51, v2
	v_mul_lo_u32 v1, v4, v1
	v_mad_u64_u32 v[8:9], s[28:29], v4, v2, 0
	v_add3_u32 v9, v9, v1, v0
; %bb.3079:                             ;   in Loop: Header=BB2_3056 Depth=2
	s_or_b64 exec, exec, vcc
	v_accvgpr_read_b32 v0, a18
	v_accvgpr_read_b32 v1, a19
	v_add_co_u32_e32 v0, vcc, v0, v8
	v_addc_co_u32_e32 v1, vcc, v1, v9, vcc
	s_trap 2
	ds_write_b64 v0, v[0:1]
	v_and_b32_e32 v0, 0x2000, v60
	v_cmp_ne_u32_e32 vcc, 0, v0
	s_and_saveexec_b64 s[28:29], vcc
	s_cbranch_execz .LBB2_3081
; %bb.3080:                             ;   in Loop: Header=BB2_3056 Depth=2
	ds_read_b64 v[0:1], v0 offset:584
	s_waitcnt lgkmcnt(0)
	v_add_co_u32_e32 v0, vcc, 1, v0
	v_addc_co_u32_e32 v1, vcc, 0, v1, vcc
	ds_write_b64 v0, v[0:1] offset:584
.LBB2_3081:                             ;   in Loop: Header=BB2_3056 Depth=2
	s_or_b64 exec, exec, s[28:29]
	v_add_co_u32_e32 v32, vcc, 2, v32
	v_addc_co_u32_e32 v33, vcc, 0, v33, vcc
.LBB2_3082:                             ;   in Loop: Header=BB2_3056 Depth=2
	s_or_b64 exec, exec, s[30:31]
	s_and_saveexec_b64 s[28:29], s[10:11]
	s_cbranch_execz .LBB2_3101
; %bb.3083:                             ;   in Loop: Header=BB2_3056 Depth=2
	s_and_saveexec_b64 vcc, s[44:45]
	s_xor_b64 s[30:31], exec, vcc
	s_cbranch_execz .LBB2_3098
; %bb.3084:                             ;   in Loop: Header=BB2_3056 Depth=2
	s_and_saveexec_b64 s[34:35], s[16:17]
	s_cbranch_execz .LBB2_3097
; %bb.3085:                             ;   in Loop: Header=BB2_3056 Depth=2
	s_mov_b64 s[66:67], exec
	v_mbcnt_lo_u32_b32 v0, s66, 0
	v_mbcnt_hi_u32_b32 v0, s67, v0
	v_cmp_eq_u32_e32 vcc, 0, v0
	s_waitcnt vmcnt(0) lgkmcnt(0)
	buffer_wbinvl1_vol
	s_and_saveexec_b64 s[64:65], vcc
	s_cbranch_execz .LBB2_3087
; %bb.3086:                             ;   in Loop: Header=BB2_3056 Depth=2
	s_bcnt1_i32_b64 vcc_lo, s[66:67]
	v_mov_b32_e32 v50, vcc_lo
	ds_add_u64 v0, v[50:51]
	s_trap 2
.LBB2_3087:                             ;   in Loop: Header=BB2_3056 Depth=2
	s_or_b64 exec, exec, s[64:65]
	s_trap 2
	ds_read_b64 v[0:1], v0
	v_accvgpr_read_b32 v2, a14
	v_accvgpr_read_b32 v3, a15
	v_add_co_u32_e32 v2, vcc, v2, v44
	v_addc_co_u32_e32 v3, vcc, 0, v3, vcc
	v_accvgpr_write_b32 a15, v3
	v_accvgpr_write_b32 a14, v2
	s_waitcnt lgkmcnt(0)
	v_cmp_lt_u64_e32 vcc, v[0:1], v[2:3]
	s_and_saveexec_b64 s[64:65], vcc
	s_cbranch_execz .LBB2_3096
; %bb.3088:                             ;   in Loop: Header=BB2_3056 Depth=2
	s_mov_b32 s76, 0
	s_mov_b64 s[66:67], 0
                                        ; implicit-def: $sgpr68_sgpr69
                                        ; implicit-def: $sgpr70_sgpr71
	s_branch .LBB2_3090
.LBB2_3089:                             ;   in Loop: Header=BB2_3090 Depth=3
	s_or_b64 exec, exec, s[74:75]
	s_and_b64 vcc, exec, vcc
	s_or_b64 s[66:67], vcc, s[66:67]
	s_andn2_b64 vcc, s[68:69], exec
	s_and_b64 s[46:47], s[70:71], exec
	s_or_b64 s[68:69], vcc, s[46:47]
	s_andn2_b64 exec, exec, s[66:67]
	s_cbranch_execz .LBB2_3094
.LBB2_3090:                             ;   Parent Loop BB2_47 Depth=1
                                        ;     Parent Loop BB2_3056 Depth=2
                                        ; =>    This Inner Loop Header: Depth=3
	s_add_i32 s76, s76, 1
	s_cmpk_lg_i32 s76, 0x2710
	s_cselect_b64 s[72:73], -1, 0
	s_and_b64 vcc, exec, s[72:73]
                                        ; implicit-def: $sgpr74_sgpr75
	s_cbranch_vccnz .LBB2_3092
; %bb.3091:                             ;   in Loop: Header=BB2_3090 Depth=3
	s_trap 2
	ds_read_b64 v[0:1], v0
	s_andn2_b64 s[72:73], s[72:73], exec
	s_mov_b32 s76, 0
	s_mov_b64 s[74:75], -1
	s_waitcnt lgkmcnt(0)
	flat_load_dword v0, v[0:1] glc
	s_waitcnt vmcnt(0) lgkmcnt(0)
	buffer_invl2
	buffer_wbinvl1_vol
	v_cmp_eq_u32_e32 vcc, 0, v0
	s_and_b64 vcc, vcc, exec
	s_or_b64 s[72:73], s[72:73], vcc
.LBB2_3092:                             ;   in Loop: Header=BB2_3090 Depth=3
	s_andn2_b64 s[70:71], s[70:71], exec
	s_and_b64 s[74:75], s[74:75], exec
	s_mov_b64 vcc, -1
	s_or_b64 s[70:71], s[70:71], s[74:75]
	s_and_saveexec_b64 s[74:75], s[72:73]
	s_cbranch_execz .LBB2_3089
; %bb.3093:                             ;   in Loop: Header=BB2_3090 Depth=3
	s_sleep 1
	s_trap 2
	ds_read_b64 v[0:1], v0
	v_accvgpr_read_b32 v2, a14
	v_accvgpr_read_b32 v3, a15
	s_andn2_b64 s[70:71], s[70:71], exec
	s_waitcnt lgkmcnt(0)
	v_cmp_ge_u64_e32 vcc, v[0:1], v[2:3]
	s_orn2_b64 vcc, vcc, exec
	s_branch .LBB2_3089
.LBB2_3094:                             ;   in Loop: Header=BB2_3056 Depth=2
	s_or_b64 exec, exec, s[66:67]
	s_and_saveexec_b64 vcc, s[68:69]
	s_xor_b64 vcc, exec, vcc
	s_cbranch_execz .LBB2_3096
; %bb.3095:                             ;   in Loop: Header=BB2_3056 Depth=2
	v_mov_b32_e32 v0, 1
	ds_write_b32 v0, v0
	s_trap 2
.LBB2_3096:                             ;   in Loop: Header=BB2_3056 Depth=2
	s_or_b64 exec, exec, s[64:65]
	;;#ASMSTART
	s_wakeup
	;;#ASMEND
.LBB2_3097:                             ;   in Loop: Header=BB2_3056 Depth=2
	s_or_b64 exec, exec, s[34:35]
.LBB2_3098:                             ;   in Loop: Header=BB2_3056 Depth=2
	s_andn2_saveexec_b64 vcc, s[30:31]
	s_cbranch_execz .LBB2_3100
; %bb.3099:                             ;   in Loop: Header=BB2_3056 Depth=2
	s_waitcnt vmcnt(0) lgkmcnt(0)
	buffer_wbinvl1_vol
	s_barrier
.LBB2_3100:                             ;   in Loop: Header=BB2_3056 Depth=2
	s_or_b64 exec, exec, vcc
.LBB2_3101:                             ;   in Loop: Header=BB2_3056 Depth=2
	s_or_b64 exec, exec, s[28:29]
	s_trap 2
	ds_read_b32 v0, v0
	v_and_b32_e32 v1, 0x4000, v60
	v_cmp_ne_u32_e32 vcc, 0, v1
	s_xor_b64 s[28:29], s[6:7], -1
	s_and_b64 vcc, s[28:29], vcc
	s_and_saveexec_b64 s[28:29], vcc
	s_cbranch_execz .LBB2_3120
; %bb.3102:                             ;   in Loop: Header=BB2_3056 Depth=2
	s_and_saveexec_b64 vcc, s[44:45]
	s_xor_b64 s[30:31], exec, vcc
	s_cbranch_execz .LBB2_3117
; %bb.3103:                             ;   in Loop: Header=BB2_3056 Depth=2
	s_and_saveexec_b64 s[34:35], s[16:17]
	s_cbranch_execz .LBB2_3116
; %bb.3104:                             ;   in Loop: Header=BB2_3056 Depth=2
	s_mov_b64 s[66:67], exec
	v_mbcnt_lo_u32_b32 v1, s66, 0
	v_mbcnt_hi_u32_b32 v1, s67, v1
	v_cmp_eq_u32_e32 vcc, 0, v1
	s_waitcnt vmcnt(0) lgkmcnt(0)
	buffer_wbinvl1_vol
	s_and_saveexec_b64 s[64:65], vcc
	s_cbranch_execz .LBB2_3106
; %bb.3105:                             ;   in Loop: Header=BB2_3056 Depth=2
	s_bcnt1_i32_b64 vcc_lo, s[66:67]
	v_mov_b32_e32 v50, vcc_lo
	ds_add_u64 v0, v[50:51]
	s_trap 2
.LBB2_3106:                             ;   in Loop: Header=BB2_3056 Depth=2
	s_or_b64 exec, exec, s[64:65]
	s_trap 2
	ds_read_b64 v[2:3], v0
	v_accvgpr_read_b32 v4, a14
	v_accvgpr_read_b32 v5, a15
	v_add_co_u32_e32 v4, vcc, v4, v44
	v_addc_co_u32_e32 v5, vcc, 0, v5, vcc
	v_accvgpr_write_b32 a15, v5
	v_accvgpr_write_b32 a14, v4
	s_waitcnt lgkmcnt(0)
	v_cmp_lt_u64_e32 vcc, v[2:3], v[4:5]
	s_and_saveexec_b64 s[64:65], vcc
	s_cbranch_execz .LBB2_3115
; %bb.3107:                             ;   in Loop: Header=BB2_3056 Depth=2
	s_mov_b32 s76, 0
	s_mov_b64 s[66:67], 0
                                        ; implicit-def: $sgpr68_sgpr69
                                        ; implicit-def: $sgpr70_sgpr71
	s_branch .LBB2_3109
.LBB2_3108:                             ;   in Loop: Header=BB2_3109 Depth=3
	s_or_b64 exec, exec, s[74:75]
	s_and_b64 vcc, exec, vcc
	s_or_b64 s[66:67], vcc, s[66:67]
	s_andn2_b64 vcc, s[68:69], exec
	s_and_b64 s[46:47], s[70:71], exec
	s_or_b64 s[68:69], vcc, s[46:47]
	s_andn2_b64 exec, exec, s[66:67]
	s_cbranch_execz .LBB2_3113
.LBB2_3109:                             ;   Parent Loop BB2_47 Depth=1
                                        ;     Parent Loop BB2_3056 Depth=2
                                        ; =>    This Inner Loop Header: Depth=3
	s_add_i32 s76, s76, 1
	s_cmpk_lg_i32 s76, 0x2710
	s_cselect_b64 s[72:73], -1, 0
	s_and_b64 vcc, exec, s[72:73]
                                        ; implicit-def: $sgpr74_sgpr75
	s_cbranch_vccnz .LBB2_3111
; %bb.3110:                             ;   in Loop: Header=BB2_3109 Depth=3
	s_trap 2
	ds_read_b64 v[2:3], v0
	s_andn2_b64 s[72:73], s[72:73], exec
	s_mov_b32 s76, 0
	s_mov_b64 s[74:75], -1
	s_waitcnt lgkmcnt(0)
	flat_load_dword v1, v[2:3] glc
	s_waitcnt vmcnt(0) lgkmcnt(0)
	buffer_invl2
	buffer_wbinvl1_vol
	v_cmp_eq_u32_e32 vcc, 0, v1
	s_and_b64 vcc, vcc, exec
	s_or_b64 s[72:73], s[72:73], vcc
.LBB2_3111:                             ;   in Loop: Header=BB2_3109 Depth=3
	s_andn2_b64 s[70:71], s[70:71], exec
	s_and_b64 s[74:75], s[74:75], exec
	s_mov_b64 vcc, -1
	s_or_b64 s[70:71], s[70:71], s[74:75]
	s_and_saveexec_b64 s[74:75], s[72:73]
	s_cbranch_execz .LBB2_3108
; %bb.3112:                             ;   in Loop: Header=BB2_3109 Depth=3
	s_sleep 1
	s_trap 2
	ds_read_b64 v[2:3], v0
	v_accvgpr_read_b32 v4, a14
	v_accvgpr_read_b32 v5, a15
	s_andn2_b64 s[70:71], s[70:71], exec
	s_waitcnt lgkmcnt(0)
	v_cmp_ge_u64_e32 vcc, v[2:3], v[4:5]
	s_orn2_b64 vcc, vcc, exec
	s_branch .LBB2_3108
.LBB2_3113:                             ;   in Loop: Header=BB2_3056 Depth=2
	s_or_b64 exec, exec, s[66:67]
	s_and_saveexec_b64 vcc, s[68:69]
	s_xor_b64 vcc, exec, vcc
	s_cbranch_execz .LBB2_3115
; %bb.3114:                             ;   in Loop: Header=BB2_3056 Depth=2
	v_mov_b32_e32 v1, 1
	ds_write_b32 v0, v1
	s_trap 2
.LBB2_3115:                             ;   in Loop: Header=BB2_3056 Depth=2
	s_or_b64 exec, exec, s[64:65]
	;;#ASMSTART
	s_wakeup
	;;#ASMEND
.LBB2_3116:                             ;   in Loop: Header=BB2_3056 Depth=2
	s_or_b64 exec, exec, s[34:35]
.LBB2_3117:                             ;   in Loop: Header=BB2_3056 Depth=2
	s_andn2_saveexec_b64 vcc, s[30:31]
	s_cbranch_execz .LBB2_3119
; %bb.3118:                             ;   in Loop: Header=BB2_3056 Depth=2
	s_waitcnt vmcnt(0) lgkmcnt(0)
	buffer_wbinvl1_vol
	s_barrier
.LBB2_3119:                             ;   in Loop: Header=BB2_3056 Depth=2
	s_or_b64 exec, exec, vcc
.LBB2_3120:                             ;   in Loop: Header=BB2_3056 Depth=2
	s_or_b64 exec, exec, s[28:29]
	s_trap 2
	s_waitcnt lgkmcnt(0)
	ds_read_b64 v[2:3], v0
	v_mov_b32_e32 v1, 0
	buffer_store_dword v1, off, s[0:3], s33 offset:172 ; 4-byte Folded Spill
	s_waitcnt lgkmcnt(0)
	v_readfirstlane_b32 s28, v2
	v_readfirstlane_b32 s29, v3
	s_cmp_eq_u64 s[28:29], 0
	s_cselect_b64 s[28:29], -1, 0
	s_or_b64 s[28:29], s[28:29], s[28:29]
	s_and_b64 vcc, exec, s[28:29]
	s_cbranch_vccnz .LBB2_3129
; %bb.3121:                             ;   in Loop: Header=BB2_3056 Depth=2
	s_trap 2
	ds_read_b64 v[2:3], v0
	v_cmp_eq_u32_e32 vcc, 0, v0
	v_accvgpr_read_b32 v0, a56
	v_cndmask_b32_e32 v0, 0, v0, vcc
	buffer_store_dword v0, off, s[0:3], s33 offset:172 ; 4-byte Folded Spill
	s_waitcnt lgkmcnt(0)
	v_cmp_ne_u64_e32 vcc, 0, v[2:3]
	v_readfirstlane_b32 s82, v2
	s_cbranch_vccz .LBB2_3141
; %bb.3122:                             ;   in Loop: Header=BB2_3056 Depth=2
	s_mov_b64 s[30:31], -1
	s_and_saveexec_b64 s[28:29], s[22:23]
	s_cbranch_execz .LBB2_3124
; %bb.3123:                             ;   in Loop: Header=BB2_3056 Depth=2
	ds_read_b32 v0, v0 offset:720
	s_waitcnt lgkmcnt(0)
	v_and_b32_e32 v0, 15, v0
	v_cmp_eq_u32_e32 vcc, 0, v0
	s_orn2_b64 s[30:31], vcc, exec
.LBB2_3124:                             ;   in Loop: Header=BB2_3056 Depth=2
	s_or_b64 exec, exec, s[28:29]
	s_and_saveexec_b64 s[28:29], s[22:23]
	s_cbranch_execz .LBB2_3126
; %bb.3125:                             ;   in Loop: Header=BB2_3056 Depth=2
	ds_read_b32 v0, v0 offset:784
	s_waitcnt lgkmcnt(0)
	v_and_b32_e32 v0, 15, v0
	v_cmp_eq_u32_e32 vcc, 0, v0
	s_and_b64 vcc, s[30:31], vcc
	s_andn2_b64 s[30:31], s[30:31], exec
	s_and_b64 vcc, vcc, exec
	s_or_b64 s[30:31], s[30:31], vcc
.LBB2_3126:                             ;   in Loop: Header=BB2_3056 Depth=2
	s_or_b64 exec, exec, s[28:29]
	s_xor_b64 vcc, s[30:31], -1
	v_cndmask_b32_e64 v0, 0, 1, vcc
	;;#ASMSTART
	;;#ASMEND
	buffer_load_dword v30, off, s[0:3], s33 offset:172 ; 4-byte Folded Reload
	s_mov_b64 s[28:29], -1
	v_cmp_ne_u32_e32 vcc, 0, v0
	v_mov_b32_e32 v7, 0
	v_mov_b32_e32 v31, v40
	v_accvgpr_read_b32 v0, a31
	s_cbranch_vccz .LBB2_3142
; %bb.3127:                             ;   in Loop: Header=BB2_3056 Depth=2
	s_and_saveexec_b64 s[64:65], s[28:29]
	s_cbranch_execnz .LBB2_5495
.LBB2_3128:                             ;   in Loop: Header=BB2_3056 Depth=2
	s_or_b64 exec, exec, s[64:65]
.LBB2_3129:                             ;   in Loop: Header=BB2_3056 Depth=2
	s_and_saveexec_b64 s[28:29], s[10:11]
	s_cbranch_execz .LBB2_4688
.LBB2_3130:                             ;   in Loop: Header=BB2_3056 Depth=2
	s_and_saveexec_b64 vcc, s[44:45]
	s_xor_b64 s[30:31], exec, vcc
	s_cbranch_execz .LBB2_4685
; %bb.3131:                             ;   in Loop: Header=BB2_3056 Depth=2
	s_and_saveexec_b64 s[34:35], s[16:17]
	s_cbranch_execz .LBB2_4684
; %bb.3132:                             ;   in Loop: Header=BB2_3056 Depth=2
	s_mov_b64 s[66:67], exec
	v_mbcnt_lo_u32_b32 v0, s66, 0
	v_mbcnt_hi_u32_b32 v0, s67, v0
	v_cmp_eq_u32_e32 vcc, 0, v0
	s_waitcnt vmcnt(0) lgkmcnt(0)
	buffer_wbinvl1_vol
	s_and_saveexec_b64 s[64:65], vcc
	s_cbranch_execz .LBB2_3134
; %bb.3133:                             ;   in Loop: Header=BB2_3056 Depth=2
	s_bcnt1_i32_b64 vcc_lo, s[66:67]
	v_mov_b32_e32 v50, vcc_lo
	ds_add_u64 v0, v[50:51]
	s_trap 2
.LBB2_3134:                             ;   in Loop: Header=BB2_3056 Depth=2
	s_or_b64 exec, exec, s[64:65]
	s_trap 2
	ds_read_b64 v[0:1], v0
	v_accvgpr_read_b32 v2, a14
	v_accvgpr_read_b32 v3, a15
	v_add_co_u32_e32 v2, vcc, v2, v44
	v_addc_co_u32_e32 v3, vcc, 0, v3, vcc
	v_accvgpr_write_b32 a15, v3
	v_accvgpr_write_b32 a14, v2
	s_waitcnt lgkmcnt(0)
	v_cmp_lt_u64_e32 vcc, v[0:1], v[2:3]
	s_and_saveexec_b64 s[64:65], vcc
	s_cbranch_execz .LBB2_4683
; %bb.3135:                             ;   in Loop: Header=BB2_3056 Depth=2
	s_mov_b32 s76, 0
	s_mov_b64 s[66:67], 0
                                        ; implicit-def: $sgpr68_sgpr69
                                        ; implicit-def: $sgpr70_sgpr71
	s_branch .LBB2_3137
.LBB2_3136:                             ;   in Loop: Header=BB2_3137 Depth=3
	s_or_b64 exec, exec, s[74:75]
	s_and_b64 vcc, exec, vcc
	s_or_b64 s[66:67], vcc, s[66:67]
	s_andn2_b64 vcc, s[68:69], exec
	s_and_b64 s[46:47], s[70:71], exec
	s_or_b64 s[68:69], vcc, s[46:47]
	s_andn2_b64 exec, exec, s[66:67]
	s_cbranch_execz .LBB2_4681
.LBB2_3137:                             ;   Parent Loop BB2_47 Depth=1
                                        ;     Parent Loop BB2_3056 Depth=2
                                        ; =>    This Inner Loop Header: Depth=3
	s_add_i32 s76, s76, 1
	s_cmpk_lg_i32 s76, 0x2710
	s_cselect_b64 s[72:73], -1, 0
	s_and_b64 vcc, exec, s[72:73]
                                        ; implicit-def: $sgpr74_sgpr75
	s_cbranch_vccnz .LBB2_3139
; %bb.3138:                             ;   in Loop: Header=BB2_3137 Depth=3
	s_trap 2
	ds_read_b64 v[0:1], v0
	s_andn2_b64 s[72:73], s[72:73], exec
	s_mov_b32 s76, 0
	s_mov_b64 s[74:75], -1
	s_waitcnt lgkmcnt(0)
	flat_load_dword v0, v[0:1] glc
	s_waitcnt vmcnt(0) lgkmcnt(0)
	buffer_invl2
	buffer_wbinvl1_vol
	v_cmp_eq_u32_e32 vcc, 0, v0
	s_and_b64 vcc, vcc, exec
	s_or_b64 s[72:73], s[72:73], vcc
.LBB2_3139:                             ;   in Loop: Header=BB2_3137 Depth=3
	s_andn2_b64 s[70:71], s[70:71], exec
	s_and_b64 s[74:75], s[74:75], exec
	s_mov_b64 vcc, -1
	s_or_b64 s[70:71], s[70:71], s[74:75]
	s_and_saveexec_b64 s[74:75], s[72:73]
	s_cbranch_execz .LBB2_3136
; %bb.3140:                             ;   in Loop: Header=BB2_3137 Depth=3
	s_sleep 1
	s_trap 2
	ds_read_b64 v[0:1], v0
	v_accvgpr_read_b32 v2, a14
	v_accvgpr_read_b32 v3, a15
	s_andn2_b64 s[70:71], s[70:71], exec
	s_waitcnt lgkmcnt(0)
	v_cmp_ge_u64_e32 vcc, v[0:1], v[2:3]
	s_orn2_b64 vcc, vcc, exec
	s_branch .LBB2_3136
.LBB2_3141:                             ;   in Loop: Header=BB2_3056 Depth=2
	s_cbranch_execnz .LBB2_5766
	s_branch .LBB2_3129
.LBB2_3142:                             ;   in Loop: Header=BB2_3056 Depth=2
	buffer_load_dword v1, off, s[0:3], s33 offset:172 ; 4-byte Folded Reload
	s_waitcnt vmcnt(0)
	v_ashrrev_i32_e32 v0, 31, v1
	v_lshrrev_b32_e32 v0, 21, v0
	v_add_u32_e32 v0, v1, v0
	v_ashrrev_i32_e32 v1, 11, v0
	v_accvgpr_read_b32 v0, a31
	v_sub_u32_e32 v3, v1, v0
	v_cmp_lt_i32_e32 vcc, 0, v3
	s_and_saveexec_b64 s[34:35], vcc
	s_cbranch_execz .LBB2_4716
; %bb.3143:                             ;   in Loop: Header=BB2_3056 Depth=2
	s_trap 2
	ds_read_b128 v[4:7], v0
	v_accvgpr_read_b32 v0, a44
	v_accvgpr_write_b32 a60, v1
	v_accvgpr_read_b32 v1, a45
	s_bitcmp1_b32 s82, 0
	s_waitcnt lgkmcnt(0)
	v_add_co_u32_e32 v4, vcc, v4, v0
	v_addc_co_u32_e32 v5, vcc, v5, v1, vcc
	v_add_co_u32_e32 v42, vcc, v6, v0
	v_addc_co_u32_e32 v43, vcc, v7, v1, vcc
	s_mov_b64 s[64:65], 0
	s_cselect_b64 s[66:67], -1, 0
	v_pk_mov_b32 v[40:41], v[4:5], v[4:5] op_sel:[0,1]
	v_pk_mov_b32 v[58:59], v[42:43], v[42:43] op_sel:[0,1]
	s_branch .LBB2_3145
.LBB2_3144:                             ;   in Loop: Header=BB2_3145 Depth=3
	s_or_b64 exec, exec, s[28:29]
	v_lshlrev_b32_e32 v9, 16, v52
	v_lshlrev_b32_e32 v1, 8, v1
	v_perm_b32 v9, v20, v9, s81
	v_perm_b32 v1, v1, v46, s9
	v_accvgpr_read_b32 v10, a61
	v_or_b32_e32 v37, v9, v1
	v_and_b32_e32 v1, 0xff, v44
	v_lshlrev_b32_e32 v10, 8, v10
	v_lshlrev_b32_e32 v9, 24, v55
	;; [unrolled: 1-line block ×3, first 2 shown]
	v_perm_b32 v10, v10, v36, s9
	v_or3_b32 v36, v9, v1, v10
	v_and_b32_e32 v1, 0xff, v45
	v_lshlrev_b32_e32 v10, 8, v53
	v_lshlrev_b32_e32 v9, 24, v38
	;; [unrolled: 1-line block ×3, first 2 shown]
	v_perm_b32 v10, v10, v21, s9
	v_or3_b32 v38, v9, v1, v10
	v_lshlrev_b32_e32 v1, 8, v6
	v_lshlrev_b32_e32 v6, 16, v54
	v_perm_b32 v1, v1, v39, s9
	v_perm_b32 v6, v18, v6, s81
	v_or_b32_e32 v39, v6, v1
	v_lshlrev_b32_e32 v1, 16, v17
	v_lshlrev_b32_e32 v6, 8, v16
	v_perm_b32 v1, v26, v1, s81
	v_perm_b32 v6, v6, v57, s9
	v_or_b32_e32 v11, v1, v6
	v_and_b32_e32 v1, 0xff, v23
	v_lshlrev_b32_e32 v6, 8, v22
	v_lshlrev_b32_e32 v2, 24, v2
	;; [unrolled: 1-line block ×3, first 2 shown]
	v_perm_b32 v6, v6, v19, s9
	v_or3_b32 v10, v2, v1, v6
	v_and_b32_e32 v1, 0xff, v7
	v_lshlrev_b32_e32 v6, 8, v31
	v_lshlrev_b32_e32 v2, 24, v30
	;; [unrolled: 1-line block ×3, first 2 shown]
	v_perm_b32 v6, v6, v27, s9
	v_or3_b32 v12, v2, v1, v6
	v_lshlrev_b32_e32 v1, 8, v13
	v_perm_b32 v0, v1, v0, s9
	v_lshlrev_b32_e32 v1, 16, v14
	v_perm_b32 v1, v8, v1, s81
	v_or_b32_e32 v13, v1, v0
	v_accvgpr_read_b32 v0, a38
	v_add_co_u32_e32 v4, vcc, v4, v0
	v_accvgpr_read_b32 v1, a39
	v_addc_co_u32_e32 v5, vcc, v5, v1, vcc
	v_add_co_u32_e32 v42, vcc, v42, v0
	v_addc_co_u32_e32 v43, vcc, v43, v1, vcc
	global_store_dwordx4 v[40:41], v[36:39], off glc slc
	global_store_dwordx4 v[40:41], v[10:13], off offset:1024 glc slc
	global_store_dwordx4 v[58:59], v[36:39], off glc slc
	global_store_dwordx4 v[58:59], v[10:13], off offset:1024 glc slc
	v_add_co_u32_e32 v40, vcc, v40, v0
	v_accvgpr_read_b32 v44, a22
	v_addc_co_u32_e32 v41, vcc, v41, v1, vcc
	v_sub_u32_e32 v3, v3, v44
	v_cmp_gt_i32_e32 vcc, 1, v3
	s_or_b64 s[64:65], vcc, s[64:65]
	v_add_co_u32_e32 v58, vcc, v58, v0
	v_addc_co_u32_e32 v59, vcc, v59, v1, vcc
	s_andn2_b64 exec, exec, s[64:65]
	s_cbranch_execz .LBB2_4715
.LBB2_3145:                             ;   Parent Loop BB2_47 Depth=1
                                        ;     Parent Loop BB2_3056 Depth=2
                                        ; =>    This Inner Loop Header: Depth=3
	global_load_dwordx4 v[20:23], v[4:5], off glc slc
	global_load_dwordx4 v[26:29], v[4:5], off offset:1024 glc slc
	global_load_dwordx4 v[16:19], v[42:43], off glc slc
	global_load_dwordx4 v[8:11], v[42:43], off offset:1024 glc slc
	s_and_b64 vcc, exec, s[66:67]
	s_waitcnt vmcnt(3)
	v_cmp_ne_u16_sdwa s[28:29], v20, v51 src0_sel:BYTE_0 src1_sel:DWORD
	s_cbranch_vccz .LBB2_3163
; %bb.3146:                             ;   in Loop: Header=BB2_3145 Depth=3
	v_mov_b32_e32 v1, 0
	v_mov_b32_e32 v0, 0
	s_and_saveexec_b64 s[30:31], s[28:29]
	s_cbranch_execz .LBB2_3154
; %bb.3147:                             ;   in Loop: Header=BB2_3145 Depth=3
	v_cmp_ne_u16_sdwa vcc, sext(v20), s94 src0_sel:BYTE_0 src1_sel:DWORD
	v_bfrev_b32_e32 v0, 1
	s_and_saveexec_b64 s[68:69], vcc
	s_cbranch_execz .LBB2_3153
; %bb.3148:                             ;   in Loop: Header=BB2_3145 Depth=3
	v_and_b32_e32 v0, 0x7c, v20
	v_and_b32_e32 v2, 3, v20
	v_cmp_ne_u32_e32 vcc, s95, v0
                                        ; implicit-def: $vgpr0
	s_and_saveexec_b64 s[70:71], vcc
	s_xor_b64 s[70:71], exec, s[70:71]
	s_cbranch_execz .LBB2_3150
; %bb.3149:                             ;   in Loop: Header=BB2_3145 Depth=3
	v_ffbh_u32_e32 v6, v2
	v_min_u32_e32 v12, 32, v6
	v_subrev_u32_e32 v6, 29, v12
	v_bfe_u32 v0, v20, 2, 5
	v_lshlrev_b64 v[6:7], v6, v[20:21]
	v_sub_u32_e32 v7, 30, v12
	v_cmp_eq_u32_e32 vcc, 0, v0
	v_and_b32_e32 v6, 3, v6
	v_cndmask_b32_e32 v0, v0, v7, vcc
	v_bfrev_b32_e32 v7, 28
	v_cndmask_b32_e32 v2, v2, v6, vcc
	v_lshlrev_b32_e32 v6, 24, v20
	v_lshl_add_u32 v0, v0, 23, v7
	v_and_or_b32 v0, v6, s96, v0
	v_lshl_or_b32 v0, v2, 21, v0
                                        ; implicit-def: $vgpr2
.LBB2_3150:                             ;   in Loop: Header=BB2_3145 Depth=3
	s_andn2_saveexec_b64 s[70:71], s[70:71]
; %bb.3151:                             ;   in Loop: Header=BB2_3145 Depth=3
	v_mov_b32_e32 v0, -1
	v_cmp_gt_i16_sdwa vcc, sext(v20), v0 src0_sel:BYTE_0 src1_sel:DWORD
	v_mov_b32_e32 v0, 0xc7600000
	v_mov_b32_e32 v6, 0x47600000
	v_cndmask_b32_e32 v0, v0, v6, vcc
	v_cmp_eq_u32_e32 vcc, 0, v2
	v_mov_b32_e32 v2, 0x7f800001
	v_cndmask_b32_e32 v0, v2, v0, vcc
; %bb.3152:                             ;   in Loop: Header=BB2_3145 Depth=3
	s_or_b64 exec, exec, s[70:71]
.LBB2_3153:                             ;   in Loop: Header=BB2_3145 Depth=3
	s_or_b64 exec, exec, s[68:69]
.LBB2_3154:                             ;   in Loop: Header=BB2_3145 Depth=3
	s_or_b64 exec, exec, s[30:31]
	s_waitcnt vmcnt(1)
	v_cmp_ne_u16_sdwa vcc, sext(v16), v51 src0_sel:BYTE_0 src1_sel:DWORD
	s_and_saveexec_b64 s[30:31], vcc
	s_cbranch_execz .LBB2_3162
; %bb.3155:                             ;   in Loop: Header=BB2_3145 Depth=3
	v_cmp_ne_u16_sdwa vcc, sext(v16), s94 src0_sel:BYTE_0 src1_sel:DWORD
	v_bfrev_b32_e32 v1, 1
	s_and_saveexec_b64 s[68:69], vcc
	s_cbranch_execz .LBB2_3161
; %bb.3156:                             ;   in Loop: Header=BB2_3145 Depth=3
	v_and_b32_e32 v1, 0x7c, v16
	v_and_b32_e32 v2, 3, v16
	v_cmp_ne_u32_e32 vcc, s95, v1
                                        ; implicit-def: $vgpr1
	s_and_saveexec_b64 s[70:71], vcc
	s_xor_b64 s[70:71], exec, s[70:71]
	s_cbranch_execz .LBB2_3158
; %bb.3157:                             ;   in Loop: Header=BB2_3145 Depth=3
	v_ffbh_u32_e32 v6, v2
	v_min_u32_e32 v12, 32, v6
	v_subrev_u32_e32 v6, 29, v12
	v_bfe_u32 v1, v16, 2, 5
	v_lshlrev_b64 v[6:7], v6, v[16:17]
	v_sub_u32_e32 v7, 30, v12
	v_cmp_eq_u32_e32 vcc, 0, v1
	v_and_b32_e32 v6, 3, v6
	v_cndmask_b32_e32 v1, v1, v7, vcc
	v_bfrev_b32_e32 v7, 28
	v_cndmask_b32_e32 v2, v2, v6, vcc
	v_lshlrev_b32_e32 v6, 24, v16
	v_lshl_add_u32 v1, v1, 23, v7
	v_and_or_b32 v1, v6, s96, v1
	v_lshl_or_b32 v1, v2, 21, v1
                                        ; implicit-def: $vgpr2
.LBB2_3158:                             ;   in Loop: Header=BB2_3145 Depth=3
	s_andn2_saveexec_b64 s[70:71], s[70:71]
; %bb.3159:                             ;   in Loop: Header=BB2_3145 Depth=3
	v_mov_b32_e32 v1, -1
	v_cmp_gt_i16_sdwa vcc, sext(v16), v1 src0_sel:BYTE_0 src1_sel:DWORD
	v_mov_b32_e32 v1, 0xc7600000
	v_mov_b32_e32 v6, 0x47600000
	v_cndmask_b32_e32 v1, v1, v6, vcc
	v_cmp_eq_u32_e32 vcc, 0, v2
	v_mov_b32_e32 v2, 0x7f800001
	v_cndmask_b32_e32 v1, v2, v1, vcc
; %bb.3160:                             ;   in Loop: Header=BB2_3145 Depth=3
	s_or_b64 exec, exec, s[70:71]
.LBB2_3161:                             ;   in Loop: Header=BB2_3145 Depth=3
	s_or_b64 exec, exec, s[68:69]
.LBB2_3162:                             ;   in Loop: Header=BB2_3145 Depth=3
	s_or_b64 exec, exec, s[30:31]
	v_max_f32_e32 v1, v1, v1
	v_max_f32_e32 v0, v0, v0
	;; [unrolled: 1-line block ×3, first 2 shown]
	s_branch .LBB2_3181
.LBB2_3163:                             ;   in Loop: Header=BB2_3145 Depth=3
                                        ; implicit-def: $vgpr1
	s_cbranch_execz .LBB2_3181
; %bb.3164:                             ;   in Loop: Header=BB2_3145 Depth=3
	v_mov_b32_e32 v1, 0
	v_mov_b32_e32 v0, 0
	s_and_saveexec_b64 s[30:31], s[28:29]
	s_cbranch_execz .LBB2_3172
; %bb.3165:                             ;   in Loop: Header=BB2_3145 Depth=3
	v_cmp_ne_u16_sdwa vcc, sext(v20), s94 src0_sel:BYTE_0 src1_sel:DWORD
	v_bfrev_b32_e32 v0, 1
	s_and_saveexec_b64 s[28:29], vcc
	s_cbranch_execz .LBB2_3171
; %bb.3166:                             ;   in Loop: Header=BB2_3145 Depth=3
	v_and_b32_e32 v0, 0x7c, v20
	v_and_b32_e32 v2, 3, v20
	v_cmp_ne_u32_e32 vcc, s95, v0
                                        ; implicit-def: $vgpr0
	s_and_saveexec_b64 s[68:69], vcc
	s_xor_b64 s[68:69], exec, s[68:69]
	s_cbranch_execz .LBB2_3168
; %bb.3167:                             ;   in Loop: Header=BB2_3145 Depth=3
	v_ffbh_u32_e32 v6, v2
	v_min_u32_e32 v12, 32, v6
	v_subrev_u32_e32 v6, 29, v12
	v_bfe_u32 v0, v20, 2, 5
	v_lshlrev_b64 v[6:7], v6, v[20:21]
	v_sub_u32_e32 v7, 30, v12
	v_cmp_eq_u32_e32 vcc, 0, v0
	v_and_b32_e32 v6, 3, v6
	v_cndmask_b32_e32 v0, v0, v7, vcc
	v_bfrev_b32_e32 v7, 28
	v_cndmask_b32_e32 v2, v2, v6, vcc
	v_lshlrev_b32_e32 v6, 24, v20
	v_lshl_add_u32 v0, v0, 23, v7
	v_and_or_b32 v0, v6, s96, v0
	v_lshl_or_b32 v0, v2, 21, v0
                                        ; implicit-def: $vgpr2
.LBB2_3168:                             ;   in Loop: Header=BB2_3145 Depth=3
	s_andn2_saveexec_b64 s[68:69], s[68:69]
; %bb.3169:                             ;   in Loop: Header=BB2_3145 Depth=3
	v_mov_b32_e32 v0, -1
	v_cmp_gt_i16_sdwa vcc, sext(v20), v0 src0_sel:BYTE_0 src1_sel:DWORD
	v_mov_b32_e32 v0, 0xc7600000
	v_mov_b32_e32 v6, 0x47600000
	v_cndmask_b32_e32 v0, v0, v6, vcc
	v_cmp_eq_u32_e32 vcc, 0, v2
	v_mov_b32_e32 v2, 0x7f800001
	v_cndmask_b32_e32 v0, v2, v0, vcc
; %bb.3170:                             ;   in Loop: Header=BB2_3145 Depth=3
	s_or_b64 exec, exec, s[68:69]
.LBB2_3171:                             ;   in Loop: Header=BB2_3145 Depth=3
	s_or_b64 exec, exec, s[28:29]
.LBB2_3172:                             ;   in Loop: Header=BB2_3145 Depth=3
	s_or_b64 exec, exec, s[30:31]
	s_waitcnt vmcnt(1)
	v_cmp_ne_u16_sdwa vcc, sext(v16), v51 src0_sel:BYTE_0 src1_sel:DWORD
	s_and_saveexec_b64 s[28:29], vcc
	s_cbranch_execz .LBB2_3180
; %bb.3173:                             ;   in Loop: Header=BB2_3145 Depth=3
	v_cmp_ne_u16_sdwa vcc, sext(v16), s94 src0_sel:BYTE_0 src1_sel:DWORD
	v_bfrev_b32_e32 v1, 1
	s_and_saveexec_b64 s[30:31], vcc
	s_cbranch_execz .LBB2_3179
; %bb.3174:                             ;   in Loop: Header=BB2_3145 Depth=3
	v_and_b32_e32 v1, 0x7c, v16
	v_and_b32_e32 v2, 3, v16
	v_cmp_ne_u32_e32 vcc, s95, v1
                                        ; implicit-def: $vgpr1
	s_and_saveexec_b64 s[68:69], vcc
	s_xor_b64 s[68:69], exec, s[68:69]
	s_cbranch_execz .LBB2_3176
; %bb.3175:                             ;   in Loop: Header=BB2_3145 Depth=3
	v_ffbh_u32_e32 v6, v2
	v_min_u32_e32 v12, 32, v6
	v_subrev_u32_e32 v6, 29, v12
	v_bfe_u32 v1, v16, 2, 5
	v_lshlrev_b64 v[6:7], v6, v[16:17]
	v_sub_u32_e32 v7, 30, v12
	v_cmp_eq_u32_e32 vcc, 0, v1
	v_and_b32_e32 v6, 3, v6
	v_cndmask_b32_e32 v1, v1, v7, vcc
	v_bfrev_b32_e32 v7, 28
	v_cndmask_b32_e32 v2, v2, v6, vcc
	v_lshlrev_b32_e32 v6, 24, v16
	v_lshl_add_u32 v1, v1, 23, v7
	v_and_or_b32 v1, v6, s96, v1
	v_lshl_or_b32 v1, v2, 21, v1
                                        ; implicit-def: $vgpr2
.LBB2_3176:                             ;   in Loop: Header=BB2_3145 Depth=3
	s_andn2_saveexec_b64 s[68:69], s[68:69]
; %bb.3177:                             ;   in Loop: Header=BB2_3145 Depth=3
	v_mov_b32_e32 v1, -1
	v_cmp_gt_i16_sdwa vcc, sext(v16), v1 src0_sel:BYTE_0 src1_sel:DWORD
	v_mov_b32_e32 v1, 0xc7600000
	v_mov_b32_e32 v6, 0x47600000
	v_cndmask_b32_e32 v1, v1, v6, vcc
	v_cmp_eq_u32_e32 vcc, 0, v2
	v_mov_b32_e32 v2, 0x7f800001
	v_cndmask_b32_e32 v1, v2, v1, vcc
; %bb.3178:                             ;   in Loop: Header=BB2_3145 Depth=3
	s_or_b64 exec, exec, s[68:69]
.LBB2_3179:                             ;   in Loop: Header=BB2_3145 Depth=3
	s_or_b64 exec, exec, s[30:31]
.LBB2_3180:                             ;   in Loop: Header=BB2_3145 Depth=3
	s_or_b64 exec, exec, s[28:29]
	v_max_f32_e32 v1, v1, v1
	v_max_f32_e32 v0, v0, v0
	v_min_f32_e32 v1, v0, v1
.LBB2_3181:                             ;   in Loop: Header=BB2_3145 Depth=3
	v_and_b32_sdwa v0, v1, s97 dst_sel:DWORD dst_unused:UNUSED_PAD src0_sel:BYTE_3 src1_sel:DWORD
	v_and_b32_e32 v6, 0x7f800000, v1
	v_mov_b32_e32 v7, v51
	v_and_b32_e32 v50, 0x7fffff, v1
	v_or_b32_e32 v36, 0x7b, v0
	v_cmp_ne_u64_e32 vcc, s[52:53], v[6:7]
	s_and_saveexec_b64 s[28:29], vcc
	s_xor_b64 s[30:31], exec, s[28:29]
	s_cbranch_execz .LBB2_3191
; %bb.3182:                             ;   in Loop: Header=BB2_3145 Depth=3
	v_and_b32_e32 v6, 0x7fffffff, v1
	v_mov_b32_e32 v7, v51
	v_cmp_gt_u64_e32 vcc, s[54:55], v[6:7]
	s_and_saveexec_b64 s[68:69], vcc
	s_cbranch_execz .LBB2_3190
; %bb.3183:                             ;   in Loop: Header=BB2_3145 Depth=3
	v_cmp_ne_u32_e32 vcc, 0, v1
	v_mov_b32_e32 v36, 0
	s_and_saveexec_b64 s[70:71], vcc
	s_cbranch_execz .LBB2_3189
; %bb.3184:                             ;   in Loop: Header=BB2_3145 Depth=3
	v_bfe_u32 v1, v1, 23, 8
	v_sub_u32_e32 v6, 0x71, v1
	v_cmp_gt_u32_e32 vcc, s38, v1
	v_add_u32_e32 v2, 0xffffff81, v1
	v_cndmask_b32_e32 v6, 0, v6, vcc
	v_cmp_eq_u32_e32 vcc, 0, v1
	v_mov_b32_e32 v1, 0xffffff82
	v_cndmask_b32_e32 v1, v2, v1, vcc
	v_mov_b32_e32 v2, 0x70
	v_cndmask_b32_e32 v2, v6, v2, vcc
	v_or_b32_e32 v7, 0x800000, v50
	v_add_u32_e32 v6, 21, v2
	v_cndmask_b32_e32 v50, v7, v50, vcc
	v_lshlrev_b64 v[6:7], v6, -1
	v_not_b32_e32 v6, v6
	v_and_b32_e32 v12, v50, v6
	v_add_u32_e32 v6, 20, v2
	v_lshrrev_b64 v[30:31], v2, v[50:51]
	v_not_b32_e32 v7, v7
	v_lshlrev_b64 v[14:15], v6, 1
	v_lshrrev_b32_e32 v6, 23, v30
	v_and_b32_e32 v13, 0, v7
	v_add3_u32 v6, v2, v1, v6
	v_bfe_u32 v1, v30, 21, 1
	v_add_u32_e32 v1, -1, v1
	v_cmp_eq_u64_e32 vcc, v[12:13], v[14:15]
	v_cndmask_b32_e32 v1, 0, v1, vcc
	v_add_u32_e32 v1, v1, v30
	v_and_b32_e32 v1, 0x1fffff, v1
	v_add_co_u32_e32 v12, vcc, v1, v30
	v_add_u32_e32 v2, 14, v6
	v_addc_co_u32_e32 v13, vcc, 0, v31, vcc
	v_cmp_ne_u32_e32 vcc, 0, v2
                                        ; implicit-def: $vgpr1
	s_and_saveexec_b64 s[28:29], vcc
	s_xor_b64 s[28:29], exec, s[28:29]
; %bb.3185:                             ;   in Loop: Header=BB2_3145 Depth=3
	v_add_u32_e32 v1, 15, v6
	v_cmp_lt_u64_e32 vcc, s[56:57], v[12:13]
	v_cndmask_b32_e32 v1, v2, v1, vcc
	v_cndmask_b32_e64 v2, 0, 1, vcc
	v_lshrrev_b64 v[12:13], v2, v[12:13]
; %bb.3186:                             ;   in Loop: Header=BB2_3145 Depth=3
	s_andn2_saveexec_b64 s[28:29], s[28:29]
; %bb.3187:                             ;   in Loop: Header=BB2_3145 Depth=3
	v_bfe_u32 v1, v12, 23, 1
; %bb.3188:                             ;   in Loop: Header=BB2_3145 Depth=3
	s_or_b64 exec, exec, s[28:29]
	v_lshrrev_b64 v[6:7], 21, v[12:13]
	v_cmp_gt_i32_e32 vcc, 32, v1
	v_cndmask_b32_e32 v7, 0, v7, vcc
	v_cndmask_b32_e32 v6, 3, v6, vcc
	v_cmp_eq_u32_e32 vcc, 0, v1
	v_min_i32_e32 v1, 31, v1
	v_cmp_eq_u64_e64 s[28:29], 0, v[6:7]
	v_lshlrev_b32_e32 v1, 2, v1
	v_and_or_b32 v1, v6, 3, v1
	s_and_b64 s[28:29], vcc, s[28:29]
	v_cndmask_b32_e64 v1, v1, 0, s[28:29]
	v_or_b32_e32 v36, v1, v0
.LBB2_3189:                             ;   in Loop: Header=BB2_3145 Depth=3
	s_or_b64 exec, exec, s[70:71]
.LBB2_3190:                             ;   in Loop: Header=BB2_3145 Depth=3
	s_or_b64 exec, exec, s[68:69]
                                        ; implicit-def: $vgpr1
.LBB2_3191:                             ;   in Loop: Header=BB2_3145 Depth=3
	s_andn2_saveexec_b64 s[28:29], s[30:31]
; %bb.3192:                             ;   in Loop: Header=BB2_3145 Depth=3
	v_or_b32_sdwa v0, v1, s39 dst_sel:DWORD dst_unused:UNUSED_PAD src0_sel:BYTE_3 src1_sel:DWORD
	v_cmp_eq_u64_e32 vcc, 0, v[50:51]
	v_cndmask_b32_e32 v36, v0, v36, vcc
; %bb.3193:                             ;   in Loop: Header=BB2_3145 Depth=3
	s_or_b64 exec, exec, s[28:29]
	v_lshrrev_b16_e32 v50, 8, v20
	s_waitcnt vmcnt(1)
	v_lshrrev_b16_e32 v12, 8, v16
	v_cmp_ne_u16_e64 s[28:29], 0, v50
	s_and_b64 vcc, exec, s[66:67]
	s_cbranch_vccz .LBB2_3211
; %bb.3194:                             ;   in Loop: Header=BB2_3145 Depth=3
	v_mov_b32_e32 v1, 0
	v_mov_b32_e32 v0, 0
	s_and_saveexec_b64 s[30:31], s[28:29]
	s_cbranch_execz .LBB2_3202
; %bb.3195:                             ;   in Loop: Header=BB2_3145 Depth=3
	v_cmp_ne_u16_e32 vcc, s97, v50
	v_bfrev_b32_e32 v0, 1
	s_and_saveexec_b64 s[68:69], vcc
	s_cbranch_execz .LBB2_3201
; %bb.3196:                             ;   in Loop: Header=BB2_3145 Depth=3
	v_and_b32_e32 v0, 0x7c, v50
	v_and_b32_e32 v2, 3, v50
	v_cmp_ne_u32_e32 vcc, s95, v0
                                        ; implicit-def: $vgpr0
	s_and_saveexec_b64 s[70:71], vcc
	s_xor_b64 s[70:71], exec, s[70:71]
	s_cbranch_execz .LBB2_3198
; %bb.3197:                             ;   in Loop: Header=BB2_3145 Depth=3
	v_ffbh_u32_e32 v6, v2
	v_min_u32_e32 v13, 32, v6
	v_subrev_u32_e32 v6, 29, v13
	v_bfe_u32 v0, v50, 2, 5
	v_lshlrev_b64 v[6:7], v6, v[50:51]
	v_sub_u32_e32 v7, 30, v13
	v_cmp_eq_u32_e32 vcc, 0, v0
	v_and_b32_e32 v6, 3, v6
	v_cndmask_b32_e32 v0, v0, v7, vcc
	v_bfrev_b32_e32 v7, 28
	v_cndmask_b32_e32 v2, v2, v6, vcc
	v_lshlrev_b32_e32 v6, 16, v20
	v_lshl_add_u32 v0, v0, 23, v7
	v_and_or_b32 v0, v6, s96, v0
	v_lshl_or_b32 v0, v2, 21, v0
                                        ; implicit-def: $vgpr2
.LBB2_3198:                             ;   in Loop: Header=BB2_3145 Depth=3
	s_andn2_saveexec_b64 s[70:71], s[70:71]
; %bb.3199:                             ;   in Loop: Header=BB2_3145 Depth=3
	v_cmp_lt_i16_e32 vcc, -1, v20
	v_mov_b32_e32 v0, 0xc7600000
	v_mov_b32_e32 v6, 0x47600000
	v_cndmask_b32_e32 v0, v0, v6, vcc
	v_cmp_eq_u32_e32 vcc, 0, v2
	v_mov_b32_e32 v2, 0x7f800001
	v_cndmask_b32_e32 v0, v2, v0, vcc
; %bb.3200:                             ;   in Loop: Header=BB2_3145 Depth=3
	s_or_b64 exec, exec, s[70:71]
.LBB2_3201:                             ;   in Loop: Header=BB2_3145 Depth=3
	s_or_b64 exec, exec, s[68:69]
.LBB2_3202:                             ;   in Loop: Header=BB2_3145 Depth=3
	s_or_b64 exec, exec, s[30:31]
	v_cmp_ne_u16_e32 vcc, 0, v12
	s_and_saveexec_b64 s[30:31], vcc
	s_cbranch_execz .LBB2_3210
; %bb.3203:                             ;   in Loop: Header=BB2_3145 Depth=3
	v_cmp_ne_u16_e32 vcc, s97, v12
	v_bfrev_b32_e32 v1, 1
	s_and_saveexec_b64 s[68:69], vcc
	s_cbranch_execz .LBB2_3209
; %bb.3204:                             ;   in Loop: Header=BB2_3145 Depth=3
	v_and_b32_e32 v1, 0x7c, v12
	v_and_b32_e32 v2, 3, v12
	v_cmp_ne_u32_e32 vcc, s95, v1
                                        ; implicit-def: $vgpr1
	s_and_saveexec_b64 s[70:71], vcc
	s_xor_b64 s[70:71], exec, s[70:71]
	s_cbranch_execz .LBB2_3206
; %bb.3205:                             ;   in Loop: Header=BB2_3145 Depth=3
	v_ffbh_u32_e32 v6, v2
	v_min_u32_e32 v14, 32, v6
	v_mov_b32_e32 v13, v51
	v_subrev_u32_e32 v6, 29, v14
	v_bfe_u32 v1, v12, 2, 5
	v_lshlrev_b64 v[6:7], v6, v[12:13]
	v_sub_u32_e32 v7, 30, v14
	v_cmp_eq_u32_e32 vcc, 0, v1
	v_and_b32_e32 v6, 3, v6
	v_cndmask_b32_e32 v1, v1, v7, vcc
	v_bfrev_b32_e32 v7, 28
	v_cndmask_b32_e32 v2, v2, v6, vcc
	v_lshlrev_b32_e32 v6, 16, v16
	v_lshl_add_u32 v1, v1, 23, v7
	v_and_or_b32 v1, v6, s96, v1
	v_lshl_or_b32 v1, v2, 21, v1
                                        ; implicit-def: $vgpr2
.LBB2_3206:                             ;   in Loop: Header=BB2_3145 Depth=3
	s_andn2_saveexec_b64 s[70:71], s[70:71]
; %bb.3207:                             ;   in Loop: Header=BB2_3145 Depth=3
	v_cmp_lt_i16_e32 vcc, -1, v16
	v_mov_b32_e32 v1, 0xc7600000
	v_mov_b32_e32 v6, 0x47600000
	v_cndmask_b32_e32 v1, v1, v6, vcc
	v_cmp_eq_u32_e32 vcc, 0, v2
	v_mov_b32_e32 v2, 0x7f800001
	v_cndmask_b32_e32 v1, v2, v1, vcc
; %bb.3208:                             ;   in Loop: Header=BB2_3145 Depth=3
	s_or_b64 exec, exec, s[70:71]
.LBB2_3209:                             ;   in Loop: Header=BB2_3145 Depth=3
	s_or_b64 exec, exec, s[68:69]
.LBB2_3210:                             ;   in Loop: Header=BB2_3145 Depth=3
	s_or_b64 exec, exec, s[30:31]
	v_max_f32_e32 v1, v1, v1
	v_max_f32_e32 v0, v0, v0
	;; [unrolled: 1-line block ×3, first 2 shown]
	s_branch .LBB2_3229
.LBB2_3211:                             ;   in Loop: Header=BB2_3145 Depth=3
                                        ; implicit-def: $vgpr2
	s_cbranch_execz .LBB2_3229
; %bb.3212:                             ;   in Loop: Header=BB2_3145 Depth=3
	v_mov_b32_e32 v1, 0
	v_mov_b32_e32 v0, 0
	s_and_saveexec_b64 s[30:31], s[28:29]
	s_cbranch_execz .LBB2_3220
; %bb.3213:                             ;   in Loop: Header=BB2_3145 Depth=3
	v_cmp_ne_u16_e32 vcc, s97, v50
	v_bfrev_b32_e32 v0, 1
	s_and_saveexec_b64 s[28:29], vcc
	s_cbranch_execz .LBB2_3219
; %bb.3214:                             ;   in Loop: Header=BB2_3145 Depth=3
	v_and_b32_e32 v0, 0x7c, v50
	v_and_b32_e32 v2, 3, v50
	v_cmp_ne_u32_e32 vcc, s95, v0
                                        ; implicit-def: $vgpr0
	s_and_saveexec_b64 s[68:69], vcc
	s_xor_b64 s[68:69], exec, s[68:69]
	s_cbranch_execz .LBB2_3216
; %bb.3215:                             ;   in Loop: Header=BB2_3145 Depth=3
	v_ffbh_u32_e32 v6, v2
	v_min_u32_e32 v13, 32, v6
	v_subrev_u32_e32 v6, 29, v13
	v_bfe_u32 v0, v50, 2, 5
	v_lshlrev_b64 v[6:7], v6, v[50:51]
	v_sub_u32_e32 v7, 30, v13
	v_cmp_eq_u32_e32 vcc, 0, v0
	v_and_b32_e32 v6, 3, v6
	v_cndmask_b32_e32 v0, v0, v7, vcc
	v_bfrev_b32_e32 v7, 28
	v_cndmask_b32_e32 v2, v2, v6, vcc
	v_lshlrev_b32_e32 v6, 16, v20
	v_lshl_add_u32 v0, v0, 23, v7
	v_and_or_b32 v0, v6, s96, v0
	v_lshl_or_b32 v0, v2, 21, v0
                                        ; implicit-def: $vgpr2
.LBB2_3216:                             ;   in Loop: Header=BB2_3145 Depth=3
	s_andn2_saveexec_b64 s[68:69], s[68:69]
; %bb.3217:                             ;   in Loop: Header=BB2_3145 Depth=3
	v_cmp_lt_i16_e32 vcc, -1, v20
	v_mov_b32_e32 v0, 0xc7600000
	v_mov_b32_e32 v6, 0x47600000
	v_cndmask_b32_e32 v0, v0, v6, vcc
	v_cmp_eq_u32_e32 vcc, 0, v2
	v_mov_b32_e32 v2, 0x7f800001
	v_cndmask_b32_e32 v0, v2, v0, vcc
; %bb.3218:                             ;   in Loop: Header=BB2_3145 Depth=3
	s_or_b64 exec, exec, s[68:69]
.LBB2_3219:                             ;   in Loop: Header=BB2_3145 Depth=3
	s_or_b64 exec, exec, s[28:29]
.LBB2_3220:                             ;   in Loop: Header=BB2_3145 Depth=3
	s_or_b64 exec, exec, s[30:31]
	v_cmp_ne_u16_e32 vcc, 0, v12
	s_and_saveexec_b64 s[28:29], vcc
	s_cbranch_execz .LBB2_3228
; %bb.3221:                             ;   in Loop: Header=BB2_3145 Depth=3
	v_cmp_ne_u16_e32 vcc, s97, v12
	v_bfrev_b32_e32 v1, 1
	s_and_saveexec_b64 s[30:31], vcc
	s_cbranch_execz .LBB2_3227
; %bb.3222:                             ;   in Loop: Header=BB2_3145 Depth=3
	v_and_b32_e32 v1, 0x7c, v12
	v_and_b32_e32 v2, 3, v12
	v_cmp_ne_u32_e32 vcc, s95, v1
                                        ; implicit-def: $vgpr1
	s_and_saveexec_b64 s[68:69], vcc
	s_xor_b64 s[68:69], exec, s[68:69]
	s_cbranch_execz .LBB2_3224
; %bb.3223:                             ;   in Loop: Header=BB2_3145 Depth=3
	v_ffbh_u32_e32 v6, v2
	v_min_u32_e32 v14, 32, v6
	v_mov_b32_e32 v13, v51
	v_subrev_u32_e32 v6, 29, v14
	v_bfe_u32 v1, v12, 2, 5
	v_lshlrev_b64 v[6:7], v6, v[12:13]
	v_sub_u32_e32 v7, 30, v14
	v_cmp_eq_u32_e32 vcc, 0, v1
	v_and_b32_e32 v6, 3, v6
	v_cndmask_b32_e32 v1, v1, v7, vcc
	v_bfrev_b32_e32 v7, 28
	v_cndmask_b32_e32 v2, v2, v6, vcc
	v_lshlrev_b32_e32 v6, 16, v16
	v_lshl_add_u32 v1, v1, 23, v7
	v_and_or_b32 v1, v6, s96, v1
	v_lshl_or_b32 v1, v2, 21, v1
                                        ; implicit-def: $vgpr2
.LBB2_3224:                             ;   in Loop: Header=BB2_3145 Depth=3
	s_andn2_saveexec_b64 s[68:69], s[68:69]
; %bb.3225:                             ;   in Loop: Header=BB2_3145 Depth=3
	v_cmp_lt_i16_e32 vcc, -1, v16
	v_mov_b32_e32 v1, 0xc7600000
	v_mov_b32_e32 v6, 0x47600000
	v_cndmask_b32_e32 v1, v1, v6, vcc
	v_cmp_eq_u32_e32 vcc, 0, v2
	v_mov_b32_e32 v2, 0x7f800001
	v_cndmask_b32_e32 v1, v2, v1, vcc
; %bb.3226:                             ;   in Loop: Header=BB2_3145 Depth=3
	s_or_b64 exec, exec, s[68:69]
.LBB2_3227:                             ;   in Loop: Header=BB2_3145 Depth=3
	s_or_b64 exec, exec, s[30:31]
.LBB2_3228:                             ;   in Loop: Header=BB2_3145 Depth=3
	s_or_b64 exec, exec, s[28:29]
	v_max_f32_e32 v1, v1, v1
	v_max_f32_e32 v0, v0, v0
	v_min_f32_e32 v2, v0, v1
.LBB2_3229:                             ;   in Loop: Header=BB2_3145 Depth=3
	v_and_b32_sdwa v0, v2, s97 dst_sel:DWORD dst_unused:UNUSED_PAD src0_sel:BYTE_3 src1_sel:DWORD
	v_and_b32_e32 v6, 0x7f800000, v2
	v_mov_b32_e32 v7, v51
	v_and_b32_e32 v50, 0x7fffff, v2
	v_or_b32_e32 v25, 0x7b, v0
	v_cmp_ne_u64_e32 vcc, s[52:53], v[6:7]
	s_and_saveexec_b64 s[28:29], vcc
	s_xor_b64 s[30:31], exec, s[28:29]
	s_cbranch_execz .LBB2_3239
; %bb.3230:                             ;   in Loop: Header=BB2_3145 Depth=3
	v_and_b32_e32 v6, 0x7fffffff, v2
	v_mov_b32_e32 v7, v51
	v_cmp_gt_u64_e32 vcc, s[54:55], v[6:7]
	s_and_saveexec_b64 s[68:69], vcc
	s_cbranch_execz .LBB2_3238
; %bb.3231:                             ;   in Loop: Header=BB2_3145 Depth=3
	v_cmp_ne_u32_e32 vcc, 0, v2
	v_mov_b32_e32 v25, 0
	s_and_saveexec_b64 s[70:71], vcc
	s_cbranch_execz .LBB2_3237
; %bb.3232:                             ;   in Loop: Header=BB2_3145 Depth=3
	v_bfe_u32 v1, v2, 23, 8
	v_sub_u32_e32 v6, 0x71, v1
	v_cmp_gt_u32_e32 vcc, s38, v1
	v_add_u32_e32 v2, 0xffffff81, v1
	v_cndmask_b32_e32 v6, 0, v6, vcc
	v_cmp_eq_u32_e32 vcc, 0, v1
	v_mov_b32_e32 v1, 0xffffff82
	v_cndmask_b32_e32 v1, v2, v1, vcc
	v_mov_b32_e32 v2, 0x70
	v_cndmask_b32_e32 v2, v6, v2, vcc
	v_or_b32_e32 v7, 0x800000, v50
	v_add_u32_e32 v6, 21, v2
	v_cndmask_b32_e32 v50, v7, v50, vcc
	v_lshlrev_b64 v[6:7], v6, -1
	v_not_b32_e32 v6, v6
	v_and_b32_e32 v12, v50, v6
	v_add_u32_e32 v6, 20, v2
	v_lshrrev_b64 v[30:31], v2, v[50:51]
	v_not_b32_e32 v7, v7
	v_lshlrev_b64 v[14:15], v6, 1
	v_lshrrev_b32_e32 v6, 23, v30
	v_and_b32_e32 v13, 0, v7
	v_add3_u32 v6, v2, v1, v6
	v_bfe_u32 v1, v30, 21, 1
	v_add_u32_e32 v1, -1, v1
	v_cmp_eq_u64_e32 vcc, v[12:13], v[14:15]
	v_cndmask_b32_e32 v1, 0, v1, vcc
	v_add_u32_e32 v1, v1, v30
	v_and_b32_e32 v1, 0x1fffff, v1
	v_add_co_u32_e32 v12, vcc, v1, v30
	v_add_u32_e32 v2, 14, v6
	v_addc_co_u32_e32 v13, vcc, 0, v31, vcc
	v_cmp_ne_u32_e32 vcc, 0, v2
                                        ; implicit-def: $vgpr1
	s_and_saveexec_b64 s[28:29], vcc
	s_xor_b64 s[28:29], exec, s[28:29]
; %bb.3233:                             ;   in Loop: Header=BB2_3145 Depth=3
	v_add_u32_e32 v1, 15, v6
	v_cmp_lt_u64_e32 vcc, s[56:57], v[12:13]
	v_cndmask_b32_e32 v1, v2, v1, vcc
	v_cndmask_b32_e64 v2, 0, 1, vcc
	v_lshrrev_b64 v[12:13], v2, v[12:13]
; %bb.3234:                             ;   in Loop: Header=BB2_3145 Depth=3
	s_andn2_saveexec_b64 s[28:29], s[28:29]
; %bb.3235:                             ;   in Loop: Header=BB2_3145 Depth=3
	v_bfe_u32 v1, v12, 23, 1
; %bb.3236:                             ;   in Loop: Header=BB2_3145 Depth=3
	s_or_b64 exec, exec, s[28:29]
	v_lshrrev_b64 v[6:7], 21, v[12:13]
	v_cmp_gt_i32_e32 vcc, 32, v1
	v_cndmask_b32_e32 v7, 0, v7, vcc
	v_cndmask_b32_e32 v6, 3, v6, vcc
	v_cmp_eq_u32_e32 vcc, 0, v1
	v_min_i32_e32 v1, 31, v1
	v_cmp_eq_u64_e64 s[28:29], 0, v[6:7]
	v_lshlrev_b32_e32 v1, 2, v1
	v_and_or_b32 v1, v6, 3, v1
	s_and_b64 s[28:29], vcc, s[28:29]
	v_cndmask_b32_e64 v1, v1, 0, s[28:29]
	v_or_b32_e32 v25, v1, v0
.LBB2_3237:                             ;   in Loop: Header=BB2_3145 Depth=3
	s_or_b64 exec, exec, s[70:71]
.LBB2_3238:                             ;   in Loop: Header=BB2_3145 Depth=3
	s_or_b64 exec, exec, s[68:69]
                                        ; implicit-def: $vgpr2
.LBB2_3239:                             ;   in Loop: Header=BB2_3145 Depth=3
	s_andn2_saveexec_b64 s[28:29], s[30:31]
; %bb.3240:                             ;   in Loop: Header=BB2_3145 Depth=3
	v_or_b32_sdwa v0, v2, s39 dst_sel:DWORD dst_unused:UNUSED_PAD src0_sel:BYTE_3 src1_sel:DWORD
	v_cmp_eq_u64_e32 vcc, 0, v[50:51]
	v_cndmask_b32_e32 v25, v0, v25, vcc
; %bb.3241:                             ;   in Loop: Header=BB2_3145 Depth=3
	s_or_b64 exec, exec, s[28:29]
	v_lshrrev_b32_e32 v14, 16, v20
	v_lshrrev_b32_e32 v12, 16, v16
	v_cmp_ne_u16_sdwa s[28:29], v14, v51 src0_sel:BYTE_0 src1_sel:DWORD
	s_and_b64 vcc, exec, s[66:67]
	s_cbranch_vccz .LBB2_3259
; %bb.3242:                             ;   in Loop: Header=BB2_3145 Depth=3
	v_mov_b32_e32 v2, 0
	v_mov_b32_e32 v0, 0
	s_and_saveexec_b64 s[30:31], s[28:29]
	s_cbranch_execz .LBB2_3250
; %bb.3243:                             ;   in Loop: Header=BB2_3145 Depth=3
	v_cmp_ne_u16_sdwa vcc, v14, s97 src0_sel:BYTE_0 src1_sel:DWORD
	v_bfrev_b32_e32 v0, 1
	s_and_saveexec_b64 s[68:69], vcc
	s_cbranch_execz .LBB2_3249
; %bb.3244:                             ;   in Loop: Header=BB2_3145 Depth=3
	v_and_b32_e32 v0, 0x7c0000, v20
	v_bfe_u32 v6, v20, 16, 2
	v_cmp_ne_u32_e32 vcc, s36, v0
                                        ; implicit-def: $vgpr0
	s_and_saveexec_b64 s[70:71], vcc
	s_xor_b64 s[70:71], exec, s[70:71]
	s_cbranch_execz .LBB2_3246
; %bb.3245:                             ;   in Loop: Header=BB2_3145 Depth=3
	v_ffbh_u32_e32 v1, v6
	v_min_u32_e32 v1, 32, v1
	v_subrev_u32_e32 v7, 29, v1
	v_bfe_u32 v0, v20, 18, 5
	v_lshlrev_b64 v[30:31], v7, v[14:15]
	v_sub_u32_e32 v1, 30, v1
	v_and_b32_e32 v7, 3, v30
	v_cmp_eq_u32_e32 vcc, 0, v0
	v_cndmask_b32_e32 v0, v0, v1, vcc
	v_cndmask_b32_e32 v1, v6, v7, vcc
	v_bfrev_b32_e32 v7, 28
	v_lshlrev_b32_e32 v6, 24, v14
	v_lshl_add_u32 v0, v0, 23, v7
	v_and_or_b32 v0, v6, s96, v0
	v_lshl_or_b32 v0, v1, 21, v0
                                        ; implicit-def: $vgpr6
.LBB2_3246:                             ;   in Loop: Header=BB2_3145 Depth=3
	s_andn2_saveexec_b64 s[70:71], s[70:71]
; %bb.3247:                             ;   in Loop: Header=BB2_3145 Depth=3
	v_mov_b32_e32 v0, -1
	v_cmp_gt_i16_sdwa vcc, sext(v14), v0 src0_sel:BYTE_0 src1_sel:DWORD
	v_mov_b32_e32 v0, 0xc7600000
	v_mov_b32_e32 v1, 0x47600000
	v_cndmask_b32_e32 v0, v0, v1, vcc
	v_cmp_eq_u32_e32 vcc, 0, v6
	v_mov_b32_e32 v1, 0x7f800001
	v_cndmask_b32_e32 v0, v1, v0, vcc
; %bb.3248:                             ;   in Loop: Header=BB2_3145 Depth=3
	s_or_b64 exec, exec, s[70:71]
.LBB2_3249:                             ;   in Loop: Header=BB2_3145 Depth=3
	s_or_b64 exec, exec, s[68:69]
.LBB2_3250:                             ;   in Loop: Header=BB2_3145 Depth=3
	s_or_b64 exec, exec, s[30:31]
	v_cmp_ne_u16_sdwa vcc, v12, v51 src0_sel:BYTE_0 src1_sel:DWORD
	s_and_saveexec_b64 s[30:31], vcc
	s_cbranch_execz .LBB2_3258
; %bb.3251:                             ;   in Loop: Header=BB2_3145 Depth=3
	v_cmp_ne_u16_sdwa vcc, v12, s97 src0_sel:BYTE_0 src1_sel:DWORD
	v_bfrev_b32_e32 v2, 1
	s_and_saveexec_b64 s[68:69], vcc
	s_cbranch_execz .LBB2_3257
; %bb.3252:                             ;   in Loop: Header=BB2_3145 Depth=3
	v_and_b32_e32 v1, 0x7c0000, v16
	v_bfe_u32 v6, v16, 16, 2
	v_cmp_ne_u32_e32 vcc, s36, v1
                                        ; implicit-def: $vgpr2
	s_and_saveexec_b64 s[70:71], vcc
	s_xor_b64 s[70:71], exec, s[70:71]
	s_cbranch_execz .LBB2_3254
; %bb.3253:                             ;   in Loop: Header=BB2_3145 Depth=3
	v_ffbh_u32_e32 v2, v6
	v_min_u32_e32 v2, 32, v2
	v_subrev_u32_e32 v7, 29, v2
	v_bfe_u32 v1, v16, 18, 5
	v_lshlrev_b64 v[30:31], v7, v[12:13]
	v_sub_u32_e32 v2, 30, v2
	v_and_b32_e32 v7, 3, v30
	v_cmp_eq_u32_e32 vcc, 0, v1
	v_cndmask_b32_e32 v1, v1, v2, vcc
	v_cndmask_b32_e32 v2, v6, v7, vcc
	v_bfrev_b32_e32 v7, 28
	v_lshlrev_b32_e32 v6, 24, v12
	v_lshl_add_u32 v1, v1, 23, v7
	v_and_or_b32 v1, v6, s96, v1
	v_lshl_or_b32 v2, v2, 21, v1
                                        ; implicit-def: $vgpr6
.LBB2_3254:                             ;   in Loop: Header=BB2_3145 Depth=3
	s_andn2_saveexec_b64 s[70:71], s[70:71]
; %bb.3255:                             ;   in Loop: Header=BB2_3145 Depth=3
	v_mov_b32_e32 v1, -1
	v_cmp_gt_i16_sdwa vcc, sext(v12), v1 src0_sel:BYTE_0 src1_sel:DWORD
	v_mov_b32_e32 v1, 0xc7600000
	v_mov_b32_e32 v2, 0x47600000
	v_cndmask_b32_e32 v1, v1, v2, vcc
	v_cmp_eq_u32_e32 vcc, 0, v6
	v_mov_b32_e32 v2, 0x7f800001
	v_cndmask_b32_e32 v2, v2, v1, vcc
; %bb.3256:                             ;   in Loop: Header=BB2_3145 Depth=3
	s_or_b64 exec, exec, s[70:71]
.LBB2_3257:                             ;   in Loop: Header=BB2_3145 Depth=3
	s_or_b64 exec, exec, s[68:69]
.LBB2_3258:                             ;   in Loop: Header=BB2_3145 Depth=3
	s_or_b64 exec, exec, s[30:31]
	v_max_f32_e32 v1, v2, v2
	v_max_f32_e32 v0, v0, v0
	;; [unrolled: 1-line block ×3, first 2 shown]
	s_branch .LBB2_3277
.LBB2_3259:                             ;   in Loop: Header=BB2_3145 Depth=3
                                        ; implicit-def: $vgpr2
	s_cbranch_execz .LBB2_3277
; %bb.3260:                             ;   in Loop: Header=BB2_3145 Depth=3
	v_mov_b32_e32 v2, 0
	v_mov_b32_e32 v0, 0
	s_and_saveexec_b64 s[30:31], s[28:29]
	s_cbranch_execz .LBB2_3268
; %bb.3261:                             ;   in Loop: Header=BB2_3145 Depth=3
	v_cmp_ne_u16_sdwa vcc, v14, s97 src0_sel:BYTE_0 src1_sel:DWORD
	v_bfrev_b32_e32 v0, 1
	s_and_saveexec_b64 s[28:29], vcc
	s_cbranch_execz .LBB2_3267
; %bb.3262:                             ;   in Loop: Header=BB2_3145 Depth=3
	v_and_b32_e32 v0, 0x7c0000, v20
	v_bfe_u32 v6, v20, 16, 2
	v_cmp_ne_u32_e32 vcc, s36, v0
                                        ; implicit-def: $vgpr0
	s_and_saveexec_b64 s[68:69], vcc
	s_xor_b64 s[68:69], exec, s[68:69]
	s_cbranch_execz .LBB2_3264
; %bb.3263:                             ;   in Loop: Header=BB2_3145 Depth=3
	v_ffbh_u32_e32 v1, v6
	v_min_u32_e32 v1, 32, v1
	v_subrev_u32_e32 v7, 29, v1
	v_bfe_u32 v0, v20, 18, 5
	v_lshlrev_b64 v[30:31], v7, v[14:15]
	v_sub_u32_e32 v1, 30, v1
	v_and_b32_e32 v7, 3, v30
	v_cmp_eq_u32_e32 vcc, 0, v0
	v_cndmask_b32_e32 v0, v0, v1, vcc
	v_cndmask_b32_e32 v1, v6, v7, vcc
	v_bfrev_b32_e32 v7, 28
	v_lshlrev_b32_e32 v6, 24, v14
	v_lshl_add_u32 v0, v0, 23, v7
	v_and_or_b32 v0, v6, s96, v0
	v_lshl_or_b32 v0, v1, 21, v0
                                        ; implicit-def: $vgpr6
                                        ; implicit-def: $vgpr14
.LBB2_3264:                             ;   in Loop: Header=BB2_3145 Depth=3
	s_andn2_saveexec_b64 s[68:69], s[68:69]
; %bb.3265:                             ;   in Loop: Header=BB2_3145 Depth=3
	v_mov_b32_e32 v0, -1
	v_cmp_gt_i16_sdwa vcc, sext(v14), v0 src0_sel:BYTE_0 src1_sel:DWORD
	v_mov_b32_e32 v0, 0xc7600000
	v_mov_b32_e32 v1, 0x47600000
	v_cndmask_b32_e32 v0, v0, v1, vcc
	v_cmp_eq_u32_e32 vcc, 0, v6
	v_mov_b32_e32 v1, 0x7f800001
	v_cndmask_b32_e32 v0, v1, v0, vcc
; %bb.3266:                             ;   in Loop: Header=BB2_3145 Depth=3
	s_or_b64 exec, exec, s[68:69]
.LBB2_3267:                             ;   in Loop: Header=BB2_3145 Depth=3
	s_or_b64 exec, exec, s[28:29]
.LBB2_3268:                             ;   in Loop: Header=BB2_3145 Depth=3
	s_or_b64 exec, exec, s[30:31]
	v_cmp_ne_u16_sdwa vcc, v12, v51 src0_sel:BYTE_0 src1_sel:DWORD
	s_and_saveexec_b64 s[28:29], vcc
	s_cbranch_execz .LBB2_3276
; %bb.3269:                             ;   in Loop: Header=BB2_3145 Depth=3
	v_cmp_ne_u16_sdwa vcc, v12, s97 src0_sel:BYTE_0 src1_sel:DWORD
	v_bfrev_b32_e32 v2, 1
	s_and_saveexec_b64 s[30:31], vcc
	s_cbranch_execz .LBB2_3275
; %bb.3270:                             ;   in Loop: Header=BB2_3145 Depth=3
	v_and_b32_e32 v1, 0x7c0000, v16
	v_bfe_u32 v6, v16, 16, 2
	v_cmp_ne_u32_e32 vcc, s36, v1
                                        ; implicit-def: $vgpr2
	s_and_saveexec_b64 s[68:69], vcc
	s_xor_b64 s[68:69], exec, s[68:69]
	s_cbranch_execz .LBB2_3272
; %bb.3271:                             ;   in Loop: Header=BB2_3145 Depth=3
	v_ffbh_u32_e32 v2, v6
	v_min_u32_e32 v2, 32, v2
	v_subrev_u32_e32 v7, 29, v2
	v_bfe_u32 v1, v16, 18, 5
	v_lshlrev_b64 v[14:15], v7, v[12:13]
	v_sub_u32_e32 v2, 30, v2
	v_and_b32_e32 v7, 3, v14
	v_cmp_eq_u32_e32 vcc, 0, v1
	v_cndmask_b32_e32 v1, v1, v2, vcc
	v_cndmask_b32_e32 v2, v6, v7, vcc
	v_bfrev_b32_e32 v7, 28
	v_lshlrev_b32_e32 v6, 24, v12
	v_lshl_add_u32 v1, v1, 23, v7
	v_and_or_b32 v1, v6, s96, v1
	v_lshl_or_b32 v2, v2, 21, v1
                                        ; implicit-def: $vgpr6
                                        ; implicit-def: $vgpr12
.LBB2_3272:                             ;   in Loop: Header=BB2_3145 Depth=3
	s_andn2_saveexec_b64 s[68:69], s[68:69]
; %bb.3273:                             ;   in Loop: Header=BB2_3145 Depth=3
	v_mov_b32_e32 v1, -1
	v_cmp_gt_i16_sdwa vcc, sext(v12), v1 src0_sel:BYTE_0 src1_sel:DWORD
	v_mov_b32_e32 v1, 0xc7600000
	v_mov_b32_e32 v2, 0x47600000
	v_cndmask_b32_e32 v1, v1, v2, vcc
	v_cmp_eq_u32_e32 vcc, 0, v6
	v_mov_b32_e32 v2, 0x7f800001
	v_cndmask_b32_e32 v2, v2, v1, vcc
; %bb.3274:                             ;   in Loop: Header=BB2_3145 Depth=3
	s_or_b64 exec, exec, s[68:69]
.LBB2_3275:                             ;   in Loop: Header=BB2_3145 Depth=3
	s_or_b64 exec, exec, s[30:31]
.LBB2_3276:                             ;   in Loop: Header=BB2_3145 Depth=3
	s_or_b64 exec, exec, s[28:29]
	v_max_f32_e32 v1, v2, v2
	v_max_f32_e32 v0, v0, v0
	v_min_f32_e32 v2, v0, v1
.LBB2_3277:                             ;   in Loop: Header=BB2_3145 Depth=3
	v_and_b32_sdwa v0, v2, s97 dst_sel:DWORD dst_unused:UNUSED_PAD src0_sel:BYTE_3 src1_sel:DWORD
	v_and_b32_e32 v6, 0x7f800000, v2
	v_mov_b32_e32 v7, v51
	v_and_b32_e32 v50, 0x7fffff, v2
	v_or_b32_e32 v44, 0x7b, v0
	v_cmp_ne_u64_e32 vcc, s[52:53], v[6:7]
	s_and_saveexec_b64 s[28:29], vcc
	s_xor_b64 s[30:31], exec, s[28:29]
	s_cbranch_execz .LBB2_3287
; %bb.3278:                             ;   in Loop: Header=BB2_3145 Depth=3
	v_and_b32_e32 v6, 0x7fffffff, v2
	v_mov_b32_e32 v7, v51
	v_cmp_gt_u64_e32 vcc, s[54:55], v[6:7]
	s_and_saveexec_b64 s[68:69], vcc
	s_cbranch_execz .LBB2_3286
; %bb.3279:                             ;   in Loop: Header=BB2_3145 Depth=3
	v_cmp_ne_u32_e32 vcc, 0, v2
	v_mov_b32_e32 v44, 0
	s_and_saveexec_b64 s[70:71], vcc
	s_cbranch_execz .LBB2_3285
; %bb.3280:                             ;   in Loop: Header=BB2_3145 Depth=3
	v_bfe_u32 v1, v2, 23, 8
	v_sub_u32_e32 v6, 0x71, v1
	v_cmp_gt_u32_e32 vcc, s38, v1
	v_add_u32_e32 v2, 0xffffff81, v1
	v_cndmask_b32_e32 v6, 0, v6, vcc
	v_cmp_eq_u32_e32 vcc, 0, v1
	v_mov_b32_e32 v1, 0xffffff82
	v_cndmask_b32_e32 v1, v2, v1, vcc
	v_mov_b32_e32 v2, 0x70
	v_cndmask_b32_e32 v2, v6, v2, vcc
	v_or_b32_e32 v7, 0x800000, v50
	v_add_u32_e32 v6, 21, v2
	v_cndmask_b32_e32 v50, v7, v50, vcc
	v_lshlrev_b64 v[6:7], v6, -1
	v_not_b32_e32 v6, v6
	v_and_b32_e32 v12, v50, v6
	v_add_u32_e32 v6, 20, v2
	v_lshrrev_b64 v[30:31], v2, v[50:51]
	v_not_b32_e32 v7, v7
	v_lshlrev_b64 v[14:15], v6, 1
	v_lshrrev_b32_e32 v6, 23, v30
	v_and_b32_e32 v13, 0, v7
	v_add3_u32 v7, v2, v1, v6
	v_bfe_u32 v1, v30, 21, 1
	v_add_u32_e32 v1, -1, v1
	v_cmp_eq_u64_e32 vcc, v[12:13], v[14:15]
	v_cndmask_b32_e32 v1, 0, v1, vcc
	v_add_u32_e32 v1, v1, v30
	v_and_b32_e32 v1, 0x1fffff, v1
	v_add_co_u32_e32 v12, vcc, v1, v30
	v_add_u32_e32 v6, 14, v7
	v_addc_co_u32_e32 v13, vcc, 0, v31, vcc
	v_cmp_ne_u32_e32 vcc, 0, v6
                                        ; implicit-def: $vgpr2
	s_and_saveexec_b64 s[28:29], vcc
	s_xor_b64 s[28:29], exec, s[28:29]
; %bb.3281:                             ;   in Loop: Header=BB2_3145 Depth=3
	v_add_u32_e32 v1, 15, v7
	v_cmp_lt_u64_e32 vcc, s[56:57], v[12:13]
	v_cndmask_b32_e32 v2, v6, v1, vcc
	v_cndmask_b32_e64 v1, 0, 1, vcc
	v_lshrrev_b64 v[12:13], v1, v[12:13]
; %bb.3282:                             ;   in Loop: Header=BB2_3145 Depth=3
	s_andn2_saveexec_b64 s[28:29], s[28:29]
; %bb.3283:                             ;   in Loop: Header=BB2_3145 Depth=3
	v_bfe_u32 v2, v12, 23, 1
; %bb.3284:                             ;   in Loop: Header=BB2_3145 Depth=3
	s_or_b64 exec, exec, s[28:29]
	v_lshrrev_b64 v[6:7], 21, v[12:13]
	v_cmp_gt_i32_e32 vcc, 32, v2
	v_cndmask_b32_e32 v7, 0, v7, vcc
	v_cndmask_b32_e32 v6, 3, v6, vcc
	v_min_i32_e32 v1, 31, v2
	v_cmp_eq_u32_e32 vcc, 0, v2
	v_cmp_eq_u64_e64 s[28:29], 0, v[6:7]
	v_lshlrev_b32_e32 v1, 2, v1
	v_and_or_b32 v1, v6, 3, v1
	s_and_b64 s[28:29], vcc, s[28:29]
	v_cndmask_b32_e64 v1, v1, 0, s[28:29]
	v_or_b32_e32 v44, v1, v0
.LBB2_3285:                             ;   in Loop: Header=BB2_3145 Depth=3
	s_or_b64 exec, exec, s[70:71]
.LBB2_3286:                             ;   in Loop: Header=BB2_3145 Depth=3
	s_or_b64 exec, exec, s[68:69]
                                        ; implicit-def: $vgpr2
.LBB2_3287:                             ;   in Loop: Header=BB2_3145 Depth=3
	s_andn2_saveexec_b64 s[28:29], s[30:31]
; %bb.3288:                             ;   in Loop: Header=BB2_3145 Depth=3
	v_or_b32_sdwa v0, v2, s39 dst_sel:DWORD dst_unused:UNUSED_PAD src0_sel:BYTE_3 src1_sel:DWORD
	v_cmp_eq_u64_e32 vcc, 0, v[50:51]
	v_cndmask_b32_e32 v44, v0, v44, vcc
; %bb.3289:                             ;   in Loop: Header=BB2_3145 Depth=3
	s_or_b64 exec, exec, s[28:29]
	v_lshrrev_b32_e32 v14, 24, v20
	v_lshrrev_b32_e32 v12, 24, v16
	v_cmp_lt_u32_e64 s[28:29], s43, v20
	s_and_b64 vcc, exec, s[66:67]
	s_cbranch_vccz .LBB2_3307
; %bb.3290:                             ;   in Loop: Header=BB2_3145 Depth=3
	v_mov_b32_e32 v2, 0
	v_mov_b32_e32 v0, 0
	s_and_saveexec_b64 s[30:31], s[28:29]
	s_cbranch_execz .LBB2_3298
; %bb.3291:                             ;   in Loop: Header=BB2_3145 Depth=3
	v_cmp_ne_u32_e32 vcc, s97, v14
	v_bfrev_b32_e32 v0, 1
	s_and_saveexec_b64 s[68:69], vcc
	s_cbranch_execz .LBB2_3297
; %bb.3292:                             ;   in Loop: Header=BB2_3145 Depth=3
	v_and_b32_e32 v0, 0x7c000000, v20
	v_bfe_u32 v6, v20, 24, 2
	v_cmp_ne_u32_e32 vcc, s37, v0
                                        ; implicit-def: $vgpr0
	s_and_saveexec_b64 s[70:71], vcc
	s_xor_b64 s[70:71], exec, s[70:71]
	s_cbranch_execz .LBB2_3294
; %bb.3293:                             ;   in Loop: Header=BB2_3145 Depth=3
	v_ffbh_u32_e32 v1, v6
	v_min_u32_e32 v1, 32, v1
	v_subrev_u32_e32 v7, 29, v1
	v_bfe_u32 v0, v20, 26, 5
	v_lshlrev_b64 v[30:31], v7, v[14:15]
	v_sub_u32_e32 v1, 30, v1
	v_and_b32_e32 v7, 3, v30
	v_cmp_eq_u32_e32 vcc, 0, v0
	v_cndmask_b32_e32 v0, v0, v1, vcc
	v_cndmask_b32_e32 v1, v6, v7, vcc
	v_bfrev_b32_e32 v6, 28
	v_lshl_add_u32 v0, v0, 23, v6
	v_and_or_b32 v0, v20, s96, v0
	v_lshl_or_b32 v0, v1, 21, v0
                                        ; implicit-def: $vgpr6
.LBB2_3294:                             ;   in Loop: Header=BB2_3145 Depth=3
	s_andn2_saveexec_b64 s[70:71], s[70:71]
; %bb.3295:                             ;   in Loop: Header=BB2_3145 Depth=3
	v_cmp_lt_i32_e32 vcc, -1, v20
	v_mov_b32_e32 v0, 0xc7600000
	v_mov_b32_e32 v1, 0x47600000
	v_cndmask_b32_e32 v0, v0, v1, vcc
	v_cmp_eq_u32_e32 vcc, 0, v6
	v_mov_b32_e32 v1, 0x7f800001
	v_cndmask_b32_e32 v0, v1, v0, vcc
; %bb.3296:                             ;   in Loop: Header=BB2_3145 Depth=3
	s_or_b64 exec, exec, s[70:71]
.LBB2_3297:                             ;   in Loop: Header=BB2_3145 Depth=3
	s_or_b64 exec, exec, s[68:69]
.LBB2_3298:                             ;   in Loop: Header=BB2_3145 Depth=3
	s_or_b64 exec, exec, s[30:31]
	v_cmp_lt_u32_e32 vcc, s43, v16
	s_and_saveexec_b64 s[30:31], vcc
	s_cbranch_execz .LBB2_3306
; %bb.3299:                             ;   in Loop: Header=BB2_3145 Depth=3
	v_cmp_ne_u32_e32 vcc, s97, v12
	v_bfrev_b32_e32 v2, 1
	s_and_saveexec_b64 s[68:69], vcc
	s_cbranch_execz .LBB2_3305
; %bb.3300:                             ;   in Loop: Header=BB2_3145 Depth=3
	v_and_b32_e32 v1, 0x7c000000, v16
	v_bfe_u32 v6, v16, 24, 2
	v_cmp_ne_u32_e32 vcc, s37, v1
                                        ; implicit-def: $vgpr2
	s_and_saveexec_b64 s[70:71], vcc
	s_xor_b64 s[70:71], exec, s[70:71]
	s_cbranch_execz .LBB2_3302
; %bb.3301:                             ;   in Loop: Header=BB2_3145 Depth=3
	v_ffbh_u32_e32 v2, v6
	v_min_u32_e32 v2, 32, v2
	v_subrev_u32_e32 v7, 29, v2
	v_bfe_u32 v1, v16, 26, 5
	v_lshlrev_b64 v[30:31], v7, v[12:13]
	v_sub_u32_e32 v2, 30, v2
	v_and_b32_e32 v7, 3, v30
	v_cmp_eq_u32_e32 vcc, 0, v1
	v_cndmask_b32_e32 v1, v1, v2, vcc
	v_cndmask_b32_e32 v2, v6, v7, vcc
	v_bfrev_b32_e32 v6, 28
	v_lshl_add_u32 v1, v1, 23, v6
	v_and_or_b32 v1, v16, s96, v1
	v_lshl_or_b32 v2, v2, 21, v1
                                        ; implicit-def: $vgpr6
.LBB2_3302:                             ;   in Loop: Header=BB2_3145 Depth=3
	s_andn2_saveexec_b64 s[70:71], s[70:71]
; %bb.3303:                             ;   in Loop: Header=BB2_3145 Depth=3
	v_cmp_lt_i32_e32 vcc, -1, v16
	v_mov_b32_e32 v1, 0xc7600000
	v_mov_b32_e32 v2, 0x47600000
	v_cndmask_b32_e32 v1, v1, v2, vcc
	v_cmp_eq_u32_e32 vcc, 0, v6
	v_mov_b32_e32 v2, 0x7f800001
	v_cndmask_b32_e32 v2, v2, v1, vcc
; %bb.3304:                             ;   in Loop: Header=BB2_3145 Depth=3
	s_or_b64 exec, exec, s[70:71]
.LBB2_3305:                             ;   in Loop: Header=BB2_3145 Depth=3
	s_or_b64 exec, exec, s[68:69]
.LBB2_3306:                             ;   in Loop: Header=BB2_3145 Depth=3
	s_or_b64 exec, exec, s[30:31]
	v_max_f32_e32 v1, v2, v2
	v_max_f32_e32 v0, v0, v0
	;; [unrolled: 1-line block ×3, first 2 shown]
	s_branch .LBB2_3325
.LBB2_3307:                             ;   in Loop: Header=BB2_3145 Depth=3
                                        ; implicit-def: $vgpr2
	s_cbranch_execz .LBB2_3325
; %bb.3308:                             ;   in Loop: Header=BB2_3145 Depth=3
	v_mov_b32_e32 v2, 0
	v_mov_b32_e32 v0, 0
	s_and_saveexec_b64 s[30:31], s[28:29]
	s_cbranch_execz .LBB2_3316
; %bb.3309:                             ;   in Loop: Header=BB2_3145 Depth=3
	v_cmp_ne_u32_e32 vcc, s97, v14
	v_bfrev_b32_e32 v0, 1
	s_and_saveexec_b64 s[28:29], vcc
	s_cbranch_execz .LBB2_3315
; %bb.3310:                             ;   in Loop: Header=BB2_3145 Depth=3
	v_and_b32_e32 v0, 0x7c000000, v20
	v_bfe_u32 v6, v20, 24, 2
	v_cmp_ne_u32_e32 vcc, s37, v0
                                        ; implicit-def: $vgpr0
	s_and_saveexec_b64 s[68:69], vcc
	s_xor_b64 s[68:69], exec, s[68:69]
	s_cbranch_execz .LBB2_3312
; %bb.3311:                             ;   in Loop: Header=BB2_3145 Depth=3
	v_ffbh_u32_e32 v1, v6
	v_min_u32_e32 v1, 32, v1
	v_subrev_u32_e32 v7, 29, v1
	v_bfe_u32 v0, v20, 26, 5
	v_lshlrev_b64 v[14:15], v7, v[14:15]
	v_sub_u32_e32 v1, 30, v1
	v_and_b32_e32 v7, 3, v14
	v_cmp_eq_u32_e32 vcc, 0, v0
	v_cndmask_b32_e32 v0, v0, v1, vcc
	v_cndmask_b32_e32 v1, v6, v7, vcc
	v_bfrev_b32_e32 v6, 28
	v_lshl_add_u32 v0, v0, 23, v6
	v_and_or_b32 v0, v20, s96, v0
	v_lshl_or_b32 v0, v1, 21, v0
                                        ; implicit-def: $vgpr6
.LBB2_3312:                             ;   in Loop: Header=BB2_3145 Depth=3
	s_andn2_saveexec_b64 s[68:69], s[68:69]
; %bb.3313:                             ;   in Loop: Header=BB2_3145 Depth=3
	v_cmp_lt_i32_e32 vcc, -1, v20
	v_mov_b32_e32 v0, 0xc7600000
	v_mov_b32_e32 v1, 0x47600000
	v_cndmask_b32_e32 v0, v0, v1, vcc
	v_cmp_eq_u32_e32 vcc, 0, v6
	v_mov_b32_e32 v1, 0x7f800001
	v_cndmask_b32_e32 v0, v1, v0, vcc
; %bb.3314:                             ;   in Loop: Header=BB2_3145 Depth=3
	s_or_b64 exec, exec, s[68:69]
.LBB2_3315:                             ;   in Loop: Header=BB2_3145 Depth=3
	s_or_b64 exec, exec, s[28:29]
.LBB2_3316:                             ;   in Loop: Header=BB2_3145 Depth=3
	s_or_b64 exec, exec, s[30:31]
	v_cmp_lt_u32_e32 vcc, s43, v16
	s_and_saveexec_b64 s[28:29], vcc
	s_cbranch_execz .LBB2_3324
; %bb.3317:                             ;   in Loop: Header=BB2_3145 Depth=3
	v_cmp_ne_u32_e32 vcc, s97, v12
	v_bfrev_b32_e32 v2, 1
	s_and_saveexec_b64 s[30:31], vcc
	s_cbranch_execz .LBB2_3323
; %bb.3318:                             ;   in Loop: Header=BB2_3145 Depth=3
	v_and_b32_e32 v1, 0x7c000000, v16
	v_bfe_u32 v6, v16, 24, 2
	v_cmp_ne_u32_e32 vcc, s37, v1
                                        ; implicit-def: $vgpr2
	s_and_saveexec_b64 s[68:69], vcc
	s_xor_b64 s[68:69], exec, s[68:69]
	s_cbranch_execz .LBB2_3320
; %bb.3319:                             ;   in Loop: Header=BB2_3145 Depth=3
	v_ffbh_u32_e32 v2, v6
	v_min_u32_e32 v2, 32, v2
	v_subrev_u32_e32 v7, 29, v2
	v_bfe_u32 v1, v16, 26, 5
	v_lshlrev_b64 v[12:13], v7, v[12:13]
	v_sub_u32_e32 v2, 30, v2
	v_and_b32_e32 v7, 3, v12
	v_cmp_eq_u32_e32 vcc, 0, v1
	v_cndmask_b32_e32 v1, v1, v2, vcc
	v_cndmask_b32_e32 v2, v6, v7, vcc
	v_bfrev_b32_e32 v6, 28
	v_lshl_add_u32 v1, v1, 23, v6
	v_and_or_b32 v1, v16, s96, v1
	v_lshl_or_b32 v2, v2, 21, v1
                                        ; implicit-def: $vgpr6
.LBB2_3320:                             ;   in Loop: Header=BB2_3145 Depth=3
	s_andn2_saveexec_b64 s[68:69], s[68:69]
; %bb.3321:                             ;   in Loop: Header=BB2_3145 Depth=3
	v_cmp_lt_i32_e32 vcc, -1, v16
	v_mov_b32_e32 v1, 0xc7600000
	v_mov_b32_e32 v2, 0x47600000
	v_cndmask_b32_e32 v1, v1, v2, vcc
	v_cmp_eq_u32_e32 vcc, 0, v6
	v_mov_b32_e32 v2, 0x7f800001
	v_cndmask_b32_e32 v2, v2, v1, vcc
; %bb.3322:                             ;   in Loop: Header=BB2_3145 Depth=3
	s_or_b64 exec, exec, s[68:69]
.LBB2_3323:                             ;   in Loop: Header=BB2_3145 Depth=3
	s_or_b64 exec, exec, s[30:31]
.LBB2_3324:                             ;   in Loop: Header=BB2_3145 Depth=3
	s_or_b64 exec, exec, s[28:29]
	v_max_f32_e32 v1, v2, v2
	v_max_f32_e32 v0, v0, v0
	v_min_f32_e32 v2, v0, v1
.LBB2_3325:                             ;   in Loop: Header=BB2_3145 Depth=3
	v_and_b32_sdwa v0, v2, s97 dst_sel:DWORD dst_unused:UNUSED_PAD src0_sel:BYTE_3 src1_sel:DWORD
	v_and_b32_e32 v6, 0x7f800000, v2
	v_mov_b32_e32 v7, v51
	v_and_b32_e32 v50, 0x7fffff, v2
	v_or_b32_e32 v55, 0x7b, v0
	v_cmp_ne_u64_e32 vcc, s[52:53], v[6:7]
	s_and_saveexec_b64 s[28:29], vcc
	s_xor_b64 s[30:31], exec, s[28:29]
	s_cbranch_execz .LBB2_3335
; %bb.3326:                             ;   in Loop: Header=BB2_3145 Depth=3
	v_and_b32_e32 v6, 0x7fffffff, v2
	v_mov_b32_e32 v7, v51
	v_cmp_gt_u64_e32 vcc, s[54:55], v[6:7]
	s_and_saveexec_b64 s[68:69], vcc
	s_cbranch_execz .LBB2_3334
; %bb.3327:                             ;   in Loop: Header=BB2_3145 Depth=3
	v_cmp_ne_u32_e32 vcc, 0, v2
	v_mov_b32_e32 v55, 0
	s_and_saveexec_b64 s[70:71], vcc
	s_cbranch_execz .LBB2_3333
; %bb.3328:                             ;   in Loop: Header=BB2_3145 Depth=3
	v_bfe_u32 v1, v2, 23, 8
	v_sub_u32_e32 v6, 0x71, v1
	v_cmp_gt_u32_e32 vcc, s38, v1
	v_add_u32_e32 v2, 0xffffff81, v1
	v_cndmask_b32_e32 v6, 0, v6, vcc
	v_cmp_eq_u32_e32 vcc, 0, v1
	v_mov_b32_e32 v1, 0xffffff82
	v_cndmask_b32_e32 v1, v2, v1, vcc
	v_mov_b32_e32 v2, 0x70
	v_cndmask_b32_e32 v2, v6, v2, vcc
	v_or_b32_e32 v7, 0x800000, v50
	v_add_u32_e32 v6, 21, v2
	v_cndmask_b32_e32 v50, v7, v50, vcc
	v_lshlrev_b64 v[6:7], v6, -1
	v_not_b32_e32 v6, v6
	v_and_b32_e32 v12, v50, v6
	v_add_u32_e32 v6, 20, v2
	v_lshrrev_b64 v[30:31], v2, v[50:51]
	v_not_b32_e32 v7, v7
	v_lshlrev_b64 v[14:15], v6, 1
	v_lshrrev_b32_e32 v6, 23, v30
	v_and_b32_e32 v13, 0, v7
	v_add3_u32 v7, v2, v1, v6
	v_bfe_u32 v1, v30, 21, 1
	v_add_u32_e32 v1, -1, v1
	v_cmp_eq_u64_e32 vcc, v[12:13], v[14:15]
	v_cndmask_b32_e32 v1, 0, v1, vcc
	v_add_u32_e32 v1, v1, v30
	v_and_b32_e32 v1, 0x1fffff, v1
	v_add_co_u32_e32 v12, vcc, v1, v30
	v_add_u32_e32 v6, 14, v7
	v_addc_co_u32_e32 v13, vcc, 0, v31, vcc
	v_cmp_ne_u32_e32 vcc, 0, v6
                                        ; implicit-def: $vgpr2
	s_and_saveexec_b64 s[28:29], vcc
	s_xor_b64 s[28:29], exec, s[28:29]
; %bb.3329:                             ;   in Loop: Header=BB2_3145 Depth=3
	v_add_u32_e32 v1, 15, v7
	v_cmp_lt_u64_e32 vcc, s[56:57], v[12:13]
	v_cndmask_b32_e32 v2, v6, v1, vcc
	v_cndmask_b32_e64 v1, 0, 1, vcc
	v_lshrrev_b64 v[12:13], v1, v[12:13]
; %bb.3330:                             ;   in Loop: Header=BB2_3145 Depth=3
	s_andn2_saveexec_b64 s[28:29], s[28:29]
; %bb.3331:                             ;   in Loop: Header=BB2_3145 Depth=3
	v_bfe_u32 v2, v12, 23, 1
; %bb.3332:                             ;   in Loop: Header=BB2_3145 Depth=3
	s_or_b64 exec, exec, s[28:29]
	v_lshrrev_b64 v[6:7], 21, v[12:13]
	v_cmp_gt_i32_e32 vcc, 32, v2
	v_cndmask_b32_e32 v7, 0, v7, vcc
	v_cndmask_b32_e32 v6, 3, v6, vcc
	v_min_i32_e32 v1, 31, v2
	v_cmp_eq_u32_e32 vcc, 0, v2
	v_cmp_eq_u64_e64 s[28:29], 0, v[6:7]
	v_lshlrev_b32_e32 v1, 2, v1
	v_and_or_b32 v1, v6, 3, v1
	s_and_b64 s[28:29], vcc, s[28:29]
	v_cndmask_b32_e64 v1, v1, 0, s[28:29]
	v_or_b32_e32 v55, v1, v0
.LBB2_3333:                             ;   in Loop: Header=BB2_3145 Depth=3
	s_or_b64 exec, exec, s[70:71]
.LBB2_3334:                             ;   in Loop: Header=BB2_3145 Depth=3
	s_or_b64 exec, exec, s[68:69]
                                        ; implicit-def: $vgpr2
.LBB2_3335:                             ;   in Loop: Header=BB2_3145 Depth=3
	s_andn2_saveexec_b64 s[28:29], s[30:31]
; %bb.3336:                             ;   in Loop: Header=BB2_3145 Depth=3
	v_or_b32_sdwa v0, v2, s39 dst_sel:DWORD dst_unused:UNUSED_PAD src0_sel:BYTE_3 src1_sel:DWORD
	v_cmp_eq_u64_e32 vcc, 0, v[50:51]
	v_cndmask_b32_e32 v55, v0, v55, vcc
; %bb.3337:                             ;   in Loop: Header=BB2_3145 Depth=3
	s_or_b64 exec, exec, s[28:29]
	v_mov_b32_e32 v50, v21
	v_mov_b32_e32 v12, v17
	;; [unrolled: 1-line block ×3, first 2 shown]
	v_cmp_ne_u16_sdwa s[28:29], v21, v51 src0_sel:BYTE_0 src1_sel:DWORD
	s_and_b64 vcc, exec, s[66:67]
	s_cbranch_vccz .LBB2_3355
; %bb.3338:                             ;   in Loop: Header=BB2_3145 Depth=3
	v_mov_b32_e32 v2, 0
	v_mov_b32_e32 v0, 0
	s_and_saveexec_b64 s[30:31], s[28:29]
	s_cbranch_execz .LBB2_3346
; %bb.3339:                             ;   in Loop: Header=BB2_3145 Depth=3
	v_cmp_ne_u16_sdwa vcc, v21, s97 src0_sel:BYTE_0 src1_sel:DWORD
	v_bfrev_b32_e32 v0, 1
	s_and_saveexec_b64 s[68:69], vcc
	s_cbranch_execz .LBB2_3345
; %bb.3340:                             ;   in Loop: Header=BB2_3145 Depth=3
	v_and_b32_e32 v0, 0x7c, v21
	v_and_b32_e32 v6, 3, v21
	v_cmp_ne_u32_e32 vcc, s95, v0
                                        ; implicit-def: $vgpr0
	s_and_saveexec_b64 s[70:71], vcc
	s_xor_b64 s[70:71], exec, s[70:71]
	s_cbranch_execz .LBB2_3342
; %bb.3341:                             ;   in Loop: Header=BB2_3145 Depth=3
	v_ffbh_u32_e32 v1, v6
	v_min_u32_e32 v1, 32, v1
	v_subrev_u32_e32 v7, 29, v1
	v_bfe_u32 v0, v21, 2, 5
	v_lshlrev_b64 v[14:15], v7, v[50:51]
	v_sub_u32_e32 v1, 30, v1
	v_and_b32_e32 v7, 3, v14
	v_cmp_eq_u32_e32 vcc, 0, v0
	v_cndmask_b32_e32 v0, v0, v1, vcc
	v_cndmask_b32_e32 v1, v6, v7, vcc
	v_bfrev_b32_e32 v7, 28
	v_lshlrev_b32_e32 v6, 24, v21
	v_lshl_add_u32 v0, v0, 23, v7
	v_and_or_b32 v0, v6, s96, v0
	v_lshl_or_b32 v0, v1, 21, v0
                                        ; implicit-def: $vgpr6
.LBB2_3342:                             ;   in Loop: Header=BB2_3145 Depth=3
	s_andn2_saveexec_b64 s[70:71], s[70:71]
; %bb.3343:                             ;   in Loop: Header=BB2_3145 Depth=3
	v_mov_b32_e32 v0, -1
	v_cmp_gt_i16_sdwa vcc, sext(v21), v0 src0_sel:BYTE_0 src1_sel:DWORD
	v_mov_b32_e32 v0, 0xc7600000
	v_mov_b32_e32 v1, 0x47600000
	v_cndmask_b32_e32 v0, v0, v1, vcc
	v_cmp_eq_u32_e32 vcc, 0, v6
	v_mov_b32_e32 v1, 0x7f800001
	v_cndmask_b32_e32 v0, v1, v0, vcc
; %bb.3344:                             ;   in Loop: Header=BB2_3145 Depth=3
	s_or_b64 exec, exec, s[70:71]
.LBB2_3345:                             ;   in Loop: Header=BB2_3145 Depth=3
	s_or_b64 exec, exec, s[68:69]
.LBB2_3346:                             ;   in Loop: Header=BB2_3145 Depth=3
	s_or_b64 exec, exec, s[30:31]
	v_cmp_ne_u16_sdwa vcc, v17, v51 src0_sel:BYTE_0 src1_sel:DWORD
	s_and_saveexec_b64 s[30:31], vcc
	s_cbranch_execz .LBB2_3354
; %bb.3347:                             ;   in Loop: Header=BB2_3145 Depth=3
	v_cmp_ne_u16_sdwa vcc, v17, s97 src0_sel:BYTE_0 src1_sel:DWORD
	v_bfrev_b32_e32 v2, 1
	s_and_saveexec_b64 s[68:69], vcc
	s_cbranch_execz .LBB2_3353
; %bb.3348:                             ;   in Loop: Header=BB2_3145 Depth=3
	v_and_b32_e32 v1, 0x7c, v17
	v_and_b32_e32 v6, 3, v17
	v_cmp_ne_u32_e32 vcc, s95, v1
                                        ; implicit-def: $vgpr2
	s_and_saveexec_b64 s[70:71], vcc
	s_xor_b64 s[70:71], exec, s[70:71]
	s_cbranch_execz .LBB2_3350
; %bb.3349:                             ;   in Loop: Header=BB2_3145 Depth=3
	v_ffbh_u32_e32 v2, v6
	v_min_u32_e32 v2, 32, v2
	v_subrev_u32_e32 v7, 29, v2
	v_bfe_u32 v1, v17, 2, 5
	v_lshlrev_b64 v[14:15], v7, v[12:13]
	v_sub_u32_e32 v2, 30, v2
	v_and_b32_e32 v7, 3, v14
	v_cmp_eq_u32_e32 vcc, 0, v1
	v_cndmask_b32_e32 v1, v1, v2, vcc
	v_cndmask_b32_e32 v2, v6, v7, vcc
	v_bfrev_b32_e32 v7, 28
	v_lshlrev_b32_e32 v6, 24, v17
	v_lshl_add_u32 v1, v1, 23, v7
	v_and_or_b32 v1, v6, s96, v1
	v_lshl_or_b32 v2, v2, 21, v1
                                        ; implicit-def: $vgpr6
.LBB2_3350:                             ;   in Loop: Header=BB2_3145 Depth=3
	s_andn2_saveexec_b64 s[70:71], s[70:71]
; %bb.3351:                             ;   in Loop: Header=BB2_3145 Depth=3
	v_mov_b32_e32 v1, -1
	v_cmp_gt_i16_sdwa vcc, sext(v17), v1 src0_sel:BYTE_0 src1_sel:DWORD
	v_mov_b32_e32 v1, 0xc7600000
	v_mov_b32_e32 v2, 0x47600000
	v_cndmask_b32_e32 v1, v1, v2, vcc
	v_cmp_eq_u32_e32 vcc, 0, v6
	v_mov_b32_e32 v2, 0x7f800001
	v_cndmask_b32_e32 v2, v2, v1, vcc
; %bb.3352:                             ;   in Loop: Header=BB2_3145 Depth=3
	s_or_b64 exec, exec, s[70:71]
.LBB2_3353:                             ;   in Loop: Header=BB2_3145 Depth=3
	s_or_b64 exec, exec, s[68:69]
.LBB2_3354:                             ;   in Loop: Header=BB2_3145 Depth=3
	s_or_b64 exec, exec, s[30:31]
	v_max_f32_e32 v1, v2, v2
	v_max_f32_e32 v0, v0, v0
	;; [unrolled: 1-line block ×3, first 2 shown]
	s_branch .LBB2_3373
.LBB2_3355:                             ;   in Loop: Header=BB2_3145 Depth=3
                                        ; implicit-def: $vgpr2
	s_cbranch_execz .LBB2_3373
; %bb.3356:                             ;   in Loop: Header=BB2_3145 Depth=3
	v_mov_b32_e32 v2, 0
	v_mov_b32_e32 v0, 0
	s_and_saveexec_b64 s[30:31], s[28:29]
	s_cbranch_execz .LBB2_3364
; %bb.3357:                             ;   in Loop: Header=BB2_3145 Depth=3
	v_cmp_ne_u16_sdwa vcc, v21, s97 src0_sel:BYTE_0 src1_sel:DWORD
	v_bfrev_b32_e32 v0, 1
	s_and_saveexec_b64 s[28:29], vcc
	s_cbranch_execz .LBB2_3363
; %bb.3358:                             ;   in Loop: Header=BB2_3145 Depth=3
	v_and_b32_e32 v0, 0x7c, v21
	v_and_b32_e32 v6, 3, v21
	v_cmp_ne_u32_e32 vcc, s95, v0
                                        ; implicit-def: $vgpr0
	s_and_saveexec_b64 s[68:69], vcc
	s_xor_b64 s[68:69], exec, s[68:69]
	s_cbranch_execz .LBB2_3360
; %bb.3359:                             ;   in Loop: Header=BB2_3145 Depth=3
	v_ffbh_u32_e32 v1, v6
	v_min_u32_e32 v1, 32, v1
	v_subrev_u32_e32 v7, 29, v1
	v_bfe_u32 v0, v21, 2, 5
	v_lshlrev_b64 v[14:15], v7, v[50:51]
	v_sub_u32_e32 v1, 30, v1
	v_and_b32_e32 v7, 3, v14
	v_cmp_eq_u32_e32 vcc, 0, v0
	v_cndmask_b32_e32 v0, v0, v1, vcc
	v_cndmask_b32_e32 v1, v6, v7, vcc
	v_bfrev_b32_e32 v7, 28
	v_lshlrev_b32_e32 v6, 24, v21
	v_lshl_add_u32 v0, v0, 23, v7
	v_and_or_b32 v0, v6, s96, v0
	v_lshl_or_b32 v0, v1, 21, v0
                                        ; implicit-def: $vgpr6
.LBB2_3360:                             ;   in Loop: Header=BB2_3145 Depth=3
	s_andn2_saveexec_b64 s[68:69], s[68:69]
; %bb.3361:                             ;   in Loop: Header=BB2_3145 Depth=3
	v_mov_b32_e32 v0, -1
	v_cmp_gt_i16_sdwa vcc, sext(v21), v0 src0_sel:BYTE_0 src1_sel:DWORD
	v_mov_b32_e32 v0, 0xc7600000
	v_mov_b32_e32 v1, 0x47600000
	v_cndmask_b32_e32 v0, v0, v1, vcc
	v_cmp_eq_u32_e32 vcc, 0, v6
	v_mov_b32_e32 v1, 0x7f800001
	v_cndmask_b32_e32 v0, v1, v0, vcc
; %bb.3362:                             ;   in Loop: Header=BB2_3145 Depth=3
	s_or_b64 exec, exec, s[68:69]
.LBB2_3363:                             ;   in Loop: Header=BB2_3145 Depth=3
	s_or_b64 exec, exec, s[28:29]
.LBB2_3364:                             ;   in Loop: Header=BB2_3145 Depth=3
	s_or_b64 exec, exec, s[30:31]
	v_cmp_ne_u16_sdwa vcc, v17, v51 src0_sel:BYTE_0 src1_sel:DWORD
	s_and_saveexec_b64 s[28:29], vcc
	s_cbranch_execz .LBB2_3372
; %bb.3365:                             ;   in Loop: Header=BB2_3145 Depth=3
	v_cmp_ne_u16_sdwa vcc, v17, s97 src0_sel:BYTE_0 src1_sel:DWORD
	v_bfrev_b32_e32 v2, 1
	s_and_saveexec_b64 s[30:31], vcc
	s_cbranch_execz .LBB2_3371
; %bb.3366:                             ;   in Loop: Header=BB2_3145 Depth=3
	v_and_b32_e32 v1, 0x7c, v17
	v_and_b32_e32 v6, 3, v17
	v_cmp_ne_u32_e32 vcc, s95, v1
                                        ; implicit-def: $vgpr2
	s_and_saveexec_b64 s[68:69], vcc
	s_xor_b64 s[68:69], exec, s[68:69]
	s_cbranch_execz .LBB2_3368
; %bb.3367:                             ;   in Loop: Header=BB2_3145 Depth=3
	v_ffbh_u32_e32 v2, v6
	v_min_u32_e32 v2, 32, v2
	v_subrev_u32_e32 v7, 29, v2
	v_bfe_u32 v1, v17, 2, 5
	v_lshlrev_b64 v[14:15], v7, v[12:13]
	v_sub_u32_e32 v2, 30, v2
	v_and_b32_e32 v7, 3, v14
	v_cmp_eq_u32_e32 vcc, 0, v1
	v_cndmask_b32_e32 v1, v1, v2, vcc
	v_cndmask_b32_e32 v2, v6, v7, vcc
	v_bfrev_b32_e32 v7, 28
	v_lshlrev_b32_e32 v6, 24, v17
	v_lshl_add_u32 v1, v1, 23, v7
	v_and_or_b32 v1, v6, s96, v1
	v_lshl_or_b32 v2, v2, 21, v1
                                        ; implicit-def: $vgpr6
.LBB2_3368:                             ;   in Loop: Header=BB2_3145 Depth=3
	s_andn2_saveexec_b64 s[68:69], s[68:69]
; %bb.3369:                             ;   in Loop: Header=BB2_3145 Depth=3
	v_mov_b32_e32 v1, -1
	v_cmp_gt_i16_sdwa vcc, sext(v17), v1 src0_sel:BYTE_0 src1_sel:DWORD
	v_mov_b32_e32 v1, 0xc7600000
	v_mov_b32_e32 v2, 0x47600000
	v_cndmask_b32_e32 v1, v1, v2, vcc
	v_cmp_eq_u32_e32 vcc, 0, v6
	v_mov_b32_e32 v2, 0x7f800001
	v_cndmask_b32_e32 v2, v2, v1, vcc
; %bb.3370:                             ;   in Loop: Header=BB2_3145 Depth=3
	s_or_b64 exec, exec, s[68:69]
.LBB2_3371:                             ;   in Loop: Header=BB2_3145 Depth=3
	s_or_b64 exec, exec, s[30:31]
.LBB2_3372:                             ;   in Loop: Header=BB2_3145 Depth=3
	s_or_b64 exec, exec, s[28:29]
	v_max_f32_e32 v1, v2, v2
	v_max_f32_e32 v0, v0, v0
	v_min_f32_e32 v2, v0, v1
.LBB2_3373:                             ;   in Loop: Header=BB2_3145 Depth=3
	v_and_b32_sdwa v0, v2, s97 dst_sel:DWORD dst_unused:UNUSED_PAD src0_sel:BYTE_3 src1_sel:DWORD
	v_and_b32_e32 v6, 0x7f800000, v2
	v_mov_b32_e32 v7, v51
	v_and_b32_e32 v14, 0x7fffff, v2
	v_mov_b32_e32 v15, v51
	v_or_b32_e32 v46, 0x7b, v0
	v_cmp_ne_u64_e32 vcc, s[52:53], v[6:7]
	s_and_saveexec_b64 s[28:29], vcc
	s_xor_b64 s[30:31], exec, s[28:29]
	s_cbranch_execz .LBB2_3383
; %bb.3374:                             ;   in Loop: Header=BB2_3145 Depth=3
	v_and_b32_e32 v6, 0x7fffffff, v2
	v_mov_b32_e32 v7, v51
	v_cmp_gt_u64_e32 vcc, s[54:55], v[6:7]
	s_and_saveexec_b64 s[68:69], vcc
	s_cbranch_execz .LBB2_3382
; %bb.3375:                             ;   in Loop: Header=BB2_3145 Depth=3
	v_cmp_ne_u32_e32 vcc, 0, v2
	v_mov_b32_e32 v46, 0
	s_and_saveexec_b64 s[70:71], vcc
	s_cbranch_execz .LBB2_3381
; %bb.3376:                             ;   in Loop: Header=BB2_3145 Depth=3
	v_bfe_u32 v1, v2, 23, 8
	v_sub_u32_e32 v6, 0x71, v1
	v_cmp_gt_u32_e32 vcc, s38, v1
	v_add_u32_e32 v2, 0xffffff81, v1
	v_cndmask_b32_e32 v6, 0, v6, vcc
	v_cmp_eq_u32_e32 vcc, 0, v1
	v_mov_b32_e32 v1, 0xffffff82
	v_cndmask_b32_e32 v1, v2, v1, vcc
	v_mov_b32_e32 v2, 0x70
	v_cndmask_b32_e32 v2, v6, v2, vcc
	v_or_b32_e32 v7, 0x800000, v14
	v_add_u32_e32 v6, 21, v2
	v_cndmask_b32_e32 v14, v7, v14, vcc
	v_lshlrev_b64 v[6:7], v6, -1
	v_not_b32_e32 v6, v6
	v_and_b32_e32 v30, v14, v6
	v_add_u32_e32 v6, 20, v2
	v_lshrrev_b64 v[14:15], v2, v[14:15]
	v_mov_b32_e32 v13, v36
	v_not_b32_e32 v7, v7
	v_lshlrev_b64 v[36:37], v6, 1
	v_lshrrev_b32_e32 v6, 23, v14
	v_and_b32_e32 v31, 0, v7
	v_add3_u32 v7, v2, v1, v6
	v_bfe_u32 v1, v14, 21, 1
	v_add_u32_e32 v1, -1, v1
	v_cmp_eq_u64_e32 vcc, v[30:31], v[36:37]
	v_cndmask_b32_e32 v1, 0, v1, vcc
	v_add_u32_e32 v1, v1, v14
	v_and_b32_e32 v1, 0x1fffff, v1
	v_add_co_u32_e32 v14, vcc, v1, v14
	v_add_u32_e32 v6, 14, v7
	v_addc_co_u32_e32 v15, vcc, 0, v15, vcc
	v_cmp_ne_u32_e32 vcc, 0, v6
                                        ; implicit-def: $vgpr2
	s_and_saveexec_b64 s[28:29], vcc
	s_xor_b64 s[28:29], exec, s[28:29]
; %bb.3377:                             ;   in Loop: Header=BB2_3145 Depth=3
	v_add_u32_e32 v1, 15, v7
	v_cmp_lt_u64_e32 vcc, s[56:57], v[14:15]
	v_cndmask_b32_e32 v2, v6, v1, vcc
	v_cndmask_b32_e64 v1, 0, 1, vcc
	v_lshrrev_b64 v[14:15], v1, v[14:15]
; %bb.3378:                             ;   in Loop: Header=BB2_3145 Depth=3
	s_andn2_saveexec_b64 s[28:29], s[28:29]
; %bb.3379:                             ;   in Loop: Header=BB2_3145 Depth=3
	v_bfe_u32 v2, v14, 23, 1
; %bb.3380:                             ;   in Loop: Header=BB2_3145 Depth=3
	s_or_b64 exec, exec, s[28:29]
	v_lshrrev_b64 v[6:7], 21, v[14:15]
	v_cmp_gt_i32_e32 vcc, 32, v2
	v_cndmask_b32_e32 v7, 0, v7, vcc
	v_cndmask_b32_e32 v6, 3, v6, vcc
	v_min_i32_e32 v1, 31, v2
	v_cmp_eq_u32_e32 vcc, 0, v2
	v_cmp_eq_u64_e64 s[28:29], 0, v[6:7]
	v_lshlrev_b32_e32 v1, 2, v1
	v_and_or_b32 v1, v6, 3, v1
	s_and_b64 s[28:29], vcc, s[28:29]
	v_cndmask_b32_e64 v1, v1, 0, s[28:29]
	v_or_b32_e32 v46, v1, v0
	v_mov_b32_e32 v36, v13
.LBB2_3381:                             ;   in Loop: Header=BB2_3145 Depth=3
	s_or_b64 exec, exec, s[70:71]
.LBB2_3382:                             ;   in Loop: Header=BB2_3145 Depth=3
	s_or_b64 exec, exec, s[68:69]
                                        ; implicit-def: $vgpr2
                                        ; implicit-def: $vgpr14_vgpr15
.LBB2_3383:                             ;   in Loop: Header=BB2_3145 Depth=3
	s_andn2_saveexec_b64 s[28:29], s[30:31]
; %bb.3384:                             ;   in Loop: Header=BB2_3145 Depth=3
	v_or_b32_sdwa v0, v2, s39 dst_sel:DWORD dst_unused:UNUSED_PAD src0_sel:BYTE_3 src1_sel:DWORD
	v_cmp_eq_u64_e32 vcc, 0, v[14:15]
	v_cndmask_b32_e32 v46, v0, v46, vcc
; %bb.3385:                             ;   in Loop: Header=BB2_3145 Depth=3
	s_or_b64 exec, exec, s[28:29]
	v_lshrrev_b16_e32 v14, 8, v50
	v_lshrrev_b16_e32 v52, 8, v12
	v_cmp_ne_u16_e64 s[28:29], 0, v14
	s_and_b64 vcc, exec, s[66:67]
	s_cbranch_vccz .LBB2_3403
; %bb.3386:                             ;   in Loop: Header=BB2_3145 Depth=3
	v_mov_b32_e32 v2, 0
	v_mov_b32_e32 v0, 0
	s_and_saveexec_b64 s[30:31], s[28:29]
	s_cbranch_execz .LBB2_3394
; %bb.3387:                             ;   in Loop: Header=BB2_3145 Depth=3
	v_cmp_ne_u16_e32 vcc, s97, v14
	v_bfrev_b32_e32 v0, 1
	s_and_saveexec_b64 s[68:69], vcc
	s_cbranch_execz .LBB2_3393
; %bb.3388:                             ;   in Loop: Header=BB2_3145 Depth=3
	v_and_b32_e32 v0, 0x7c, v14
	v_and_b32_e32 v6, 3, v14
	v_cmp_ne_u32_e32 vcc, s95, v0
                                        ; implicit-def: $vgpr0
	s_and_saveexec_b64 s[70:71], vcc
	s_xor_b64 s[70:71], exec, s[70:71]
	s_cbranch_execz .LBB2_3390
; %bb.3389:                             ;   in Loop: Header=BB2_3145 Depth=3
	v_ffbh_u32_e32 v1, v6
	v_min_u32_e32 v1, 32, v1
	v_mov_b32_e32 v15, v51
	v_subrev_u32_e32 v7, 29, v1
	v_bfe_u32 v0, v14, 2, 5
	v_lshlrev_b64 v[30:31], v7, v[14:15]
	v_sub_u32_e32 v1, 30, v1
	v_and_b32_e32 v7, 3, v30
	v_cmp_eq_u32_e32 vcc, 0, v0
	v_cndmask_b32_e32 v0, v0, v1, vcc
	v_cndmask_b32_e32 v1, v6, v7, vcc
	v_bfrev_b32_e32 v7, 28
	v_lshlrev_b32_e32 v6, 16, v50
	v_lshl_add_u32 v0, v0, 23, v7
	v_and_or_b32 v0, v6, s96, v0
	v_lshl_or_b32 v0, v1, 21, v0
                                        ; implicit-def: $vgpr6
.LBB2_3390:                             ;   in Loop: Header=BB2_3145 Depth=3
	s_andn2_saveexec_b64 s[70:71], s[70:71]
; %bb.3391:                             ;   in Loop: Header=BB2_3145 Depth=3
	v_cmp_lt_i16_e32 vcc, -1, v50
	v_mov_b32_e32 v0, 0xc7600000
	v_mov_b32_e32 v1, 0x47600000
	v_cndmask_b32_e32 v0, v0, v1, vcc
	v_cmp_eq_u32_e32 vcc, 0, v6
	v_mov_b32_e32 v1, 0x7f800001
	v_cndmask_b32_e32 v0, v1, v0, vcc
; %bb.3392:                             ;   in Loop: Header=BB2_3145 Depth=3
	s_or_b64 exec, exec, s[70:71]
.LBB2_3393:                             ;   in Loop: Header=BB2_3145 Depth=3
	s_or_b64 exec, exec, s[68:69]
.LBB2_3394:                             ;   in Loop: Header=BB2_3145 Depth=3
	s_or_b64 exec, exec, s[30:31]
	v_cmp_ne_u16_e32 vcc, 0, v52
	s_and_saveexec_b64 s[30:31], vcc
	s_cbranch_execz .LBB2_3402
; %bb.3395:                             ;   in Loop: Header=BB2_3145 Depth=3
	v_cmp_ne_u16_e32 vcc, s97, v52
	v_bfrev_b32_e32 v2, 1
	s_and_saveexec_b64 s[68:69], vcc
	s_cbranch_execz .LBB2_3401
; %bb.3396:                             ;   in Loop: Header=BB2_3145 Depth=3
	v_and_b32_e32 v1, 0x7c, v52
	v_and_b32_e32 v6, 3, v52
	v_cmp_ne_u32_e32 vcc, s95, v1
                                        ; implicit-def: $vgpr2
	s_and_saveexec_b64 s[70:71], vcc
	s_xor_b64 s[70:71], exec, s[70:71]
	s_cbranch_execz .LBB2_3398
; %bb.3397:                             ;   in Loop: Header=BB2_3145 Depth=3
	v_ffbh_u32_e32 v2, v6
	v_min_u32_e32 v2, 32, v2
	v_mov_b32_e32 v53, v51
	v_subrev_u32_e32 v7, 29, v2
	v_bfe_u32 v1, v52, 2, 5
	v_lshlrev_b64 v[30:31], v7, v[52:53]
	v_sub_u32_e32 v2, 30, v2
	v_and_b32_e32 v7, 3, v30
	v_cmp_eq_u32_e32 vcc, 0, v1
	v_cndmask_b32_e32 v1, v1, v2, vcc
	v_cndmask_b32_e32 v2, v6, v7, vcc
	v_bfrev_b32_e32 v7, 28
	v_lshlrev_b32_e32 v6, 16, v12
	v_lshl_add_u32 v1, v1, 23, v7
	v_and_or_b32 v1, v6, s96, v1
	v_lshl_or_b32 v2, v2, 21, v1
                                        ; implicit-def: $vgpr6
.LBB2_3398:                             ;   in Loop: Header=BB2_3145 Depth=3
	s_andn2_saveexec_b64 s[70:71], s[70:71]
; %bb.3399:                             ;   in Loop: Header=BB2_3145 Depth=3
	v_cmp_lt_i16_e32 vcc, -1, v12
	v_mov_b32_e32 v1, 0xc7600000
	v_mov_b32_e32 v2, 0x47600000
	v_cndmask_b32_e32 v1, v1, v2, vcc
	v_cmp_eq_u32_e32 vcc, 0, v6
	v_mov_b32_e32 v2, 0x7f800001
	v_cndmask_b32_e32 v2, v2, v1, vcc
; %bb.3400:                             ;   in Loop: Header=BB2_3145 Depth=3
	s_or_b64 exec, exec, s[70:71]
.LBB2_3401:                             ;   in Loop: Header=BB2_3145 Depth=3
	s_or_b64 exec, exec, s[68:69]
.LBB2_3402:                             ;   in Loop: Header=BB2_3145 Depth=3
	s_or_b64 exec, exec, s[30:31]
	v_max_f32_e32 v1, v2, v2
	v_max_f32_e32 v0, v0, v0
	;; [unrolled: 1-line block ×3, first 2 shown]
	s_branch .LBB2_3421
.LBB2_3403:                             ;   in Loop: Header=BB2_3145 Depth=3
                                        ; implicit-def: $vgpr2
	s_cbranch_execz .LBB2_3421
; %bb.3404:                             ;   in Loop: Header=BB2_3145 Depth=3
	v_mov_b32_e32 v2, 0
	v_mov_b32_e32 v0, 0
	s_and_saveexec_b64 s[30:31], s[28:29]
	s_cbranch_execz .LBB2_3412
; %bb.3405:                             ;   in Loop: Header=BB2_3145 Depth=3
	v_cmp_ne_u16_e32 vcc, s97, v14
	v_bfrev_b32_e32 v0, 1
	s_and_saveexec_b64 s[28:29], vcc
	s_cbranch_execz .LBB2_3411
; %bb.3406:                             ;   in Loop: Header=BB2_3145 Depth=3
	v_and_b32_e32 v0, 0x7c, v14
	v_and_b32_e32 v6, 3, v14
	v_cmp_ne_u32_e32 vcc, s95, v0
                                        ; implicit-def: $vgpr0
	s_and_saveexec_b64 s[68:69], vcc
	s_xor_b64 s[68:69], exec, s[68:69]
	s_cbranch_execz .LBB2_3408
; %bb.3407:                             ;   in Loop: Header=BB2_3145 Depth=3
	v_ffbh_u32_e32 v1, v6
	v_min_u32_e32 v1, 32, v1
	v_mov_b32_e32 v15, v51
	v_subrev_u32_e32 v7, 29, v1
	v_bfe_u32 v0, v14, 2, 5
	v_lshlrev_b64 v[14:15], v7, v[14:15]
	v_sub_u32_e32 v1, 30, v1
	v_and_b32_e32 v7, 3, v14
	v_cmp_eq_u32_e32 vcc, 0, v0
	v_cndmask_b32_e32 v0, v0, v1, vcc
	v_cndmask_b32_e32 v1, v6, v7, vcc
	v_bfrev_b32_e32 v7, 28
	v_lshlrev_b32_e32 v6, 16, v50
	v_lshl_add_u32 v0, v0, 23, v7
	v_and_or_b32 v0, v6, s96, v0
	v_lshl_or_b32 v0, v1, 21, v0
                                        ; implicit-def: $vgpr6
.LBB2_3408:                             ;   in Loop: Header=BB2_3145 Depth=3
	s_andn2_saveexec_b64 s[68:69], s[68:69]
; %bb.3409:                             ;   in Loop: Header=BB2_3145 Depth=3
	v_cmp_lt_i16_e32 vcc, -1, v50
	v_mov_b32_e32 v0, 0xc7600000
	v_mov_b32_e32 v1, 0x47600000
	v_cndmask_b32_e32 v0, v0, v1, vcc
	v_cmp_eq_u32_e32 vcc, 0, v6
	v_mov_b32_e32 v1, 0x7f800001
	v_cndmask_b32_e32 v0, v1, v0, vcc
; %bb.3410:                             ;   in Loop: Header=BB2_3145 Depth=3
	s_or_b64 exec, exec, s[68:69]
.LBB2_3411:                             ;   in Loop: Header=BB2_3145 Depth=3
	s_or_b64 exec, exec, s[28:29]
.LBB2_3412:                             ;   in Loop: Header=BB2_3145 Depth=3
	s_or_b64 exec, exec, s[30:31]
	v_cmp_ne_u16_e32 vcc, 0, v52
	s_and_saveexec_b64 s[28:29], vcc
	s_cbranch_execz .LBB2_3420
; %bb.3413:                             ;   in Loop: Header=BB2_3145 Depth=3
	v_cmp_ne_u16_e32 vcc, s97, v52
	v_bfrev_b32_e32 v2, 1
	s_and_saveexec_b64 s[30:31], vcc
	s_cbranch_execz .LBB2_3419
; %bb.3414:                             ;   in Loop: Header=BB2_3145 Depth=3
	v_and_b32_e32 v1, 0x7c, v52
	v_and_b32_e32 v6, 3, v52
	v_cmp_ne_u32_e32 vcc, s95, v1
                                        ; implicit-def: $vgpr2
	s_and_saveexec_b64 s[68:69], vcc
	s_xor_b64 s[68:69], exec, s[68:69]
	s_cbranch_execz .LBB2_3416
; %bb.3415:                             ;   in Loop: Header=BB2_3145 Depth=3
	v_ffbh_u32_e32 v2, v6
	v_min_u32_e32 v2, 32, v2
	v_mov_b32_e32 v53, v51
	v_subrev_u32_e32 v7, 29, v2
	v_bfe_u32 v1, v52, 2, 5
	v_lshlrev_b64 v[14:15], v7, v[52:53]
	v_sub_u32_e32 v2, 30, v2
	v_and_b32_e32 v7, 3, v14
	v_cmp_eq_u32_e32 vcc, 0, v1
	v_cndmask_b32_e32 v1, v1, v2, vcc
	v_cndmask_b32_e32 v2, v6, v7, vcc
	v_bfrev_b32_e32 v7, 28
	v_lshlrev_b32_e32 v6, 16, v12
	v_lshl_add_u32 v1, v1, 23, v7
	v_and_or_b32 v1, v6, s96, v1
	v_lshl_or_b32 v2, v2, 21, v1
                                        ; implicit-def: $vgpr6
                                        ; implicit-def: $vgpr12_vgpr13
.LBB2_3416:                             ;   in Loop: Header=BB2_3145 Depth=3
	s_andn2_saveexec_b64 s[68:69], s[68:69]
; %bb.3417:                             ;   in Loop: Header=BB2_3145 Depth=3
	v_cmp_lt_i16_e32 vcc, -1, v12
	v_mov_b32_e32 v1, 0xc7600000
	v_mov_b32_e32 v2, 0x47600000
	v_cndmask_b32_e32 v1, v1, v2, vcc
	v_cmp_eq_u32_e32 vcc, 0, v6
	v_mov_b32_e32 v2, 0x7f800001
	v_cndmask_b32_e32 v2, v2, v1, vcc
; %bb.3418:                             ;   in Loop: Header=BB2_3145 Depth=3
	s_or_b64 exec, exec, s[68:69]
.LBB2_3419:                             ;   in Loop: Header=BB2_3145 Depth=3
	s_or_b64 exec, exec, s[30:31]
.LBB2_3420:                             ;   in Loop: Header=BB2_3145 Depth=3
	s_or_b64 exec, exec, s[28:29]
	v_max_f32_e32 v1, v2, v2
	v_max_f32_e32 v0, v0, v0
	v_min_f32_e32 v2, v0, v1
.LBB2_3421:                             ;   in Loop: Header=BB2_3145 Depth=3
	v_and_b32_sdwa v0, v2, s97 dst_sel:DWORD dst_unused:UNUSED_PAD src0_sel:BYTE_3 src1_sel:DWORD
	v_and_b32_e32 v6, 0x7f800000, v2
	v_mov_b32_e32 v7, v51
	v_and_b32_e32 v50, 0x7fffff, v2
	v_or_b32_e32 v1, 0x7b, v0
	v_cmp_ne_u64_e32 vcc, s[52:53], v[6:7]
	s_and_saveexec_b64 s[28:29], vcc
	s_xor_b64 s[30:31], exec, s[28:29]
	s_cbranch_execz .LBB2_3431
; %bb.3422:                             ;   in Loop: Header=BB2_3145 Depth=3
	v_and_b32_e32 v6, 0x7fffffff, v2
	v_mov_b32_e32 v7, v51
	v_cmp_gt_u64_e32 vcc, s[54:55], v[6:7]
	s_and_saveexec_b64 s[68:69], vcc
	s_cbranch_execz .LBB2_3430
; %bb.3423:                             ;   in Loop: Header=BB2_3145 Depth=3
	v_cmp_ne_u32_e32 vcc, 0, v2
	v_mov_b32_e32 v1, 0
	s_and_saveexec_b64 s[70:71], vcc
	s_cbranch_execz .LBB2_3429
; %bb.3424:                             ;   in Loop: Header=BB2_3145 Depth=3
	v_bfe_u32 v1, v2, 23, 8
	v_sub_u32_e32 v6, 0x71, v1
	v_cmp_gt_u32_e32 vcc, s38, v1
	v_add_u32_e32 v2, 0xffffff81, v1
	v_cndmask_b32_e32 v6, 0, v6, vcc
	v_cmp_eq_u32_e32 vcc, 0, v1
	v_mov_b32_e32 v1, 0xffffff82
	v_cndmask_b32_e32 v1, v2, v1, vcc
	v_mov_b32_e32 v2, 0x70
	v_cndmask_b32_e32 v2, v6, v2, vcc
	v_or_b32_e32 v7, 0x800000, v50
	v_add_u32_e32 v6, 21, v2
	v_cndmask_b32_e32 v50, v7, v50, vcc
	v_lshlrev_b64 v[6:7], v6, -1
	v_not_b32_e32 v6, v6
	v_and_b32_e32 v12, v50, v6
	v_add_u32_e32 v6, 20, v2
	v_lshrrev_b64 v[30:31], v2, v[50:51]
	v_not_b32_e32 v7, v7
	v_lshlrev_b64 v[14:15], v6, 1
	v_lshrrev_b32_e32 v6, 23, v30
	v_and_b32_e32 v13, 0, v7
	v_add3_u32 v7, v2, v1, v6
	v_bfe_u32 v1, v30, 21, 1
	v_add_u32_e32 v1, -1, v1
	v_cmp_eq_u64_e32 vcc, v[12:13], v[14:15]
	v_cndmask_b32_e32 v1, 0, v1, vcc
	v_add_u32_e32 v1, v1, v30
	v_and_b32_e32 v1, 0x1fffff, v1
	v_add_co_u32_e32 v12, vcc, v1, v30
	v_add_u32_e32 v6, 14, v7
	v_addc_co_u32_e32 v13, vcc, 0, v31, vcc
	v_cmp_ne_u32_e32 vcc, 0, v6
                                        ; implicit-def: $vgpr2
	s_and_saveexec_b64 s[28:29], vcc
	s_xor_b64 s[28:29], exec, s[28:29]
; %bb.3425:                             ;   in Loop: Header=BB2_3145 Depth=3
	v_add_u32_e32 v1, 15, v7
	v_cmp_lt_u64_e32 vcc, s[56:57], v[12:13]
	v_cndmask_b32_e32 v2, v6, v1, vcc
	v_cndmask_b32_e64 v1, 0, 1, vcc
	v_lshrrev_b64 v[12:13], v1, v[12:13]
; %bb.3426:                             ;   in Loop: Header=BB2_3145 Depth=3
	s_andn2_saveexec_b64 s[28:29], s[28:29]
; %bb.3427:                             ;   in Loop: Header=BB2_3145 Depth=3
	v_bfe_u32 v2, v12, 23, 1
; %bb.3428:                             ;   in Loop: Header=BB2_3145 Depth=3
	s_or_b64 exec, exec, s[28:29]
	v_lshrrev_b64 v[6:7], 21, v[12:13]
	v_cmp_gt_i32_e32 vcc, 32, v2
	v_cndmask_b32_e32 v7, 0, v7, vcc
	v_cndmask_b32_e32 v6, 3, v6, vcc
	v_min_i32_e32 v1, 31, v2
	v_cmp_eq_u32_e32 vcc, 0, v2
	v_cmp_eq_u64_e64 s[28:29], 0, v[6:7]
	v_lshlrev_b32_e32 v1, 2, v1
	v_and_or_b32 v1, v6, 3, v1
	s_and_b64 s[28:29], vcc, s[28:29]
	v_cndmask_b32_e64 v1, v1, 0, s[28:29]
	v_or_b32_e32 v1, v1, v0
.LBB2_3429:                             ;   in Loop: Header=BB2_3145 Depth=3
	s_or_b64 exec, exec, s[70:71]
.LBB2_3430:                             ;   in Loop: Header=BB2_3145 Depth=3
	s_or_b64 exec, exec, s[68:69]
                                        ; implicit-def: $vgpr2
.LBB2_3431:                             ;   in Loop: Header=BB2_3145 Depth=3
	s_andn2_saveexec_b64 s[28:29], s[30:31]
; %bb.3432:                             ;   in Loop: Header=BB2_3145 Depth=3
	v_or_b32_sdwa v0, v2, s39 dst_sel:DWORD dst_unused:UNUSED_PAD src0_sel:BYTE_3 src1_sel:DWORD
	v_cmp_eq_u64_e32 vcc, 0, v[50:51]
	v_cndmask_b32_e32 v1, v0, v1, vcc
; %bb.3433:                             ;   in Loop: Header=BB2_3145 Depth=3
	s_or_b64 exec, exec, s[28:29]
	v_lshrrev_b32_e32 v14, 16, v21
	v_lshrrev_b32_e32 v12, 16, v17
	v_cmp_ne_u16_sdwa s[28:29], v14, v51 src0_sel:BYTE_0 src1_sel:DWORD
	s_and_b64 vcc, exec, s[66:67]
	s_cbranch_vccz .LBB2_3451
; %bb.3434:                             ;   in Loop: Header=BB2_3145 Depth=3
	v_mov_b32_e32 v2, 0
	v_mov_b32_e32 v0, 0
	s_and_saveexec_b64 s[30:31], s[28:29]
	s_cbranch_execz .LBB2_3442
; %bb.3435:                             ;   in Loop: Header=BB2_3145 Depth=3
	v_cmp_ne_u16_sdwa vcc, v14, s97 src0_sel:BYTE_0 src1_sel:DWORD
	v_bfrev_b32_e32 v0, 1
	s_and_saveexec_b64 s[68:69], vcc
	s_cbranch_execz .LBB2_3441
; %bb.3436:                             ;   in Loop: Header=BB2_3145 Depth=3
	v_and_b32_e32 v0, 0x7c0000, v21
	v_bfe_u32 v6, v21, 16, 2
	v_cmp_ne_u32_e32 vcc, s36, v0
                                        ; implicit-def: $vgpr0
	s_and_saveexec_b64 s[70:71], vcc
	s_xor_b64 s[70:71], exec, s[70:71]
	s_cbranch_execz .LBB2_3438
; %bb.3437:                             ;   in Loop: Header=BB2_3145 Depth=3
	v_ffbh_u32_e32 v7, v6
	v_min_u32_e32 v7, 32, v7
	v_subrev_u32_e32 v13, 29, v7
	v_bfe_u32 v0, v21, 18, 5
	v_lshlrev_b64 v[30:31], v13, v[14:15]
	v_sub_u32_e32 v7, 30, v7
	v_and_b32_e32 v13, 3, v30
	v_cmp_eq_u32_e32 vcc, 0, v0
	v_cndmask_b32_e32 v0, v0, v7, vcc
	v_cndmask_b32_e32 v6, v6, v13, vcc
	v_bfrev_b32_e32 v13, 28
	v_lshlrev_b32_e32 v7, 24, v14
	v_lshl_add_u32 v0, v0, 23, v13
	v_and_or_b32 v0, v7, s96, v0
	v_lshl_or_b32 v0, v6, 21, v0
                                        ; implicit-def: $vgpr6
.LBB2_3438:                             ;   in Loop: Header=BB2_3145 Depth=3
	s_andn2_saveexec_b64 s[70:71], s[70:71]
; %bb.3439:                             ;   in Loop: Header=BB2_3145 Depth=3
	v_mov_b32_e32 v0, -1
	v_cmp_gt_i16_sdwa vcc, sext(v14), v0 src0_sel:BYTE_0 src1_sel:DWORD
	v_mov_b32_e32 v0, 0xc7600000
	v_mov_b32_e32 v7, 0x47600000
	v_cndmask_b32_e32 v0, v0, v7, vcc
	v_cmp_eq_u32_e32 vcc, 0, v6
	v_mov_b32_e32 v6, 0x7f800001
	v_cndmask_b32_e32 v0, v6, v0, vcc
; %bb.3440:                             ;   in Loop: Header=BB2_3145 Depth=3
	s_or_b64 exec, exec, s[70:71]
.LBB2_3441:                             ;   in Loop: Header=BB2_3145 Depth=3
	s_or_b64 exec, exec, s[68:69]
.LBB2_3442:                             ;   in Loop: Header=BB2_3145 Depth=3
	s_or_b64 exec, exec, s[30:31]
	v_cmp_ne_u16_sdwa vcc, v12, v51 src0_sel:BYTE_0 src1_sel:DWORD
	s_and_saveexec_b64 s[30:31], vcc
	s_cbranch_execz .LBB2_3450
; %bb.3443:                             ;   in Loop: Header=BB2_3145 Depth=3
	v_cmp_ne_u16_sdwa vcc, v12, s97 src0_sel:BYTE_0 src1_sel:DWORD
	v_bfrev_b32_e32 v2, 1
	s_and_saveexec_b64 s[68:69], vcc
	s_cbranch_execz .LBB2_3449
; %bb.3444:                             ;   in Loop: Header=BB2_3145 Depth=3
	v_and_b32_e32 v2, 0x7c0000, v17
	v_bfe_u32 v6, v17, 16, 2
	v_cmp_ne_u32_e32 vcc, s36, v2
                                        ; implicit-def: $vgpr2
	s_and_saveexec_b64 s[70:71], vcc
	s_xor_b64 s[70:71], exec, s[70:71]
	s_cbranch_execz .LBB2_3446
; %bb.3445:                             ;   in Loop: Header=BB2_3145 Depth=3
	v_ffbh_u32_e32 v7, v6
	v_min_u32_e32 v7, 32, v7
	v_subrev_u32_e32 v13, 29, v7
	v_bfe_u32 v2, v17, 18, 5
	v_lshlrev_b64 v[30:31], v13, v[12:13]
	v_sub_u32_e32 v7, 30, v7
	v_and_b32_e32 v13, 3, v30
	v_cmp_eq_u32_e32 vcc, 0, v2
	v_cndmask_b32_e32 v2, v2, v7, vcc
	v_cndmask_b32_e32 v6, v6, v13, vcc
	v_bfrev_b32_e32 v13, 28
	v_lshlrev_b32_e32 v7, 24, v12
	v_lshl_add_u32 v2, v2, 23, v13
	v_and_or_b32 v2, v7, s96, v2
	v_lshl_or_b32 v2, v6, 21, v2
                                        ; implicit-def: $vgpr6
.LBB2_3446:                             ;   in Loop: Header=BB2_3145 Depth=3
	s_andn2_saveexec_b64 s[70:71], s[70:71]
; %bb.3447:                             ;   in Loop: Header=BB2_3145 Depth=3
	v_mov_b32_e32 v2, -1
	v_cmp_gt_i16_sdwa vcc, sext(v12), v2 src0_sel:BYTE_0 src1_sel:DWORD
	v_mov_b32_e32 v2, 0xc7600000
	v_mov_b32_e32 v7, 0x47600000
	v_cndmask_b32_e32 v2, v2, v7, vcc
	v_cmp_eq_u32_e32 vcc, 0, v6
	v_mov_b32_e32 v6, 0x7f800001
	v_cndmask_b32_e32 v2, v6, v2, vcc
; %bb.3448:                             ;   in Loop: Header=BB2_3145 Depth=3
	s_or_b64 exec, exec, s[70:71]
.LBB2_3449:                             ;   in Loop: Header=BB2_3145 Depth=3
	s_or_b64 exec, exec, s[68:69]
.LBB2_3450:                             ;   in Loop: Header=BB2_3145 Depth=3
	s_or_b64 exec, exec, s[30:31]
	v_max_f32_e32 v2, v2, v2
	v_max_f32_e32 v0, v0, v0
	;; [unrolled: 1-line block ×3, first 2 shown]
	s_branch .LBB2_3469
.LBB2_3451:                             ;   in Loop: Header=BB2_3145 Depth=3
                                        ; implicit-def: $vgpr2
	s_cbranch_execz .LBB2_3469
; %bb.3452:                             ;   in Loop: Header=BB2_3145 Depth=3
	v_mov_b32_e32 v2, 0
	v_mov_b32_e32 v0, 0
	s_and_saveexec_b64 s[30:31], s[28:29]
	s_cbranch_execz .LBB2_3460
; %bb.3453:                             ;   in Loop: Header=BB2_3145 Depth=3
	v_cmp_ne_u16_sdwa vcc, v14, s97 src0_sel:BYTE_0 src1_sel:DWORD
	v_bfrev_b32_e32 v0, 1
	s_and_saveexec_b64 s[28:29], vcc
	s_cbranch_execz .LBB2_3459
; %bb.3454:                             ;   in Loop: Header=BB2_3145 Depth=3
	v_and_b32_e32 v0, 0x7c0000, v21
	v_bfe_u32 v6, v21, 16, 2
	v_cmp_ne_u32_e32 vcc, s36, v0
                                        ; implicit-def: $vgpr0
	s_and_saveexec_b64 s[68:69], vcc
	s_xor_b64 s[68:69], exec, s[68:69]
	s_cbranch_execz .LBB2_3456
; %bb.3455:                             ;   in Loop: Header=BB2_3145 Depth=3
	v_ffbh_u32_e32 v7, v6
	v_min_u32_e32 v7, 32, v7
	v_subrev_u32_e32 v13, 29, v7
	v_bfe_u32 v0, v21, 18, 5
	v_lshlrev_b64 v[30:31], v13, v[14:15]
	v_sub_u32_e32 v7, 30, v7
	v_and_b32_e32 v13, 3, v30
	v_cmp_eq_u32_e32 vcc, 0, v0
	v_cndmask_b32_e32 v0, v0, v7, vcc
	v_cndmask_b32_e32 v6, v6, v13, vcc
	v_bfrev_b32_e32 v13, 28
	v_lshlrev_b32_e32 v7, 24, v14
	v_lshl_add_u32 v0, v0, 23, v13
	v_and_or_b32 v0, v7, s96, v0
	v_lshl_or_b32 v0, v6, 21, v0
                                        ; implicit-def: $vgpr6
                                        ; implicit-def: $vgpr14
.LBB2_3456:                             ;   in Loop: Header=BB2_3145 Depth=3
	s_andn2_saveexec_b64 s[68:69], s[68:69]
; %bb.3457:                             ;   in Loop: Header=BB2_3145 Depth=3
	v_mov_b32_e32 v0, -1
	v_cmp_gt_i16_sdwa vcc, sext(v14), v0 src0_sel:BYTE_0 src1_sel:DWORD
	v_mov_b32_e32 v0, 0xc7600000
	v_mov_b32_e32 v7, 0x47600000
	v_cndmask_b32_e32 v0, v0, v7, vcc
	v_cmp_eq_u32_e32 vcc, 0, v6
	v_mov_b32_e32 v6, 0x7f800001
	v_cndmask_b32_e32 v0, v6, v0, vcc
; %bb.3458:                             ;   in Loop: Header=BB2_3145 Depth=3
	s_or_b64 exec, exec, s[68:69]
.LBB2_3459:                             ;   in Loop: Header=BB2_3145 Depth=3
	s_or_b64 exec, exec, s[28:29]
.LBB2_3460:                             ;   in Loop: Header=BB2_3145 Depth=3
	s_or_b64 exec, exec, s[30:31]
	v_cmp_ne_u16_sdwa vcc, v12, v51 src0_sel:BYTE_0 src1_sel:DWORD
	s_and_saveexec_b64 s[28:29], vcc
	s_cbranch_execz .LBB2_3468
; %bb.3461:                             ;   in Loop: Header=BB2_3145 Depth=3
	v_cmp_ne_u16_sdwa vcc, v12, s97 src0_sel:BYTE_0 src1_sel:DWORD
	v_bfrev_b32_e32 v2, 1
	s_and_saveexec_b64 s[30:31], vcc
	s_cbranch_execz .LBB2_3467
; %bb.3462:                             ;   in Loop: Header=BB2_3145 Depth=3
	v_and_b32_e32 v2, 0x7c0000, v17
	v_bfe_u32 v6, v17, 16, 2
	v_cmp_ne_u32_e32 vcc, s36, v2
                                        ; implicit-def: $vgpr2
	s_and_saveexec_b64 s[68:69], vcc
	s_xor_b64 s[68:69], exec, s[68:69]
	s_cbranch_execz .LBB2_3464
; %bb.3463:                             ;   in Loop: Header=BB2_3145 Depth=3
	v_ffbh_u32_e32 v7, v6
	v_bfe_u32 v2, v17, 18, 5
	v_min_u32_e32 v7, 32, v7
	v_subrev_u32_e32 v13, 29, v7
	v_sub_u32_e32 v7, 30, v7
	v_cmp_eq_u32_e32 vcc, 0, v2
	v_lshlrev_b64 v[14:15], v13, v[12:13]
	v_cndmask_b32_e32 v2, v2, v7, vcc
	v_lshlrev_b32_e32 v7, 24, v12
	v_bfrev_b32_e32 v12, 28
	v_and_b32_e32 v13, 3, v14
	v_lshl_add_u32 v2, v2, 23, v12
	v_cndmask_b32_e32 v6, v6, v13, vcc
	v_and_or_b32 v2, v7, s96, v2
	v_lshl_or_b32 v2, v6, 21, v2
                                        ; implicit-def: $vgpr6
                                        ; implicit-def: $vgpr12
.LBB2_3464:                             ;   in Loop: Header=BB2_3145 Depth=3
	s_andn2_saveexec_b64 s[68:69], s[68:69]
; %bb.3465:                             ;   in Loop: Header=BB2_3145 Depth=3
	v_mov_b32_e32 v2, -1
	v_cmp_gt_i16_sdwa vcc, sext(v12), v2 src0_sel:BYTE_0 src1_sel:DWORD
	v_mov_b32_e32 v2, 0xc7600000
	v_mov_b32_e32 v7, 0x47600000
	v_cndmask_b32_e32 v2, v2, v7, vcc
	v_cmp_eq_u32_e32 vcc, 0, v6
	v_mov_b32_e32 v6, 0x7f800001
	v_cndmask_b32_e32 v2, v6, v2, vcc
; %bb.3466:                             ;   in Loop: Header=BB2_3145 Depth=3
	s_or_b64 exec, exec, s[68:69]
.LBB2_3467:                             ;   in Loop: Header=BB2_3145 Depth=3
	s_or_b64 exec, exec, s[30:31]
.LBB2_3468:                             ;   in Loop: Header=BB2_3145 Depth=3
	s_or_b64 exec, exec, s[28:29]
	v_max_f32_e32 v2, v2, v2
	v_max_f32_e32 v0, v0, v0
	v_min_f32_e32 v2, v0, v2
.LBB2_3469:                             ;   in Loop: Header=BB2_3145 Depth=3
	v_and_b32_sdwa v0, v2, s97 dst_sel:DWORD dst_unused:UNUSED_PAD src0_sel:BYTE_3 src1_sel:DWORD
	v_and_b32_e32 v6, 0x7f800000, v2
	v_mov_b32_e32 v7, v51
	v_and_b32_e32 v50, 0x7fffff, v2
	v_or_b32_e32 v52, 0x7b, v0
	v_cmp_ne_u64_e32 vcc, s[52:53], v[6:7]
	s_and_saveexec_b64 s[28:29], vcc
	s_xor_b64 s[30:31], exec, s[28:29]
	s_cbranch_execz .LBB2_3479
; %bb.3470:                             ;   in Loop: Header=BB2_3145 Depth=3
	v_and_b32_e32 v6, 0x7fffffff, v2
	v_mov_b32_e32 v7, v51
	v_cmp_gt_u64_e32 vcc, s[54:55], v[6:7]
	s_and_saveexec_b64 s[68:69], vcc
	s_cbranch_execz .LBB2_3478
; %bb.3471:                             ;   in Loop: Header=BB2_3145 Depth=3
	v_cmp_ne_u32_e32 vcc, 0, v2
	v_mov_b32_e32 v52, 0
	s_and_saveexec_b64 s[70:71], vcc
	s_cbranch_execz .LBB2_3477
; %bb.3472:                             ;   in Loop: Header=BB2_3145 Depth=3
	v_bfe_u32 v2, v2, 23, 8
	v_sub_u32_e32 v7, 0x71, v2
	v_cmp_gt_u32_e32 vcc, s38, v2
	v_add_u32_e32 v6, 0xffffff81, v2
	v_cndmask_b32_e32 v7, 0, v7, vcc
	v_cmp_eq_u32_e32 vcc, 0, v2
	v_mov_b32_e32 v2, 0xffffff82
	v_cndmask_b32_e32 v2, v6, v2, vcc
	v_mov_b32_e32 v6, 0x70
	v_cndmask_b32_e32 v24, v7, v6, vcc
	v_add_u32_e32 v6, 21, v24
	v_or_b32_e32 v12, 0x800000, v50
	v_lshlrev_b64 v[6:7], v6, -1
	v_cndmask_b32_e32 v50, v12, v50, vcc
	v_not_b32_e32 v6, v6
	v_and_b32_e32 v12, v50, v6
	v_add_u32_e32 v6, 20, v24
	v_lshrrev_b64 v[30:31], v24, v[50:51]
	v_not_b32_e32 v7, v7
	v_lshlrev_b64 v[14:15], v6, 1
	v_lshrrev_b32_e32 v6, 23, v30
	v_and_b32_e32 v13, 0, v7
	v_add3_u32 v7, v24, v2, v6
	v_bfe_u32 v2, v30, 21, 1
	v_add_u32_e32 v2, -1, v2
	v_cmp_eq_u64_e32 vcc, v[12:13], v[14:15]
	v_cndmask_b32_e32 v2, 0, v2, vcc
	v_add_u32_e32 v2, v2, v30
	v_and_b32_e32 v2, 0x1fffff, v2
	v_add_co_u32_e32 v12, vcc, v2, v30
	v_add_u32_e32 v6, 14, v7
	v_addc_co_u32_e32 v13, vcc, 0, v31, vcc
	v_cmp_ne_u32_e32 vcc, 0, v6
                                        ; implicit-def: $vgpr2
	s_and_saveexec_b64 s[28:29], vcc
	s_xor_b64 s[28:29], exec, s[28:29]
; %bb.3473:                             ;   in Loop: Header=BB2_3145 Depth=3
	v_add_u32_e32 v2, 15, v7
	v_cmp_lt_u64_e32 vcc, s[56:57], v[12:13]
	v_cndmask_b32_e32 v2, v6, v2, vcc
	v_cndmask_b32_e64 v6, 0, 1, vcc
	v_lshrrev_b64 v[12:13], v6, v[12:13]
; %bb.3474:                             ;   in Loop: Header=BB2_3145 Depth=3
	s_andn2_saveexec_b64 s[28:29], s[28:29]
; %bb.3475:                             ;   in Loop: Header=BB2_3145 Depth=3
	v_bfe_u32 v2, v12, 23, 1
; %bb.3476:                             ;   in Loop: Header=BB2_3145 Depth=3
	s_or_b64 exec, exec, s[28:29]
	v_lshrrev_b64 v[6:7], 21, v[12:13]
	v_cmp_gt_i32_e32 vcc, 32, v2
	v_cndmask_b32_e32 v7, 0, v7, vcc
	v_cndmask_b32_e32 v6, 3, v6, vcc
	v_cmp_eq_u32_e32 vcc, 0, v2
	v_min_i32_e32 v2, 31, v2
	v_cmp_eq_u64_e64 s[28:29], 0, v[6:7]
	v_lshlrev_b32_e32 v2, 2, v2
	v_and_or_b32 v2, v6, 3, v2
	s_and_b64 s[28:29], vcc, s[28:29]
	v_cndmask_b32_e64 v2, v2, 0, s[28:29]
	v_or_b32_e32 v52, v2, v0
.LBB2_3477:                             ;   in Loop: Header=BB2_3145 Depth=3
	s_or_b64 exec, exec, s[70:71]
.LBB2_3478:                             ;   in Loop: Header=BB2_3145 Depth=3
	s_or_b64 exec, exec, s[68:69]
                                        ; implicit-def: $vgpr2
.LBB2_3479:                             ;   in Loop: Header=BB2_3145 Depth=3
	s_andn2_saveexec_b64 s[28:29], s[30:31]
; %bb.3480:                             ;   in Loop: Header=BB2_3145 Depth=3
	v_or_b32_sdwa v0, v2, s39 dst_sel:DWORD dst_unused:UNUSED_PAD src0_sel:BYTE_3 src1_sel:DWORD
	v_cmp_eq_u64_e32 vcc, 0, v[50:51]
	v_cndmask_b32_e32 v52, v0, v52, vcc
; %bb.3481:                             ;   in Loop: Header=BB2_3145 Depth=3
	s_or_b64 exec, exec, s[28:29]
	v_lshrrev_b32_e32 v14, 24, v21
	v_lshrrev_b32_e32 v12, 24, v17
	v_cmp_lt_u64_e64 s[28:29], s[42:43], v[20:21]
	s_and_b64 vcc, exec, s[66:67]
	s_cbranch_vccz .LBB2_3499
; %bb.3482:                             ;   in Loop: Header=BB2_3145 Depth=3
	v_mov_b32_e32 v2, 0
	v_mov_b32_e32 v0, 0
	s_and_saveexec_b64 s[30:31], s[28:29]
	s_cbranch_execz .LBB2_3490
; %bb.3483:                             ;   in Loop: Header=BB2_3145 Depth=3
	v_cmp_ne_u32_e32 vcc, s97, v14
	v_bfrev_b32_e32 v0, 1
	s_and_saveexec_b64 s[68:69], vcc
	s_cbranch_execz .LBB2_3489
; %bb.3484:                             ;   in Loop: Header=BB2_3145 Depth=3
	v_and_b32_e32 v0, 0x7c000000, v21
	v_bfe_u32 v6, v21, 24, 2
	v_cmp_ne_u32_e32 vcc, s37, v0
                                        ; implicit-def: $vgpr0
	s_and_saveexec_b64 s[70:71], vcc
	s_xor_b64 s[70:71], exec, s[70:71]
	s_cbranch_execz .LBB2_3486
; %bb.3485:                             ;   in Loop: Header=BB2_3145 Depth=3
	v_ffbh_u32_e32 v7, v6
	v_bfe_u32 v0, v21, 26, 5
	v_min_u32_e32 v7, 32, v7
	v_subrev_u32_e32 v13, 29, v7
	v_sub_u32_e32 v7, 30, v7
	v_cmp_eq_u32_e32 vcc, 0, v0
	v_lshlrev_b64 v[30:31], v13, v[14:15]
	v_cndmask_b32_e32 v0, v0, v7, vcc
	v_bfrev_b32_e32 v7, 28
	v_and_b32_e32 v13, 3, v30
	v_lshl_add_u32 v0, v0, 23, v7
	v_cndmask_b32_e32 v6, v6, v13, vcc
	v_and_or_b32 v0, v21, s96, v0
	v_lshl_or_b32 v0, v6, 21, v0
                                        ; implicit-def: $vgpr6
.LBB2_3486:                             ;   in Loop: Header=BB2_3145 Depth=3
	s_andn2_saveexec_b64 s[70:71], s[70:71]
; %bb.3487:                             ;   in Loop: Header=BB2_3145 Depth=3
	v_cmp_lt_i64_e32 vcc, -1, v[20:21]
	v_mov_b32_e32 v0, 0xc7600000
	v_mov_b32_e32 v7, 0x47600000
	v_cndmask_b32_e32 v0, v0, v7, vcc
	v_cmp_eq_u32_e32 vcc, 0, v6
	v_mov_b32_e32 v6, 0x7f800001
	v_cndmask_b32_e32 v0, v6, v0, vcc
; %bb.3488:                             ;   in Loop: Header=BB2_3145 Depth=3
	s_or_b64 exec, exec, s[70:71]
.LBB2_3489:                             ;   in Loop: Header=BB2_3145 Depth=3
	s_or_b64 exec, exec, s[68:69]
.LBB2_3490:                             ;   in Loop: Header=BB2_3145 Depth=3
	s_or_b64 exec, exec, s[30:31]
	v_cmp_lt_u64_e32 vcc, s[42:43], v[16:17]
	s_and_saveexec_b64 s[30:31], vcc
	s_cbranch_execz .LBB2_3498
; %bb.3491:                             ;   in Loop: Header=BB2_3145 Depth=3
	v_cmp_ne_u32_e32 vcc, s97, v12
	v_bfrev_b32_e32 v2, 1
	s_and_saveexec_b64 s[68:69], vcc
	s_cbranch_execz .LBB2_3497
; %bb.3492:                             ;   in Loop: Header=BB2_3145 Depth=3
	v_and_b32_e32 v2, 0x7c000000, v17
	v_bfe_u32 v6, v17, 24, 2
	v_cmp_ne_u32_e32 vcc, s37, v2
                                        ; implicit-def: $vgpr2
	s_and_saveexec_b64 s[70:71], vcc
	s_xor_b64 s[70:71], exec, s[70:71]
	s_cbranch_execz .LBB2_3494
; %bb.3493:                             ;   in Loop: Header=BB2_3145 Depth=3
	v_ffbh_u32_e32 v7, v6
	v_bfe_u32 v2, v17, 26, 5
	v_min_u32_e32 v7, 32, v7
	v_subrev_u32_e32 v13, 29, v7
	v_sub_u32_e32 v7, 30, v7
	v_cmp_eq_u32_e32 vcc, 0, v2
	v_lshlrev_b64 v[30:31], v13, v[12:13]
	v_cndmask_b32_e32 v2, v2, v7, vcc
	v_bfrev_b32_e32 v7, 28
	v_and_b32_e32 v13, 3, v30
	v_lshl_add_u32 v2, v2, 23, v7
	v_cndmask_b32_e32 v6, v6, v13, vcc
	v_and_or_b32 v2, v17, s96, v2
	v_lshl_or_b32 v2, v6, 21, v2
                                        ; implicit-def: $vgpr6
.LBB2_3494:                             ;   in Loop: Header=BB2_3145 Depth=3
	s_andn2_saveexec_b64 s[70:71], s[70:71]
; %bb.3495:                             ;   in Loop: Header=BB2_3145 Depth=3
	v_cmp_lt_i64_e32 vcc, -1, v[16:17]
	v_mov_b32_e32 v2, 0xc7600000
	v_mov_b32_e32 v7, 0x47600000
	v_cndmask_b32_e32 v2, v2, v7, vcc
	v_cmp_eq_u32_e32 vcc, 0, v6
	v_mov_b32_e32 v6, 0x7f800001
	v_cndmask_b32_e32 v2, v6, v2, vcc
; %bb.3496:                             ;   in Loop: Header=BB2_3145 Depth=3
	s_or_b64 exec, exec, s[70:71]
.LBB2_3497:                             ;   in Loop: Header=BB2_3145 Depth=3
	s_or_b64 exec, exec, s[68:69]
.LBB2_3498:                             ;   in Loop: Header=BB2_3145 Depth=3
	s_or_b64 exec, exec, s[30:31]
	v_max_f32_e32 v2, v2, v2
	v_max_f32_e32 v0, v0, v0
	;; [unrolled: 1-line block ×3, first 2 shown]
	s_branch .LBB2_3517
.LBB2_3499:                             ;   in Loop: Header=BB2_3145 Depth=3
                                        ; implicit-def: $vgpr2
	s_cbranch_execz .LBB2_3517
; %bb.3500:                             ;   in Loop: Header=BB2_3145 Depth=3
	v_mov_b32_e32 v2, 0
	v_mov_b32_e32 v0, 0
	s_and_saveexec_b64 s[30:31], s[28:29]
	s_cbranch_execz .LBB2_3508
; %bb.3501:                             ;   in Loop: Header=BB2_3145 Depth=3
	v_cmp_ne_u32_e32 vcc, s97, v14
	v_bfrev_b32_e32 v0, 1
	s_and_saveexec_b64 s[28:29], vcc
	s_cbranch_execz .LBB2_3507
; %bb.3502:                             ;   in Loop: Header=BB2_3145 Depth=3
	v_and_b32_e32 v0, 0x7c000000, v21
	v_bfe_u32 v6, v21, 24, 2
	v_cmp_ne_u32_e32 vcc, s37, v0
                                        ; implicit-def: $vgpr0
	s_and_saveexec_b64 s[68:69], vcc
	s_xor_b64 s[68:69], exec, s[68:69]
	s_cbranch_execz .LBB2_3504
; %bb.3503:                             ;   in Loop: Header=BB2_3145 Depth=3
	v_ffbh_u32_e32 v7, v6
	v_bfe_u32 v0, v21, 26, 5
	v_min_u32_e32 v7, 32, v7
	v_subrev_u32_e32 v13, 29, v7
	v_sub_u32_e32 v7, 30, v7
	v_cmp_eq_u32_e32 vcc, 0, v0
	v_lshlrev_b64 v[14:15], v13, v[14:15]
	v_cndmask_b32_e32 v0, v0, v7, vcc
	v_bfrev_b32_e32 v7, 28
	v_and_b32_e32 v13, 3, v14
	v_lshl_add_u32 v0, v0, 23, v7
	v_cndmask_b32_e32 v6, v6, v13, vcc
	v_and_or_b32 v0, v21, s96, v0
	v_lshl_or_b32 v0, v6, 21, v0
                                        ; implicit-def: $vgpr6
.LBB2_3504:                             ;   in Loop: Header=BB2_3145 Depth=3
	s_andn2_saveexec_b64 s[68:69], s[68:69]
; %bb.3505:                             ;   in Loop: Header=BB2_3145 Depth=3
	v_cmp_lt_i64_e32 vcc, -1, v[20:21]
	v_mov_b32_e32 v0, 0xc7600000
	v_mov_b32_e32 v7, 0x47600000
	v_cndmask_b32_e32 v0, v0, v7, vcc
	v_cmp_eq_u32_e32 vcc, 0, v6
	v_mov_b32_e32 v6, 0x7f800001
	v_cndmask_b32_e32 v0, v6, v0, vcc
; %bb.3506:                             ;   in Loop: Header=BB2_3145 Depth=3
	s_or_b64 exec, exec, s[68:69]
.LBB2_3507:                             ;   in Loop: Header=BB2_3145 Depth=3
	s_or_b64 exec, exec, s[28:29]
.LBB2_3508:                             ;   in Loop: Header=BB2_3145 Depth=3
	s_or_b64 exec, exec, s[30:31]
	v_cmp_lt_u64_e32 vcc, s[42:43], v[16:17]
	s_and_saveexec_b64 s[28:29], vcc
	s_cbranch_execz .LBB2_3516
; %bb.3509:                             ;   in Loop: Header=BB2_3145 Depth=3
	v_cmp_ne_u32_e32 vcc, s97, v12
	v_bfrev_b32_e32 v2, 1
	s_and_saveexec_b64 s[30:31], vcc
	s_cbranch_execz .LBB2_3515
; %bb.3510:                             ;   in Loop: Header=BB2_3145 Depth=3
	v_and_b32_e32 v2, 0x7c000000, v17
	v_bfe_u32 v6, v17, 24, 2
	v_cmp_ne_u32_e32 vcc, s37, v2
                                        ; implicit-def: $vgpr2
	s_and_saveexec_b64 s[68:69], vcc
	s_xor_b64 s[68:69], exec, s[68:69]
	s_cbranch_execz .LBB2_3512
; %bb.3511:                             ;   in Loop: Header=BB2_3145 Depth=3
	v_ffbh_u32_e32 v7, v6
	v_bfe_u32 v2, v17, 26, 5
	v_min_u32_e32 v7, 32, v7
	v_subrev_u32_e32 v13, 29, v7
	v_sub_u32_e32 v7, 30, v7
	v_cmp_eq_u32_e32 vcc, 0, v2
	v_lshlrev_b64 v[12:13], v13, v[12:13]
	v_cndmask_b32_e32 v2, v2, v7, vcc
	v_bfrev_b32_e32 v7, 28
	v_and_b32_e32 v12, 3, v12
	v_lshl_add_u32 v2, v2, 23, v7
	v_cndmask_b32_e32 v6, v6, v12, vcc
	v_and_or_b32 v2, v17, s96, v2
	v_lshl_or_b32 v2, v6, 21, v2
                                        ; implicit-def: $vgpr6
.LBB2_3512:                             ;   in Loop: Header=BB2_3145 Depth=3
	s_andn2_saveexec_b64 s[68:69], s[68:69]
; %bb.3513:                             ;   in Loop: Header=BB2_3145 Depth=3
	v_cmp_lt_i64_e32 vcc, -1, v[16:17]
	v_mov_b32_e32 v2, 0xc7600000
	v_mov_b32_e32 v7, 0x47600000
	v_cndmask_b32_e32 v2, v2, v7, vcc
	v_cmp_eq_u32_e32 vcc, 0, v6
	v_mov_b32_e32 v6, 0x7f800001
	v_cndmask_b32_e32 v2, v6, v2, vcc
; %bb.3514:                             ;   in Loop: Header=BB2_3145 Depth=3
	s_or_b64 exec, exec, s[68:69]
.LBB2_3515:                             ;   in Loop: Header=BB2_3145 Depth=3
	s_or_b64 exec, exec, s[30:31]
.LBB2_3516:                             ;   in Loop: Header=BB2_3145 Depth=3
	s_or_b64 exec, exec, s[28:29]
	v_max_f32_e32 v2, v2, v2
	v_max_f32_e32 v0, v0, v0
	v_min_f32_e32 v2, v0, v2
.LBB2_3517:                             ;   in Loop: Header=BB2_3145 Depth=3
	v_and_b32_sdwa v0, v2, s97 dst_sel:DWORD dst_unused:UNUSED_PAD src0_sel:BYTE_3 src1_sel:DWORD
	v_and_b32_e32 v6, 0x7f800000, v2
	v_mov_b32_e32 v7, v51
	v_and_b32_e32 v50, 0x7fffff, v2
	v_or_b32_e32 v20, 0x7b, v0
	v_cmp_ne_u64_e32 vcc, s[52:53], v[6:7]
	s_and_saveexec_b64 s[28:29], vcc
	s_xor_b64 s[30:31], exec, s[28:29]
	s_cbranch_execz .LBB2_3545
; %bb.3518:                             ;   in Loop: Header=BB2_3145 Depth=3
	v_and_b32_e32 v6, 0x7fffffff, v2
	v_mov_b32_e32 v7, v51
	v_cmp_gt_u64_e32 vcc, s[54:55], v[6:7]
	s_and_saveexec_b64 s[68:69], vcc
	s_cbranch_execz .LBB2_3526
; %bb.3519:                             ;   in Loop: Header=BB2_3145 Depth=3
	v_cmp_ne_u32_e32 vcc, 0, v2
	v_mov_b32_e32 v20, 0
	s_and_saveexec_b64 s[70:71], vcc
	s_cbranch_execz .LBB2_3525
; %bb.3520:                             ;   in Loop: Header=BB2_3145 Depth=3
	v_bfe_u32 v2, v2, 23, 8
	v_sub_u32_e32 v7, 0x71, v2
	v_cmp_gt_u32_e32 vcc, s38, v2
	v_add_u32_e32 v6, 0xffffff81, v2
	v_cndmask_b32_e32 v7, 0, v7, vcc
	v_cmp_eq_u32_e32 vcc, 0, v2
	v_mov_b32_e32 v2, 0xffffff82
	v_cndmask_b32_e32 v2, v6, v2, vcc
	v_mov_b32_e32 v6, 0x70
	v_cndmask_b32_e32 v20, v7, v6, vcc
	v_add_u32_e32 v6, 21, v20
	v_or_b32_e32 v12, 0x800000, v50
	v_lshlrev_b64 v[6:7], v6, -1
	v_cndmask_b32_e32 v50, v12, v50, vcc
	v_not_b32_e32 v6, v6
	v_and_b32_e32 v12, v50, v6
	v_add_u32_e32 v6, 20, v20
	v_lshrrev_b64 v[16:17], v20, v[50:51]
	v_not_b32_e32 v7, v7
	v_lshlrev_b64 v[14:15], v6, 1
	v_lshrrev_b32_e32 v6, 23, v16
	v_and_b32_e32 v13, 0, v7
	v_add3_u32 v7, v20, v2, v6
	v_bfe_u32 v2, v16, 21, 1
	v_add_u32_e32 v2, -1, v2
	v_cmp_eq_u64_e32 vcc, v[12:13], v[14:15]
	v_cndmask_b32_e32 v2, 0, v2, vcc
	v_add_u32_e32 v2, v2, v16
	v_and_b32_e32 v2, 0x1fffff, v2
	v_add_co_u32_e32 v12, vcc, v2, v16
	v_add_u32_e32 v6, 14, v7
	v_addc_co_u32_e32 v13, vcc, 0, v17, vcc
	v_cmp_ne_u32_e32 vcc, 0, v6
                                        ; implicit-def: $vgpr2
	s_and_saveexec_b64 s[28:29], vcc
	s_xor_b64 s[28:29], exec, s[28:29]
; %bb.3521:                             ;   in Loop: Header=BB2_3145 Depth=3
	v_add_u32_e32 v2, 15, v7
	v_cmp_lt_u64_e32 vcc, s[56:57], v[12:13]
	v_cndmask_b32_e32 v2, v6, v2, vcc
	v_cndmask_b32_e64 v6, 0, 1, vcc
	v_lshrrev_b64 v[12:13], v6, v[12:13]
; %bb.3522:                             ;   in Loop: Header=BB2_3145 Depth=3
	s_andn2_saveexec_b64 s[28:29], s[28:29]
; %bb.3523:                             ;   in Loop: Header=BB2_3145 Depth=3
	v_bfe_u32 v2, v12, 23, 1
; %bb.3524:                             ;   in Loop: Header=BB2_3145 Depth=3
	s_or_b64 exec, exec, s[28:29]
	v_lshrrev_b64 v[6:7], 21, v[12:13]
	v_cmp_gt_i32_e32 vcc, 32, v2
	v_cndmask_b32_e32 v7, 0, v7, vcc
	v_cndmask_b32_e32 v6, 3, v6, vcc
	v_cmp_eq_u32_e32 vcc, 0, v2
	v_min_i32_e32 v2, 31, v2
	v_lshlrev_b32_e32 v2, 2, v2
	v_cmp_eq_u64_e64 s[28:29], 0, v[6:7]
	v_and_b32_e32 v2, 0xfc, v2
	v_and_or_b32 v2, v6, 3, v2
	s_and_b64 s[28:29], vcc, s[28:29]
	v_cndmask_b32_e64 v2, v2, 0, s[28:29]
	v_or_b32_e32 v20, v2, v0
.LBB2_3525:                             ;   in Loop: Header=BB2_3145 Depth=3
	s_or_b64 exec, exec, s[70:71]
.LBB2_3526:                             ;   in Loop: Header=BB2_3145 Depth=3
	s_or_b64 exec, exec, s[68:69]
                                        ; implicit-def: $vgpr2
	s_andn2_saveexec_b64 s[28:29], s[30:31]
	s_cbranch_execnz .LBB2_3546
.LBB2_3527:                             ;   in Loop: Header=BB2_3145 Depth=3
	s_or_b64 exec, exec, s[28:29]
	v_cmp_ne_u16_sdwa s[28:29], v22, v51 src0_sel:BYTE_0 src1_sel:DWORD
	s_and_b64 vcc, exec, s[66:67]
	s_cbranch_vccz .LBB2_3547
.LBB2_3528:                             ;   in Loop: Header=BB2_3145 Depth=3
	v_mov_b32_e32 v2, 0
	v_mov_b32_e32 v0, 0
	s_and_saveexec_b64 s[30:31], s[28:29]
	s_cbranch_execz .LBB2_3536
; %bb.3529:                             ;   in Loop: Header=BB2_3145 Depth=3
	v_cmp_ne_u16_sdwa vcc, sext(v22), s94 src0_sel:BYTE_0 src1_sel:DWORD
	v_bfrev_b32_e32 v0, 1
	s_and_saveexec_b64 s[68:69], vcc
	s_cbranch_execz .LBB2_3535
; %bb.3530:                             ;   in Loop: Header=BB2_3145 Depth=3
	v_and_b32_e32 v0, 0x7c, v22
	v_and_b32_e32 v6, 3, v22
	v_cmp_ne_u32_e32 vcc, s95, v0
                                        ; implicit-def: $vgpr0
	s_and_saveexec_b64 s[70:71], vcc
	s_xor_b64 s[70:71], exec, s[70:71]
	s_cbranch_execz .LBB2_3532
; %bb.3531:                             ;   in Loop: Header=BB2_3145 Depth=3
	v_ffbh_u32_e32 v7, v6
	v_min_u32_e32 v7, 32, v7
	v_subrev_u32_e32 v12, 29, v7
	v_bfe_u32 v0, v22, 2, 5
	v_lshlrev_b64 v[12:13], v12, v[22:23]
	v_sub_u32_e32 v7, 30, v7
	v_and_b32_e32 v12, 3, v12
	v_cmp_eq_u32_e32 vcc, 0, v0
	v_cndmask_b32_e32 v0, v0, v7, vcc
	v_cndmask_b32_e32 v6, v6, v12, vcc
	v_bfrev_b32_e32 v12, 28
	v_lshlrev_b32_e32 v7, 24, v22
	v_lshl_add_u32 v0, v0, 23, v12
	v_and_or_b32 v0, v7, s96, v0
	v_lshl_or_b32 v0, v6, 21, v0
                                        ; implicit-def: $vgpr6
.LBB2_3532:                             ;   in Loop: Header=BB2_3145 Depth=3
	s_andn2_saveexec_b64 s[70:71], s[70:71]
; %bb.3533:                             ;   in Loop: Header=BB2_3145 Depth=3
	v_mov_b32_e32 v0, -1
	v_cmp_gt_i16_sdwa vcc, sext(v22), v0 src0_sel:BYTE_0 src1_sel:DWORD
	v_mov_b32_e32 v0, 0xc7600000
	v_mov_b32_e32 v7, 0x47600000
	v_cndmask_b32_e32 v0, v0, v7, vcc
	v_cmp_eq_u32_e32 vcc, 0, v6
	v_mov_b32_e32 v6, 0x7f800001
	v_cndmask_b32_e32 v0, v6, v0, vcc
; %bb.3534:                             ;   in Loop: Header=BB2_3145 Depth=3
	s_or_b64 exec, exec, s[70:71]
.LBB2_3535:                             ;   in Loop: Header=BB2_3145 Depth=3
	s_or_b64 exec, exec, s[68:69]
.LBB2_3536:                             ;   in Loop: Header=BB2_3145 Depth=3
	s_or_b64 exec, exec, s[30:31]
	v_cmp_ne_u16_sdwa vcc, sext(v18), v51 src0_sel:BYTE_0 src1_sel:DWORD
	s_and_saveexec_b64 s[30:31], vcc
	s_cbranch_execz .LBB2_3544
; %bb.3537:                             ;   in Loop: Header=BB2_3145 Depth=3
	v_cmp_ne_u16_sdwa vcc, sext(v18), s94 src0_sel:BYTE_0 src1_sel:DWORD
	v_bfrev_b32_e32 v2, 1
	s_and_saveexec_b64 s[68:69], vcc
	s_cbranch_execz .LBB2_3543
; %bb.3538:                             ;   in Loop: Header=BB2_3145 Depth=3
	v_and_b32_e32 v2, 0x7c, v18
	v_and_b32_e32 v6, 3, v18
	v_cmp_ne_u32_e32 vcc, s95, v2
                                        ; implicit-def: $vgpr2
	s_and_saveexec_b64 s[70:71], vcc
	s_xor_b64 s[70:71], exec, s[70:71]
	s_cbranch_execz .LBB2_3540
; %bb.3539:                             ;   in Loop: Header=BB2_3145 Depth=3
	v_ffbh_u32_e32 v7, v6
	v_min_u32_e32 v7, 32, v7
	v_subrev_u32_e32 v12, 29, v7
	v_bfe_u32 v2, v18, 2, 5
	v_lshlrev_b64 v[12:13], v12, v[18:19]
	v_sub_u32_e32 v7, 30, v7
	v_and_b32_e32 v12, 3, v12
	v_cmp_eq_u32_e32 vcc, 0, v2
	v_cndmask_b32_e32 v2, v2, v7, vcc
	v_cndmask_b32_e32 v6, v6, v12, vcc
	v_bfrev_b32_e32 v12, 28
	v_lshlrev_b32_e32 v7, 24, v18
	v_lshl_add_u32 v2, v2, 23, v12
	v_and_or_b32 v2, v7, s96, v2
	v_lshl_or_b32 v2, v6, 21, v2
                                        ; implicit-def: $vgpr6
.LBB2_3540:                             ;   in Loop: Header=BB2_3145 Depth=3
	s_andn2_saveexec_b64 s[70:71], s[70:71]
; %bb.3541:                             ;   in Loop: Header=BB2_3145 Depth=3
	v_mov_b32_e32 v2, -1
	v_cmp_gt_i16_sdwa vcc, sext(v18), v2 src0_sel:BYTE_0 src1_sel:DWORD
	v_mov_b32_e32 v2, 0xc7600000
	v_mov_b32_e32 v7, 0x47600000
	v_cndmask_b32_e32 v2, v2, v7, vcc
	v_cmp_eq_u32_e32 vcc, 0, v6
	v_mov_b32_e32 v6, 0x7f800001
	v_cndmask_b32_e32 v2, v6, v2, vcc
; %bb.3542:                             ;   in Loop: Header=BB2_3145 Depth=3
	s_or_b64 exec, exec, s[70:71]
.LBB2_3543:                             ;   in Loop: Header=BB2_3145 Depth=3
	s_or_b64 exec, exec, s[68:69]
.LBB2_3544:                             ;   in Loop: Header=BB2_3145 Depth=3
	s_or_b64 exec, exec, s[30:31]
	v_max_f32_e32 v2, v2, v2
	v_max_f32_e32 v0, v0, v0
	;; [unrolled: 1-line block ×3, first 2 shown]
	s_branch .LBB2_3565
.LBB2_3545:                             ;   in Loop: Header=BB2_3145 Depth=3
	s_andn2_saveexec_b64 s[28:29], s[30:31]
	s_cbranch_execz .LBB2_3527
.LBB2_3546:                             ;   in Loop: Header=BB2_3145 Depth=3
	v_or_b32_sdwa v0, v2, s39 dst_sel:DWORD dst_unused:UNUSED_PAD src0_sel:BYTE_3 src1_sel:DWORD
	v_cmp_eq_u64_e32 vcc, 0, v[50:51]
	v_cndmask_b32_e32 v20, v0, v20, vcc
	s_or_b64 exec, exec, s[28:29]
	v_cmp_ne_u16_sdwa s[28:29], v22, v51 src0_sel:BYTE_0 src1_sel:DWORD
	s_and_b64 vcc, exec, s[66:67]
	s_cbranch_vccnz .LBB2_3528
.LBB2_3547:                             ;   in Loop: Header=BB2_3145 Depth=3
                                        ; implicit-def: $vgpr2
	s_cbranch_execz .LBB2_3565
; %bb.3548:                             ;   in Loop: Header=BB2_3145 Depth=3
	v_mov_b32_e32 v2, 0
	v_mov_b32_e32 v0, 0
	s_and_saveexec_b64 s[30:31], s[28:29]
	s_cbranch_execz .LBB2_3556
; %bb.3549:                             ;   in Loop: Header=BB2_3145 Depth=3
	v_cmp_ne_u16_sdwa vcc, sext(v22), s94 src0_sel:BYTE_0 src1_sel:DWORD
	v_bfrev_b32_e32 v0, 1
	s_and_saveexec_b64 s[28:29], vcc
	s_cbranch_execz .LBB2_3555
; %bb.3550:                             ;   in Loop: Header=BB2_3145 Depth=3
	v_and_b32_e32 v0, 0x7c, v22
	v_and_b32_e32 v6, 3, v22
	v_cmp_ne_u32_e32 vcc, s95, v0
                                        ; implicit-def: $vgpr0
	s_and_saveexec_b64 s[68:69], vcc
	s_xor_b64 s[68:69], exec, s[68:69]
	s_cbranch_execz .LBB2_3552
; %bb.3551:                             ;   in Loop: Header=BB2_3145 Depth=3
	v_ffbh_u32_e32 v7, v6
	v_min_u32_e32 v7, 32, v7
	v_subrev_u32_e32 v12, 29, v7
	v_bfe_u32 v0, v22, 2, 5
	v_lshlrev_b64 v[12:13], v12, v[22:23]
	v_sub_u32_e32 v7, 30, v7
	v_and_b32_e32 v12, 3, v12
	v_cmp_eq_u32_e32 vcc, 0, v0
	v_cndmask_b32_e32 v0, v0, v7, vcc
	v_cndmask_b32_e32 v6, v6, v12, vcc
	v_bfrev_b32_e32 v12, 28
	v_lshlrev_b32_e32 v7, 24, v22
	v_lshl_add_u32 v0, v0, 23, v12
	v_and_or_b32 v0, v7, s96, v0
	v_lshl_or_b32 v0, v6, 21, v0
                                        ; implicit-def: $vgpr6
.LBB2_3552:                             ;   in Loop: Header=BB2_3145 Depth=3
	s_andn2_saveexec_b64 s[68:69], s[68:69]
; %bb.3553:                             ;   in Loop: Header=BB2_3145 Depth=3
	v_mov_b32_e32 v0, -1
	v_cmp_gt_i16_sdwa vcc, sext(v22), v0 src0_sel:BYTE_0 src1_sel:DWORD
	v_mov_b32_e32 v0, 0xc7600000
	v_mov_b32_e32 v7, 0x47600000
	v_cndmask_b32_e32 v0, v0, v7, vcc
	v_cmp_eq_u32_e32 vcc, 0, v6
	v_mov_b32_e32 v6, 0x7f800001
	v_cndmask_b32_e32 v0, v6, v0, vcc
; %bb.3554:                             ;   in Loop: Header=BB2_3145 Depth=3
	s_or_b64 exec, exec, s[68:69]
.LBB2_3555:                             ;   in Loop: Header=BB2_3145 Depth=3
	s_or_b64 exec, exec, s[28:29]
.LBB2_3556:                             ;   in Loop: Header=BB2_3145 Depth=3
	s_or_b64 exec, exec, s[30:31]
	v_cmp_ne_u16_sdwa vcc, sext(v18), v51 src0_sel:BYTE_0 src1_sel:DWORD
	s_and_saveexec_b64 s[28:29], vcc
	s_cbranch_execz .LBB2_3564
; %bb.3557:                             ;   in Loop: Header=BB2_3145 Depth=3
	v_cmp_ne_u16_sdwa vcc, sext(v18), s94 src0_sel:BYTE_0 src1_sel:DWORD
	v_bfrev_b32_e32 v2, 1
	s_and_saveexec_b64 s[30:31], vcc
	s_cbranch_execz .LBB2_3563
; %bb.3558:                             ;   in Loop: Header=BB2_3145 Depth=3
	v_and_b32_e32 v2, 0x7c, v18
	v_and_b32_e32 v6, 3, v18
	v_cmp_ne_u32_e32 vcc, s95, v2
                                        ; implicit-def: $vgpr2
	s_and_saveexec_b64 s[68:69], vcc
	s_xor_b64 s[68:69], exec, s[68:69]
	s_cbranch_execz .LBB2_3560
; %bb.3559:                             ;   in Loop: Header=BB2_3145 Depth=3
	v_ffbh_u32_e32 v7, v6
	v_min_u32_e32 v7, 32, v7
	v_subrev_u32_e32 v12, 29, v7
	v_bfe_u32 v2, v18, 2, 5
	v_lshlrev_b64 v[12:13], v12, v[18:19]
	v_sub_u32_e32 v7, 30, v7
	v_and_b32_e32 v12, 3, v12
	v_cmp_eq_u32_e32 vcc, 0, v2
	v_cndmask_b32_e32 v2, v2, v7, vcc
	v_cndmask_b32_e32 v6, v6, v12, vcc
	v_bfrev_b32_e32 v12, 28
	v_lshlrev_b32_e32 v7, 24, v18
	v_lshl_add_u32 v2, v2, 23, v12
	v_and_or_b32 v2, v7, s96, v2
	v_lshl_or_b32 v2, v6, 21, v2
                                        ; implicit-def: $vgpr6
.LBB2_3560:                             ;   in Loop: Header=BB2_3145 Depth=3
	s_andn2_saveexec_b64 s[68:69], s[68:69]
; %bb.3561:                             ;   in Loop: Header=BB2_3145 Depth=3
	v_mov_b32_e32 v2, -1
	v_cmp_gt_i16_sdwa vcc, sext(v18), v2 src0_sel:BYTE_0 src1_sel:DWORD
	v_mov_b32_e32 v2, 0xc7600000
	v_mov_b32_e32 v7, 0x47600000
	v_cndmask_b32_e32 v2, v2, v7, vcc
	v_cmp_eq_u32_e32 vcc, 0, v6
	v_mov_b32_e32 v6, 0x7f800001
	v_cndmask_b32_e32 v2, v6, v2, vcc
; %bb.3562:                             ;   in Loop: Header=BB2_3145 Depth=3
	s_or_b64 exec, exec, s[68:69]
.LBB2_3563:                             ;   in Loop: Header=BB2_3145 Depth=3
	s_or_b64 exec, exec, s[30:31]
.LBB2_3564:                             ;   in Loop: Header=BB2_3145 Depth=3
	s_or_b64 exec, exec, s[28:29]
	v_max_f32_e32 v2, v2, v2
	v_max_f32_e32 v0, v0, v0
	v_min_f32_e32 v2, v0, v2
.LBB2_3565:                             ;   in Loop: Header=BB2_3145 Depth=3
	v_and_b32_sdwa v0, v2, s97 dst_sel:DWORD dst_unused:UNUSED_PAD src0_sel:BYTE_3 src1_sel:DWORD
	v_and_b32_e32 v6, 0x7f800000, v2
	v_mov_b32_e32 v7, v51
	v_and_b32_e32 v50, 0x7fffff, v2
	v_or_b32_e32 v21, 0x7b, v0
	v_cmp_ne_u64_e32 vcc, s[52:53], v[6:7]
	s_and_saveexec_b64 s[28:29], vcc
	s_xor_b64 s[30:31], exec, s[28:29]
	s_cbranch_execz .LBB2_3575
; %bb.3566:                             ;   in Loop: Header=BB2_3145 Depth=3
	v_and_b32_e32 v6, 0x7fffffff, v2
	v_mov_b32_e32 v7, v51
	v_cmp_gt_u64_e32 vcc, s[54:55], v[6:7]
	s_and_saveexec_b64 s[68:69], vcc
	s_cbranch_execz .LBB2_3574
; %bb.3567:                             ;   in Loop: Header=BB2_3145 Depth=3
	v_cmp_ne_u32_e32 vcc, 0, v2
	v_mov_b32_e32 v21, 0
	s_and_saveexec_b64 s[70:71], vcc
	s_cbranch_execz .LBB2_3573
; %bb.3568:                             ;   in Loop: Header=BB2_3145 Depth=3
	v_bfe_u32 v2, v2, 23, 8
	v_sub_u32_e32 v7, 0x71, v2
	v_cmp_gt_u32_e32 vcc, s38, v2
	v_add_u32_e32 v6, 0xffffff81, v2
	v_cndmask_b32_e32 v7, 0, v7, vcc
	v_cmp_eq_u32_e32 vcc, 0, v2
	v_mov_b32_e32 v2, 0xffffff82
	v_cndmask_b32_e32 v2, v6, v2, vcc
	v_mov_b32_e32 v6, 0x70
	v_cndmask_b32_e32 v21, v7, v6, vcc
	v_add_u32_e32 v6, 21, v21
	v_or_b32_e32 v12, 0x800000, v50
	v_lshlrev_b64 v[6:7], v6, -1
	v_cndmask_b32_e32 v50, v12, v50, vcc
	v_not_b32_e32 v6, v6
	v_and_b32_e32 v12, v50, v6
	v_add_u32_e32 v6, 20, v21
	v_lshrrev_b64 v[16:17], v21, v[50:51]
	v_not_b32_e32 v7, v7
	v_lshlrev_b64 v[14:15], v6, 1
	v_lshrrev_b32_e32 v6, 23, v16
	v_and_b32_e32 v13, 0, v7
	v_add3_u32 v7, v21, v2, v6
	v_bfe_u32 v2, v16, 21, 1
	v_add_u32_e32 v2, -1, v2
	v_cmp_eq_u64_e32 vcc, v[12:13], v[14:15]
	v_cndmask_b32_e32 v2, 0, v2, vcc
	v_add_u32_e32 v2, v2, v16
	v_and_b32_e32 v2, 0x1fffff, v2
	v_add_co_u32_e32 v12, vcc, v2, v16
	v_add_u32_e32 v6, 14, v7
	v_addc_co_u32_e32 v13, vcc, 0, v17, vcc
	v_cmp_ne_u32_e32 vcc, 0, v6
                                        ; implicit-def: $vgpr2
	s_and_saveexec_b64 s[28:29], vcc
	s_xor_b64 s[28:29], exec, s[28:29]
; %bb.3569:                             ;   in Loop: Header=BB2_3145 Depth=3
	v_add_u32_e32 v2, 15, v7
	v_cmp_lt_u64_e32 vcc, s[56:57], v[12:13]
	v_cndmask_b32_e32 v2, v6, v2, vcc
	v_cndmask_b32_e64 v6, 0, 1, vcc
	v_lshrrev_b64 v[12:13], v6, v[12:13]
; %bb.3570:                             ;   in Loop: Header=BB2_3145 Depth=3
	s_andn2_saveexec_b64 s[28:29], s[28:29]
; %bb.3571:                             ;   in Loop: Header=BB2_3145 Depth=3
	v_bfe_u32 v2, v12, 23, 1
; %bb.3572:                             ;   in Loop: Header=BB2_3145 Depth=3
	s_or_b64 exec, exec, s[28:29]
	v_lshrrev_b64 v[6:7], 21, v[12:13]
	v_cmp_gt_i32_e32 vcc, 32, v2
	v_cndmask_b32_e32 v7, 0, v7, vcc
	v_cndmask_b32_e32 v6, 3, v6, vcc
	v_cmp_eq_u32_e32 vcc, 0, v2
	v_min_i32_e32 v2, 31, v2
	v_cmp_eq_u64_e64 s[28:29], 0, v[6:7]
	v_lshlrev_b32_e32 v2, 2, v2
	v_and_or_b32 v2, v6, 3, v2
	s_and_b64 s[28:29], vcc, s[28:29]
	v_cndmask_b32_e64 v2, v2, 0, s[28:29]
	v_or_b32_e32 v21, v2, v0
.LBB2_3573:                             ;   in Loop: Header=BB2_3145 Depth=3
	s_or_b64 exec, exec, s[70:71]
.LBB2_3574:                             ;   in Loop: Header=BB2_3145 Depth=3
	s_or_b64 exec, exec, s[68:69]
                                        ; implicit-def: $vgpr2
.LBB2_3575:                             ;   in Loop: Header=BB2_3145 Depth=3
	s_andn2_saveexec_b64 s[28:29], s[30:31]
; %bb.3576:                             ;   in Loop: Header=BB2_3145 Depth=3
	v_or_b32_sdwa v0, v2, s39 dst_sel:DWORD dst_unused:UNUSED_PAD src0_sel:BYTE_3 src1_sel:DWORD
	v_cmp_eq_u64_e32 vcc, 0, v[50:51]
	v_cndmask_b32_e32 v21, v0, v21, vcc
; %bb.3577:                             ;   in Loop: Header=BB2_3145 Depth=3
	s_or_b64 exec, exec, s[28:29]
	v_lshrrev_b16_e32 v50, 8, v22
	v_lshrrev_b16_e32 v12, 8, v18
	v_cmp_ne_u16_e64 s[28:29], 0, v50
	s_and_b64 vcc, exec, s[66:67]
	s_cbranch_vccz .LBB2_3595
; %bb.3578:                             ;   in Loop: Header=BB2_3145 Depth=3
	v_mov_b32_e32 v2, 0
	v_mov_b32_e32 v0, 0
	s_and_saveexec_b64 s[30:31], s[28:29]
	s_cbranch_execz .LBB2_3586
; %bb.3579:                             ;   in Loop: Header=BB2_3145 Depth=3
	v_cmp_ne_u16_e32 vcc, s97, v50
	v_bfrev_b32_e32 v0, 1
	s_and_saveexec_b64 s[68:69], vcc
	s_cbranch_execz .LBB2_3585
; %bb.3580:                             ;   in Loop: Header=BB2_3145 Depth=3
	v_and_b32_e32 v0, 0x7c, v50
	v_and_b32_e32 v6, 3, v50
	v_cmp_ne_u32_e32 vcc, s95, v0
                                        ; implicit-def: $vgpr0
	s_and_saveexec_b64 s[70:71], vcc
	s_xor_b64 s[70:71], exec, s[70:71]
	s_cbranch_execz .LBB2_3582
; %bb.3581:                             ;   in Loop: Header=BB2_3145 Depth=3
	v_ffbh_u32_e32 v7, v6
	v_min_u32_e32 v7, 32, v7
	v_subrev_u32_e32 v13, 29, v7
	v_bfe_u32 v0, v50, 2, 5
	v_lshlrev_b64 v[14:15], v13, v[50:51]
	v_sub_u32_e32 v7, 30, v7
	v_and_b32_e32 v13, 3, v14
	v_cmp_eq_u32_e32 vcc, 0, v0
	v_cndmask_b32_e32 v0, v0, v7, vcc
	v_cndmask_b32_e32 v6, v6, v13, vcc
	v_bfrev_b32_e32 v13, 28
	v_lshlrev_b32_e32 v7, 16, v22
	v_lshl_add_u32 v0, v0, 23, v13
	v_and_or_b32 v0, v7, s96, v0
	v_lshl_or_b32 v0, v6, 21, v0
                                        ; implicit-def: $vgpr6
.LBB2_3582:                             ;   in Loop: Header=BB2_3145 Depth=3
	s_andn2_saveexec_b64 s[70:71], s[70:71]
; %bb.3583:                             ;   in Loop: Header=BB2_3145 Depth=3
	v_cmp_lt_i16_e32 vcc, -1, v22
	v_mov_b32_e32 v0, 0xc7600000
	v_mov_b32_e32 v7, 0x47600000
	v_cndmask_b32_e32 v0, v0, v7, vcc
	v_cmp_eq_u32_e32 vcc, 0, v6
	v_mov_b32_e32 v6, 0x7f800001
	v_cndmask_b32_e32 v0, v6, v0, vcc
; %bb.3584:                             ;   in Loop: Header=BB2_3145 Depth=3
	s_or_b64 exec, exec, s[70:71]
.LBB2_3585:                             ;   in Loop: Header=BB2_3145 Depth=3
	s_or_b64 exec, exec, s[68:69]
.LBB2_3586:                             ;   in Loop: Header=BB2_3145 Depth=3
	s_or_b64 exec, exec, s[30:31]
	v_cmp_ne_u16_e32 vcc, 0, v12
	s_and_saveexec_b64 s[30:31], vcc
	s_cbranch_execz .LBB2_3594
; %bb.3587:                             ;   in Loop: Header=BB2_3145 Depth=3
	v_cmp_ne_u16_e32 vcc, s97, v12
	v_bfrev_b32_e32 v2, 1
	s_and_saveexec_b64 s[68:69], vcc
	s_cbranch_execz .LBB2_3593
; %bb.3588:                             ;   in Loop: Header=BB2_3145 Depth=3
	v_and_b32_e32 v2, 0x7c, v12
	v_and_b32_e32 v6, 3, v12
	v_cmp_ne_u32_e32 vcc, s95, v2
                                        ; implicit-def: $vgpr2
	s_and_saveexec_b64 s[70:71], vcc
	s_xor_b64 s[70:71], exec, s[70:71]
	s_cbranch_execz .LBB2_3590
; %bb.3589:                             ;   in Loop: Header=BB2_3145 Depth=3
	v_ffbh_u32_e32 v7, v6
	v_min_u32_e32 v7, 32, v7
	v_mov_b32_e32 v13, v51
	v_subrev_u32_e32 v14, 29, v7
	v_bfe_u32 v2, v12, 2, 5
	v_lshlrev_b64 v[14:15], v14, v[12:13]
	v_sub_u32_e32 v7, 30, v7
	v_and_b32_e32 v13, 3, v14
	v_cmp_eq_u32_e32 vcc, 0, v2
	v_cndmask_b32_e32 v2, v2, v7, vcc
	v_cndmask_b32_e32 v6, v6, v13, vcc
	v_bfrev_b32_e32 v13, 28
	v_lshlrev_b32_e32 v7, 16, v18
	v_lshl_add_u32 v2, v2, 23, v13
	v_and_or_b32 v2, v7, s96, v2
	v_lshl_or_b32 v2, v6, 21, v2
                                        ; implicit-def: $vgpr6
.LBB2_3590:                             ;   in Loop: Header=BB2_3145 Depth=3
	s_andn2_saveexec_b64 s[70:71], s[70:71]
; %bb.3591:                             ;   in Loop: Header=BB2_3145 Depth=3
	v_cmp_lt_i16_e32 vcc, -1, v18
	v_mov_b32_e32 v2, 0xc7600000
	v_mov_b32_e32 v7, 0x47600000
	v_cndmask_b32_e32 v2, v2, v7, vcc
	v_cmp_eq_u32_e32 vcc, 0, v6
	v_mov_b32_e32 v6, 0x7f800001
	v_cndmask_b32_e32 v2, v6, v2, vcc
; %bb.3592:                             ;   in Loop: Header=BB2_3145 Depth=3
	s_or_b64 exec, exec, s[70:71]
.LBB2_3593:                             ;   in Loop: Header=BB2_3145 Depth=3
	s_or_b64 exec, exec, s[68:69]
.LBB2_3594:                             ;   in Loop: Header=BB2_3145 Depth=3
	s_or_b64 exec, exec, s[30:31]
	v_max_f32_e32 v2, v2, v2
	v_max_f32_e32 v0, v0, v0
	;; [unrolled: 1-line block ×3, first 2 shown]
	s_branch .LBB2_3613
.LBB2_3595:                             ;   in Loop: Header=BB2_3145 Depth=3
                                        ; implicit-def: $vgpr2
	s_cbranch_execz .LBB2_3613
; %bb.3596:                             ;   in Loop: Header=BB2_3145 Depth=3
	v_mov_b32_e32 v2, 0
	v_mov_b32_e32 v0, 0
	s_and_saveexec_b64 s[30:31], s[28:29]
	s_cbranch_execz .LBB2_3604
; %bb.3597:                             ;   in Loop: Header=BB2_3145 Depth=3
	v_cmp_ne_u16_e32 vcc, s97, v50
	v_bfrev_b32_e32 v0, 1
	s_and_saveexec_b64 s[28:29], vcc
	s_cbranch_execz .LBB2_3603
; %bb.3598:                             ;   in Loop: Header=BB2_3145 Depth=3
	v_and_b32_e32 v0, 0x7c, v50
	v_and_b32_e32 v6, 3, v50
	v_cmp_ne_u32_e32 vcc, s95, v0
                                        ; implicit-def: $vgpr0
	s_and_saveexec_b64 s[68:69], vcc
	s_xor_b64 s[68:69], exec, s[68:69]
	s_cbranch_execz .LBB2_3600
; %bb.3599:                             ;   in Loop: Header=BB2_3145 Depth=3
	v_ffbh_u32_e32 v7, v6
	v_min_u32_e32 v7, 32, v7
	v_subrev_u32_e32 v13, 29, v7
	v_bfe_u32 v0, v50, 2, 5
	v_lshlrev_b64 v[14:15], v13, v[50:51]
	v_sub_u32_e32 v7, 30, v7
	v_and_b32_e32 v13, 3, v14
	v_cmp_eq_u32_e32 vcc, 0, v0
	v_cndmask_b32_e32 v0, v0, v7, vcc
	v_cndmask_b32_e32 v6, v6, v13, vcc
	v_bfrev_b32_e32 v13, 28
	v_lshlrev_b32_e32 v7, 16, v22
	v_lshl_add_u32 v0, v0, 23, v13
	v_and_or_b32 v0, v7, s96, v0
	v_lshl_or_b32 v0, v6, 21, v0
                                        ; implicit-def: $vgpr6
.LBB2_3600:                             ;   in Loop: Header=BB2_3145 Depth=3
	s_andn2_saveexec_b64 s[68:69], s[68:69]
; %bb.3601:                             ;   in Loop: Header=BB2_3145 Depth=3
	v_cmp_lt_i16_e32 vcc, -1, v22
	v_mov_b32_e32 v0, 0xc7600000
	v_mov_b32_e32 v7, 0x47600000
	v_cndmask_b32_e32 v0, v0, v7, vcc
	v_cmp_eq_u32_e32 vcc, 0, v6
	v_mov_b32_e32 v6, 0x7f800001
	v_cndmask_b32_e32 v0, v6, v0, vcc
; %bb.3602:                             ;   in Loop: Header=BB2_3145 Depth=3
	s_or_b64 exec, exec, s[68:69]
.LBB2_3603:                             ;   in Loop: Header=BB2_3145 Depth=3
	s_or_b64 exec, exec, s[28:29]
.LBB2_3604:                             ;   in Loop: Header=BB2_3145 Depth=3
	s_or_b64 exec, exec, s[30:31]
	v_cmp_ne_u16_e32 vcc, 0, v12
	s_and_saveexec_b64 s[28:29], vcc
	s_cbranch_execz .LBB2_3612
; %bb.3605:                             ;   in Loop: Header=BB2_3145 Depth=3
	v_cmp_ne_u16_e32 vcc, s97, v12
	v_bfrev_b32_e32 v2, 1
	s_and_saveexec_b64 s[30:31], vcc
	s_cbranch_execz .LBB2_3611
; %bb.3606:                             ;   in Loop: Header=BB2_3145 Depth=3
	v_and_b32_e32 v2, 0x7c, v12
	v_and_b32_e32 v6, 3, v12
	v_cmp_ne_u32_e32 vcc, s95, v2
                                        ; implicit-def: $vgpr2
	s_and_saveexec_b64 s[68:69], vcc
	s_xor_b64 s[68:69], exec, s[68:69]
	s_cbranch_execz .LBB2_3608
; %bb.3607:                             ;   in Loop: Header=BB2_3145 Depth=3
	v_ffbh_u32_e32 v7, v6
	v_min_u32_e32 v7, 32, v7
	v_mov_b32_e32 v13, v51
	v_subrev_u32_e32 v14, 29, v7
	v_bfe_u32 v2, v12, 2, 5
	v_lshlrev_b64 v[12:13], v14, v[12:13]
	v_sub_u32_e32 v7, 30, v7
	v_and_b32_e32 v12, 3, v12
	v_cmp_eq_u32_e32 vcc, 0, v2
	v_cndmask_b32_e32 v2, v2, v7, vcc
	v_cndmask_b32_e32 v6, v6, v12, vcc
	v_bfrev_b32_e32 v12, 28
	v_lshlrev_b32_e32 v7, 16, v18
	v_lshl_add_u32 v2, v2, 23, v12
	v_and_or_b32 v2, v7, s96, v2
	v_lshl_or_b32 v2, v6, 21, v2
                                        ; implicit-def: $vgpr6
.LBB2_3608:                             ;   in Loop: Header=BB2_3145 Depth=3
	s_andn2_saveexec_b64 s[68:69], s[68:69]
; %bb.3609:                             ;   in Loop: Header=BB2_3145 Depth=3
	v_cmp_lt_i16_e32 vcc, -1, v18
	v_mov_b32_e32 v2, 0xc7600000
	v_mov_b32_e32 v7, 0x47600000
	v_cndmask_b32_e32 v2, v2, v7, vcc
	v_cmp_eq_u32_e32 vcc, 0, v6
	v_mov_b32_e32 v6, 0x7f800001
	v_cndmask_b32_e32 v2, v6, v2, vcc
; %bb.3610:                             ;   in Loop: Header=BB2_3145 Depth=3
	s_or_b64 exec, exec, s[68:69]
.LBB2_3611:                             ;   in Loop: Header=BB2_3145 Depth=3
	s_or_b64 exec, exec, s[30:31]
.LBB2_3612:                             ;   in Loop: Header=BB2_3145 Depth=3
	s_or_b64 exec, exec, s[28:29]
	v_max_f32_e32 v2, v2, v2
	v_max_f32_e32 v0, v0, v0
	v_min_f32_e32 v2, v0, v2
.LBB2_3613:                             ;   in Loop: Header=BB2_3145 Depth=3
	v_and_b32_sdwa v0, v2, s97 dst_sel:DWORD dst_unused:UNUSED_PAD src0_sel:BYTE_3 src1_sel:DWORD
	v_and_b32_e32 v6, 0x7f800000, v2
	v_mov_b32_e32 v7, v51
	v_and_b32_e32 v50, 0x7fffff, v2
	v_or_b32_e32 v53, 0x7b, v0
	v_cmp_ne_u64_e32 vcc, s[52:53], v[6:7]
	s_and_saveexec_b64 s[28:29], vcc
	s_xor_b64 s[30:31], exec, s[28:29]
	s_cbranch_execz .LBB2_3623
; %bb.3614:                             ;   in Loop: Header=BB2_3145 Depth=3
	v_and_b32_e32 v6, 0x7fffffff, v2
	v_mov_b32_e32 v7, v51
	v_cmp_gt_u64_e32 vcc, s[54:55], v[6:7]
	s_and_saveexec_b64 s[68:69], vcc
	s_cbranch_execz .LBB2_3622
; %bb.3615:                             ;   in Loop: Header=BB2_3145 Depth=3
	v_cmp_ne_u32_e32 vcc, 0, v2
	v_mov_b32_e32 v53, 0
	s_and_saveexec_b64 s[70:71], vcc
	s_cbranch_execz .LBB2_3621
; %bb.3616:                             ;   in Loop: Header=BB2_3145 Depth=3
	v_bfe_u32 v2, v2, 23, 8
	v_sub_u32_e32 v7, 0x71, v2
	v_cmp_gt_u32_e32 vcc, s38, v2
	v_add_u32_e32 v6, 0xffffff81, v2
	v_cndmask_b32_e32 v7, 0, v7, vcc
	v_cmp_eq_u32_e32 vcc, 0, v2
	v_mov_b32_e32 v2, 0xffffff82
	v_cndmask_b32_e32 v2, v6, v2, vcc
	v_mov_b32_e32 v6, 0x70
	v_cndmask_b32_e32 v24, v7, v6, vcc
	v_add_u32_e32 v6, 21, v24
	v_or_b32_e32 v12, 0x800000, v50
	v_lshlrev_b64 v[6:7], v6, -1
	v_cndmask_b32_e32 v50, v12, v50, vcc
	v_not_b32_e32 v6, v6
	v_and_b32_e32 v12, v50, v6
	v_add_u32_e32 v6, 20, v24
	v_lshrrev_b64 v[16:17], v24, v[50:51]
	v_not_b32_e32 v7, v7
	v_lshlrev_b64 v[14:15], v6, 1
	v_lshrrev_b32_e32 v6, 23, v16
	v_and_b32_e32 v13, 0, v7
	v_add3_u32 v7, v24, v2, v6
	v_bfe_u32 v2, v16, 21, 1
	v_add_u32_e32 v2, -1, v2
	v_cmp_eq_u64_e32 vcc, v[12:13], v[14:15]
	v_cndmask_b32_e32 v2, 0, v2, vcc
	v_add_u32_e32 v2, v2, v16
	v_and_b32_e32 v2, 0x1fffff, v2
	v_add_co_u32_e32 v12, vcc, v2, v16
	v_add_u32_e32 v6, 14, v7
	v_addc_co_u32_e32 v13, vcc, 0, v17, vcc
	v_cmp_ne_u32_e32 vcc, 0, v6
                                        ; implicit-def: $vgpr2
	s_and_saveexec_b64 s[28:29], vcc
	s_xor_b64 s[28:29], exec, s[28:29]
; %bb.3617:                             ;   in Loop: Header=BB2_3145 Depth=3
	v_add_u32_e32 v2, 15, v7
	v_cmp_lt_u64_e32 vcc, s[56:57], v[12:13]
	v_cndmask_b32_e32 v2, v6, v2, vcc
	v_cndmask_b32_e64 v6, 0, 1, vcc
	v_lshrrev_b64 v[12:13], v6, v[12:13]
; %bb.3618:                             ;   in Loop: Header=BB2_3145 Depth=3
	s_andn2_saveexec_b64 s[28:29], s[28:29]
; %bb.3619:                             ;   in Loop: Header=BB2_3145 Depth=3
	v_bfe_u32 v2, v12, 23, 1
; %bb.3620:                             ;   in Loop: Header=BB2_3145 Depth=3
	s_or_b64 exec, exec, s[28:29]
	v_lshrrev_b64 v[6:7], 21, v[12:13]
	v_cmp_gt_i32_e32 vcc, 32, v2
	v_cndmask_b32_e32 v7, 0, v7, vcc
	v_cndmask_b32_e32 v6, 3, v6, vcc
	v_cmp_eq_u32_e32 vcc, 0, v2
	v_min_i32_e32 v2, 31, v2
	v_cmp_eq_u64_e64 s[28:29], 0, v[6:7]
	v_lshlrev_b32_e32 v2, 2, v2
	v_and_or_b32 v2, v6, 3, v2
	s_and_b64 s[28:29], vcc, s[28:29]
	v_cndmask_b32_e64 v2, v2, 0, s[28:29]
	v_or_b32_e32 v53, v2, v0
.LBB2_3621:                             ;   in Loop: Header=BB2_3145 Depth=3
	s_or_b64 exec, exec, s[70:71]
.LBB2_3622:                             ;   in Loop: Header=BB2_3145 Depth=3
	s_or_b64 exec, exec, s[68:69]
                                        ; implicit-def: $vgpr2
.LBB2_3623:                             ;   in Loop: Header=BB2_3145 Depth=3
	s_andn2_saveexec_b64 s[28:29], s[30:31]
; %bb.3624:                             ;   in Loop: Header=BB2_3145 Depth=3
	v_or_b32_sdwa v0, v2, s39 dst_sel:DWORD dst_unused:UNUSED_PAD src0_sel:BYTE_3 src1_sel:DWORD
	v_cmp_eq_u64_e32 vcc, 0, v[50:51]
	v_cndmask_b32_e32 v53, v0, v53, vcc
; %bb.3625:                             ;   in Loop: Header=BB2_3145 Depth=3
	s_or_b64 exec, exec, s[28:29]
	v_lshrrev_b32_e32 v14, 16, v22
	v_lshrrev_b32_e32 v12, 16, v18
	v_cmp_ne_u16_sdwa s[28:29], v14, v51 src0_sel:BYTE_0 src1_sel:DWORD
	s_and_b64 vcc, exec, s[66:67]
	s_cbranch_vccz .LBB2_3643
; %bb.3626:                             ;   in Loop: Header=BB2_3145 Depth=3
	v_mov_b32_e32 v2, 0
	v_mov_b32_e32 v0, 0
	s_and_saveexec_b64 s[30:31], s[28:29]
	s_cbranch_execz .LBB2_3634
; %bb.3627:                             ;   in Loop: Header=BB2_3145 Depth=3
	v_cmp_ne_u16_sdwa vcc, v14, s97 src0_sel:BYTE_0 src1_sel:DWORD
	v_bfrev_b32_e32 v0, 1
	s_and_saveexec_b64 s[68:69], vcc
	s_cbranch_execz .LBB2_3633
; %bb.3628:                             ;   in Loop: Header=BB2_3145 Depth=3
	v_and_b32_e32 v0, 0x7c0000, v22
	v_bfe_u32 v6, v22, 16, 2
	v_cmp_ne_u32_e32 vcc, s36, v0
                                        ; implicit-def: $vgpr0
	s_and_saveexec_b64 s[70:71], vcc
	s_xor_b64 s[70:71], exec, s[70:71]
	s_cbranch_execz .LBB2_3630
; %bb.3629:                             ;   in Loop: Header=BB2_3145 Depth=3
	v_ffbh_u32_e32 v7, v6
	v_min_u32_e32 v7, 32, v7
	v_subrev_u32_e32 v13, 29, v7
	v_bfe_u32 v0, v22, 18, 5
	v_lshlrev_b64 v[16:17], v13, v[14:15]
	v_sub_u32_e32 v7, 30, v7
	v_and_b32_e32 v13, 3, v16
	v_cmp_eq_u32_e32 vcc, 0, v0
	v_cndmask_b32_e32 v0, v0, v7, vcc
	v_cndmask_b32_e32 v6, v6, v13, vcc
	v_bfrev_b32_e32 v13, 28
	v_lshlrev_b32_e32 v7, 24, v14
	v_lshl_add_u32 v0, v0, 23, v13
	v_and_or_b32 v0, v7, s96, v0
	v_lshl_or_b32 v0, v6, 21, v0
                                        ; implicit-def: $vgpr6
.LBB2_3630:                             ;   in Loop: Header=BB2_3145 Depth=3
	s_andn2_saveexec_b64 s[70:71], s[70:71]
; %bb.3631:                             ;   in Loop: Header=BB2_3145 Depth=3
	v_mov_b32_e32 v0, -1
	v_cmp_gt_i16_sdwa vcc, sext(v14), v0 src0_sel:BYTE_0 src1_sel:DWORD
	v_mov_b32_e32 v0, 0xc7600000
	v_mov_b32_e32 v7, 0x47600000
	v_cndmask_b32_e32 v0, v0, v7, vcc
	v_cmp_eq_u32_e32 vcc, 0, v6
	v_mov_b32_e32 v6, 0x7f800001
	v_cndmask_b32_e32 v0, v6, v0, vcc
; %bb.3632:                             ;   in Loop: Header=BB2_3145 Depth=3
	s_or_b64 exec, exec, s[70:71]
.LBB2_3633:                             ;   in Loop: Header=BB2_3145 Depth=3
	s_or_b64 exec, exec, s[68:69]
.LBB2_3634:                             ;   in Loop: Header=BB2_3145 Depth=3
	s_or_b64 exec, exec, s[30:31]
	v_cmp_ne_u16_sdwa vcc, v12, v51 src0_sel:BYTE_0 src1_sel:DWORD
	s_and_saveexec_b64 s[30:31], vcc
	s_cbranch_execz .LBB2_3642
; %bb.3635:                             ;   in Loop: Header=BB2_3145 Depth=3
	v_cmp_ne_u16_sdwa vcc, v12, s97 src0_sel:BYTE_0 src1_sel:DWORD
	v_bfrev_b32_e32 v2, 1
	s_and_saveexec_b64 s[68:69], vcc
	s_cbranch_execz .LBB2_3641
; %bb.3636:                             ;   in Loop: Header=BB2_3145 Depth=3
	v_and_b32_e32 v2, 0x7c0000, v18
	v_bfe_u32 v6, v18, 16, 2
	v_cmp_ne_u32_e32 vcc, s36, v2
                                        ; implicit-def: $vgpr2
	s_and_saveexec_b64 s[70:71], vcc
	s_xor_b64 s[70:71], exec, s[70:71]
	s_cbranch_execz .LBB2_3638
; %bb.3637:                             ;   in Loop: Header=BB2_3145 Depth=3
	v_ffbh_u32_e32 v7, v6
	v_min_u32_e32 v7, 32, v7
	v_subrev_u32_e32 v13, 29, v7
	v_bfe_u32 v2, v18, 18, 5
	v_lshlrev_b64 v[16:17], v13, v[12:13]
	v_sub_u32_e32 v7, 30, v7
	v_and_b32_e32 v13, 3, v16
	v_cmp_eq_u32_e32 vcc, 0, v2
	v_cndmask_b32_e32 v2, v2, v7, vcc
	v_cndmask_b32_e32 v6, v6, v13, vcc
	v_bfrev_b32_e32 v13, 28
	v_lshlrev_b32_e32 v7, 24, v12
	v_lshl_add_u32 v2, v2, 23, v13
	v_and_or_b32 v2, v7, s96, v2
	v_lshl_or_b32 v2, v6, 21, v2
                                        ; implicit-def: $vgpr6
.LBB2_3638:                             ;   in Loop: Header=BB2_3145 Depth=3
	s_andn2_saveexec_b64 s[70:71], s[70:71]
; %bb.3639:                             ;   in Loop: Header=BB2_3145 Depth=3
	v_mov_b32_e32 v2, -1
	v_cmp_gt_i16_sdwa vcc, sext(v12), v2 src0_sel:BYTE_0 src1_sel:DWORD
	v_mov_b32_e32 v2, 0xc7600000
	v_mov_b32_e32 v7, 0x47600000
	v_cndmask_b32_e32 v2, v2, v7, vcc
	v_cmp_eq_u32_e32 vcc, 0, v6
	v_mov_b32_e32 v6, 0x7f800001
	v_cndmask_b32_e32 v2, v6, v2, vcc
; %bb.3640:                             ;   in Loop: Header=BB2_3145 Depth=3
	s_or_b64 exec, exec, s[70:71]
.LBB2_3641:                             ;   in Loop: Header=BB2_3145 Depth=3
	s_or_b64 exec, exec, s[68:69]
.LBB2_3642:                             ;   in Loop: Header=BB2_3145 Depth=3
	s_or_b64 exec, exec, s[30:31]
	v_max_f32_e32 v2, v2, v2
	v_max_f32_e32 v0, v0, v0
	;; [unrolled: 1-line block ×3, first 2 shown]
	s_branch .LBB2_3661
.LBB2_3643:                             ;   in Loop: Header=BB2_3145 Depth=3
                                        ; implicit-def: $vgpr2
	s_cbranch_execz .LBB2_3661
; %bb.3644:                             ;   in Loop: Header=BB2_3145 Depth=3
	v_mov_b32_e32 v2, 0
	v_mov_b32_e32 v0, 0
	s_and_saveexec_b64 s[30:31], s[28:29]
	s_cbranch_execz .LBB2_3652
; %bb.3645:                             ;   in Loop: Header=BB2_3145 Depth=3
	v_cmp_ne_u16_sdwa vcc, v14, s97 src0_sel:BYTE_0 src1_sel:DWORD
	v_bfrev_b32_e32 v0, 1
	s_and_saveexec_b64 s[28:29], vcc
	s_cbranch_execz .LBB2_3651
; %bb.3646:                             ;   in Loop: Header=BB2_3145 Depth=3
	v_and_b32_e32 v0, 0x7c0000, v22
	v_bfe_u32 v6, v22, 16, 2
	v_cmp_ne_u32_e32 vcc, s36, v0
                                        ; implicit-def: $vgpr0
	s_and_saveexec_b64 s[68:69], vcc
	s_xor_b64 s[68:69], exec, s[68:69]
	s_cbranch_execz .LBB2_3648
; %bb.3647:                             ;   in Loop: Header=BB2_3145 Depth=3
	v_ffbh_u32_e32 v7, v6
	v_min_u32_e32 v7, 32, v7
	v_subrev_u32_e32 v13, 29, v7
	v_bfe_u32 v0, v22, 18, 5
	v_lshlrev_b64 v[16:17], v13, v[14:15]
	v_sub_u32_e32 v7, 30, v7
	v_and_b32_e32 v13, 3, v16
	v_cmp_eq_u32_e32 vcc, 0, v0
	v_cndmask_b32_e32 v0, v0, v7, vcc
	v_cndmask_b32_e32 v6, v6, v13, vcc
	v_bfrev_b32_e32 v13, 28
	v_lshlrev_b32_e32 v7, 24, v14
	v_lshl_add_u32 v0, v0, 23, v13
	v_and_or_b32 v0, v7, s96, v0
	v_lshl_or_b32 v0, v6, 21, v0
                                        ; implicit-def: $vgpr6
                                        ; implicit-def: $vgpr14
.LBB2_3648:                             ;   in Loop: Header=BB2_3145 Depth=3
	s_andn2_saveexec_b64 s[68:69], s[68:69]
; %bb.3649:                             ;   in Loop: Header=BB2_3145 Depth=3
	v_mov_b32_e32 v0, -1
	v_cmp_gt_i16_sdwa vcc, sext(v14), v0 src0_sel:BYTE_0 src1_sel:DWORD
	v_mov_b32_e32 v0, 0xc7600000
	v_mov_b32_e32 v7, 0x47600000
	v_cndmask_b32_e32 v0, v0, v7, vcc
	v_cmp_eq_u32_e32 vcc, 0, v6
	v_mov_b32_e32 v6, 0x7f800001
	v_cndmask_b32_e32 v0, v6, v0, vcc
; %bb.3650:                             ;   in Loop: Header=BB2_3145 Depth=3
	s_or_b64 exec, exec, s[68:69]
.LBB2_3651:                             ;   in Loop: Header=BB2_3145 Depth=3
	s_or_b64 exec, exec, s[28:29]
.LBB2_3652:                             ;   in Loop: Header=BB2_3145 Depth=3
	s_or_b64 exec, exec, s[30:31]
	v_cmp_ne_u16_sdwa vcc, v12, v51 src0_sel:BYTE_0 src1_sel:DWORD
	s_and_saveexec_b64 s[28:29], vcc
	s_cbranch_execz .LBB2_3660
; %bb.3653:                             ;   in Loop: Header=BB2_3145 Depth=3
	v_cmp_ne_u16_sdwa vcc, v12, s97 src0_sel:BYTE_0 src1_sel:DWORD
	v_bfrev_b32_e32 v2, 1
	s_and_saveexec_b64 s[30:31], vcc
	s_cbranch_execz .LBB2_3659
; %bb.3654:                             ;   in Loop: Header=BB2_3145 Depth=3
	v_and_b32_e32 v2, 0x7c0000, v18
	v_bfe_u32 v6, v18, 16, 2
	v_cmp_ne_u32_e32 vcc, s36, v2
                                        ; implicit-def: $vgpr2
	s_and_saveexec_b64 s[68:69], vcc
	s_xor_b64 s[68:69], exec, s[68:69]
	s_cbranch_execz .LBB2_3656
; %bb.3655:                             ;   in Loop: Header=BB2_3145 Depth=3
	v_ffbh_u32_e32 v7, v6
	v_bfe_u32 v2, v18, 18, 5
	v_min_u32_e32 v7, 32, v7
	v_subrev_u32_e32 v13, 29, v7
	v_sub_u32_e32 v7, 30, v7
	v_cmp_eq_u32_e32 vcc, 0, v2
	v_lshlrev_b64 v[14:15], v13, v[12:13]
	v_cndmask_b32_e32 v2, v2, v7, vcc
	v_lshlrev_b32_e32 v7, 24, v12
	v_bfrev_b32_e32 v12, 28
	v_and_b32_e32 v13, 3, v14
	v_lshl_add_u32 v2, v2, 23, v12
	v_cndmask_b32_e32 v6, v6, v13, vcc
	v_and_or_b32 v2, v7, s96, v2
	v_lshl_or_b32 v2, v6, 21, v2
                                        ; implicit-def: $vgpr6
                                        ; implicit-def: $vgpr12
.LBB2_3656:                             ;   in Loop: Header=BB2_3145 Depth=3
	s_andn2_saveexec_b64 s[68:69], s[68:69]
; %bb.3657:                             ;   in Loop: Header=BB2_3145 Depth=3
	v_mov_b32_e32 v2, -1
	v_cmp_gt_i16_sdwa vcc, sext(v12), v2 src0_sel:BYTE_0 src1_sel:DWORD
	v_mov_b32_e32 v2, 0xc7600000
	v_mov_b32_e32 v7, 0x47600000
	v_cndmask_b32_e32 v2, v2, v7, vcc
	v_cmp_eq_u32_e32 vcc, 0, v6
	v_mov_b32_e32 v6, 0x7f800001
	v_cndmask_b32_e32 v2, v6, v2, vcc
; %bb.3658:                             ;   in Loop: Header=BB2_3145 Depth=3
	s_or_b64 exec, exec, s[68:69]
.LBB2_3659:                             ;   in Loop: Header=BB2_3145 Depth=3
	s_or_b64 exec, exec, s[30:31]
.LBB2_3660:                             ;   in Loop: Header=BB2_3145 Depth=3
	s_or_b64 exec, exec, s[28:29]
	v_max_f32_e32 v2, v2, v2
	v_max_f32_e32 v0, v0, v0
	v_min_f32_e32 v2, v0, v2
.LBB2_3661:                             ;   in Loop: Header=BB2_3145 Depth=3
	v_and_b32_sdwa v0, v2, s97 dst_sel:DWORD dst_unused:UNUSED_PAD src0_sel:BYTE_3 src1_sel:DWORD
	v_and_b32_e32 v6, 0x7f800000, v2
	v_mov_b32_e32 v7, v51
	v_and_b32_e32 v50, 0x7fffff, v2
	v_or_b32_e32 v45, 0x7b, v0
	v_cmp_ne_u64_e32 vcc, s[52:53], v[6:7]
	s_and_saveexec_b64 s[28:29], vcc
	s_xor_b64 s[30:31], exec, s[28:29]
	s_cbranch_execz .LBB2_3671
; %bb.3662:                             ;   in Loop: Header=BB2_3145 Depth=3
	v_and_b32_e32 v6, 0x7fffffff, v2
	v_mov_b32_e32 v7, v51
	v_cmp_gt_u64_e32 vcc, s[54:55], v[6:7]
	s_and_saveexec_b64 s[68:69], vcc
	s_cbranch_execz .LBB2_3670
; %bb.3663:                             ;   in Loop: Header=BB2_3145 Depth=3
	v_cmp_ne_u32_e32 vcc, 0, v2
	v_mov_b32_e32 v45, 0
	s_and_saveexec_b64 s[70:71], vcc
	s_cbranch_execz .LBB2_3669
; %bb.3664:                             ;   in Loop: Header=BB2_3145 Depth=3
	v_bfe_u32 v2, v2, 23, 8
	v_sub_u32_e32 v7, 0x71, v2
	v_cmp_gt_u32_e32 vcc, s38, v2
	v_add_u32_e32 v6, 0xffffff81, v2
	v_cndmask_b32_e32 v7, 0, v7, vcc
	v_cmp_eq_u32_e32 vcc, 0, v2
	v_mov_b32_e32 v2, 0xffffff82
	v_cndmask_b32_e32 v2, v6, v2, vcc
	v_mov_b32_e32 v6, 0x70
	v_cndmask_b32_e32 v24, v7, v6, vcc
	v_add_u32_e32 v6, 21, v24
	v_or_b32_e32 v12, 0x800000, v50
	v_lshlrev_b64 v[6:7], v6, -1
	v_cndmask_b32_e32 v50, v12, v50, vcc
	v_not_b32_e32 v6, v6
	v_and_b32_e32 v12, v50, v6
	v_add_u32_e32 v6, 20, v24
	v_lshrrev_b64 v[16:17], v24, v[50:51]
	v_not_b32_e32 v7, v7
	v_lshlrev_b64 v[14:15], v6, 1
	v_lshrrev_b32_e32 v6, 23, v16
	v_and_b32_e32 v13, 0, v7
	v_add3_u32 v7, v24, v2, v6
	v_bfe_u32 v2, v16, 21, 1
	v_add_u32_e32 v2, -1, v2
	v_cmp_eq_u64_e32 vcc, v[12:13], v[14:15]
	v_cndmask_b32_e32 v2, 0, v2, vcc
	v_add_u32_e32 v2, v2, v16
	v_and_b32_e32 v2, 0x1fffff, v2
	v_add_co_u32_e32 v12, vcc, v2, v16
	v_add_u32_e32 v6, 14, v7
	v_addc_co_u32_e32 v13, vcc, 0, v17, vcc
	v_cmp_ne_u32_e32 vcc, 0, v6
                                        ; implicit-def: $vgpr2
	s_and_saveexec_b64 s[28:29], vcc
	s_xor_b64 s[28:29], exec, s[28:29]
; %bb.3665:                             ;   in Loop: Header=BB2_3145 Depth=3
	v_add_u32_e32 v2, 15, v7
	v_cmp_lt_u64_e32 vcc, s[56:57], v[12:13]
	v_cndmask_b32_e32 v2, v6, v2, vcc
	v_cndmask_b32_e64 v6, 0, 1, vcc
	v_lshrrev_b64 v[12:13], v6, v[12:13]
; %bb.3666:                             ;   in Loop: Header=BB2_3145 Depth=3
	s_andn2_saveexec_b64 s[28:29], s[28:29]
; %bb.3667:                             ;   in Loop: Header=BB2_3145 Depth=3
	v_bfe_u32 v2, v12, 23, 1
; %bb.3668:                             ;   in Loop: Header=BB2_3145 Depth=3
	s_or_b64 exec, exec, s[28:29]
	v_lshrrev_b64 v[6:7], 21, v[12:13]
	v_cmp_gt_i32_e32 vcc, 32, v2
	v_cndmask_b32_e32 v7, 0, v7, vcc
	v_cndmask_b32_e32 v6, 3, v6, vcc
	v_cmp_eq_u32_e32 vcc, 0, v2
	v_min_i32_e32 v2, 31, v2
	v_cmp_eq_u64_e64 s[28:29], 0, v[6:7]
	v_lshlrev_b32_e32 v2, 2, v2
	v_and_or_b32 v2, v6, 3, v2
	s_and_b64 s[28:29], vcc, s[28:29]
	v_cndmask_b32_e64 v2, v2, 0, s[28:29]
	v_or_b32_e32 v45, v2, v0
.LBB2_3669:                             ;   in Loop: Header=BB2_3145 Depth=3
	s_or_b64 exec, exec, s[70:71]
.LBB2_3670:                             ;   in Loop: Header=BB2_3145 Depth=3
	s_or_b64 exec, exec, s[68:69]
                                        ; implicit-def: $vgpr2
.LBB2_3671:                             ;   in Loop: Header=BB2_3145 Depth=3
	s_andn2_saveexec_b64 s[28:29], s[30:31]
; %bb.3672:                             ;   in Loop: Header=BB2_3145 Depth=3
	v_or_b32_sdwa v0, v2, s39 dst_sel:DWORD dst_unused:UNUSED_PAD src0_sel:BYTE_3 src1_sel:DWORD
	v_cmp_eq_u64_e32 vcc, 0, v[50:51]
	v_cndmask_b32_e32 v45, v0, v45, vcc
; %bb.3673:                             ;   in Loop: Header=BB2_3145 Depth=3
	s_or_b64 exec, exec, s[28:29]
	v_lshrrev_b32_e32 v14, 24, v22
	v_lshrrev_b32_e32 v12, 24, v18
	v_cmp_lt_u32_e64 s[28:29], s43, v22
	s_and_b64 vcc, exec, s[66:67]
	s_cbranch_vccz .LBB2_3691
; %bb.3674:                             ;   in Loop: Header=BB2_3145 Depth=3
	v_mov_b32_e32 v2, 0
	v_mov_b32_e32 v0, 0
	s_and_saveexec_b64 s[30:31], s[28:29]
	s_cbranch_execz .LBB2_3682
; %bb.3675:                             ;   in Loop: Header=BB2_3145 Depth=3
	v_cmp_ne_u32_e32 vcc, s97, v14
	v_bfrev_b32_e32 v0, 1
	s_and_saveexec_b64 s[68:69], vcc
	s_cbranch_execz .LBB2_3681
; %bb.3676:                             ;   in Loop: Header=BB2_3145 Depth=3
	v_and_b32_e32 v0, 0x7c000000, v22
	v_bfe_u32 v6, v22, 24, 2
	v_cmp_ne_u32_e32 vcc, s37, v0
                                        ; implicit-def: $vgpr0
	s_and_saveexec_b64 s[70:71], vcc
	s_xor_b64 s[70:71], exec, s[70:71]
	s_cbranch_execz .LBB2_3678
; %bb.3677:                             ;   in Loop: Header=BB2_3145 Depth=3
	v_ffbh_u32_e32 v7, v6
	v_bfe_u32 v0, v22, 26, 5
	v_min_u32_e32 v7, 32, v7
	v_subrev_u32_e32 v13, 29, v7
	v_sub_u32_e32 v7, 30, v7
	v_cmp_eq_u32_e32 vcc, 0, v0
	v_lshlrev_b64 v[16:17], v13, v[14:15]
	v_cndmask_b32_e32 v0, v0, v7, vcc
	v_bfrev_b32_e32 v7, 28
	v_and_b32_e32 v13, 3, v16
	v_lshl_add_u32 v0, v0, 23, v7
	v_cndmask_b32_e32 v6, v6, v13, vcc
	v_and_or_b32 v0, v22, s96, v0
	v_lshl_or_b32 v0, v6, 21, v0
                                        ; implicit-def: $vgpr6
.LBB2_3678:                             ;   in Loop: Header=BB2_3145 Depth=3
	s_andn2_saveexec_b64 s[70:71], s[70:71]
; %bb.3679:                             ;   in Loop: Header=BB2_3145 Depth=3
	v_cmp_lt_i32_e32 vcc, -1, v22
	v_mov_b32_e32 v0, 0xc7600000
	v_mov_b32_e32 v7, 0x47600000
	v_cndmask_b32_e32 v0, v0, v7, vcc
	v_cmp_eq_u32_e32 vcc, 0, v6
	v_mov_b32_e32 v6, 0x7f800001
	v_cndmask_b32_e32 v0, v6, v0, vcc
; %bb.3680:                             ;   in Loop: Header=BB2_3145 Depth=3
	s_or_b64 exec, exec, s[70:71]
.LBB2_3681:                             ;   in Loop: Header=BB2_3145 Depth=3
	s_or_b64 exec, exec, s[68:69]
.LBB2_3682:                             ;   in Loop: Header=BB2_3145 Depth=3
	s_or_b64 exec, exec, s[30:31]
	v_cmp_lt_u32_e32 vcc, s43, v18
	s_and_saveexec_b64 s[30:31], vcc
	s_cbranch_execz .LBB2_3690
; %bb.3683:                             ;   in Loop: Header=BB2_3145 Depth=3
	v_cmp_ne_u32_e32 vcc, s97, v12
	v_bfrev_b32_e32 v2, 1
	s_and_saveexec_b64 s[68:69], vcc
	s_cbranch_execz .LBB2_3689
; %bb.3684:                             ;   in Loop: Header=BB2_3145 Depth=3
	v_and_b32_e32 v2, 0x7c000000, v18
	v_bfe_u32 v6, v18, 24, 2
	v_cmp_ne_u32_e32 vcc, s37, v2
                                        ; implicit-def: $vgpr2
	s_and_saveexec_b64 s[70:71], vcc
	s_xor_b64 s[70:71], exec, s[70:71]
	s_cbranch_execz .LBB2_3686
; %bb.3685:                             ;   in Loop: Header=BB2_3145 Depth=3
	v_ffbh_u32_e32 v7, v6
	v_bfe_u32 v2, v18, 26, 5
	v_min_u32_e32 v7, 32, v7
	v_subrev_u32_e32 v13, 29, v7
	v_sub_u32_e32 v7, 30, v7
	v_cmp_eq_u32_e32 vcc, 0, v2
	v_lshlrev_b64 v[16:17], v13, v[12:13]
	v_cndmask_b32_e32 v2, v2, v7, vcc
	v_bfrev_b32_e32 v7, 28
	v_and_b32_e32 v13, 3, v16
	v_lshl_add_u32 v2, v2, 23, v7
	v_cndmask_b32_e32 v6, v6, v13, vcc
	v_and_or_b32 v2, v18, s96, v2
	v_lshl_or_b32 v2, v6, 21, v2
                                        ; implicit-def: $vgpr6
.LBB2_3686:                             ;   in Loop: Header=BB2_3145 Depth=3
	s_andn2_saveexec_b64 s[70:71], s[70:71]
; %bb.3687:                             ;   in Loop: Header=BB2_3145 Depth=3
	v_cmp_lt_i32_e32 vcc, -1, v18
	v_mov_b32_e32 v2, 0xc7600000
	v_mov_b32_e32 v7, 0x47600000
	v_cndmask_b32_e32 v2, v2, v7, vcc
	v_cmp_eq_u32_e32 vcc, 0, v6
	v_mov_b32_e32 v6, 0x7f800001
	v_cndmask_b32_e32 v2, v6, v2, vcc
; %bb.3688:                             ;   in Loop: Header=BB2_3145 Depth=3
	s_or_b64 exec, exec, s[70:71]
.LBB2_3689:                             ;   in Loop: Header=BB2_3145 Depth=3
	s_or_b64 exec, exec, s[68:69]
.LBB2_3690:                             ;   in Loop: Header=BB2_3145 Depth=3
	s_or_b64 exec, exec, s[30:31]
	v_max_f32_e32 v2, v2, v2
	v_max_f32_e32 v0, v0, v0
	;; [unrolled: 1-line block ×3, first 2 shown]
	s_branch .LBB2_3709
.LBB2_3691:                             ;   in Loop: Header=BB2_3145 Depth=3
                                        ; implicit-def: $vgpr2
	s_cbranch_execz .LBB2_3709
; %bb.3692:                             ;   in Loop: Header=BB2_3145 Depth=3
	v_mov_b32_e32 v2, 0
	v_mov_b32_e32 v0, 0
	s_and_saveexec_b64 s[30:31], s[28:29]
	s_cbranch_execz .LBB2_3700
; %bb.3693:                             ;   in Loop: Header=BB2_3145 Depth=3
	v_cmp_ne_u32_e32 vcc, s97, v14
	v_bfrev_b32_e32 v0, 1
	s_and_saveexec_b64 s[28:29], vcc
	s_cbranch_execz .LBB2_3699
; %bb.3694:                             ;   in Loop: Header=BB2_3145 Depth=3
	v_and_b32_e32 v0, 0x7c000000, v22
	v_bfe_u32 v6, v22, 24, 2
	v_cmp_ne_u32_e32 vcc, s37, v0
                                        ; implicit-def: $vgpr0
	s_and_saveexec_b64 s[68:69], vcc
	s_xor_b64 s[68:69], exec, s[68:69]
	s_cbranch_execz .LBB2_3696
; %bb.3695:                             ;   in Loop: Header=BB2_3145 Depth=3
	v_ffbh_u32_e32 v7, v6
	v_bfe_u32 v0, v22, 26, 5
	v_min_u32_e32 v7, 32, v7
	v_subrev_u32_e32 v13, 29, v7
	v_sub_u32_e32 v7, 30, v7
	v_cmp_eq_u32_e32 vcc, 0, v0
	v_lshlrev_b64 v[14:15], v13, v[14:15]
	v_cndmask_b32_e32 v0, v0, v7, vcc
	v_bfrev_b32_e32 v7, 28
	v_and_b32_e32 v13, 3, v14
	v_lshl_add_u32 v0, v0, 23, v7
	v_cndmask_b32_e32 v6, v6, v13, vcc
	v_and_or_b32 v0, v22, s96, v0
	v_lshl_or_b32 v0, v6, 21, v0
                                        ; implicit-def: $vgpr6
.LBB2_3696:                             ;   in Loop: Header=BB2_3145 Depth=3
	s_andn2_saveexec_b64 s[68:69], s[68:69]
; %bb.3697:                             ;   in Loop: Header=BB2_3145 Depth=3
	v_cmp_lt_i32_e32 vcc, -1, v22
	v_mov_b32_e32 v0, 0xc7600000
	v_mov_b32_e32 v7, 0x47600000
	v_cndmask_b32_e32 v0, v0, v7, vcc
	v_cmp_eq_u32_e32 vcc, 0, v6
	v_mov_b32_e32 v6, 0x7f800001
	v_cndmask_b32_e32 v0, v6, v0, vcc
; %bb.3698:                             ;   in Loop: Header=BB2_3145 Depth=3
	s_or_b64 exec, exec, s[68:69]
.LBB2_3699:                             ;   in Loop: Header=BB2_3145 Depth=3
	s_or_b64 exec, exec, s[28:29]
.LBB2_3700:                             ;   in Loop: Header=BB2_3145 Depth=3
	s_or_b64 exec, exec, s[30:31]
	v_cmp_lt_u32_e32 vcc, s43, v18
	s_and_saveexec_b64 s[28:29], vcc
	s_cbranch_execz .LBB2_3708
; %bb.3701:                             ;   in Loop: Header=BB2_3145 Depth=3
	v_cmp_ne_u32_e32 vcc, s97, v12
	v_bfrev_b32_e32 v2, 1
	s_and_saveexec_b64 s[30:31], vcc
	s_cbranch_execz .LBB2_3707
; %bb.3702:                             ;   in Loop: Header=BB2_3145 Depth=3
	v_and_b32_e32 v2, 0x7c000000, v18
	v_bfe_u32 v6, v18, 24, 2
	v_cmp_ne_u32_e32 vcc, s37, v2
                                        ; implicit-def: $vgpr2
	s_and_saveexec_b64 s[68:69], vcc
	s_xor_b64 s[68:69], exec, s[68:69]
	s_cbranch_execz .LBB2_3704
; %bb.3703:                             ;   in Loop: Header=BB2_3145 Depth=3
	v_ffbh_u32_e32 v7, v6
	v_bfe_u32 v2, v18, 26, 5
	v_min_u32_e32 v7, 32, v7
	v_subrev_u32_e32 v13, 29, v7
	v_sub_u32_e32 v7, 30, v7
	v_cmp_eq_u32_e32 vcc, 0, v2
	v_lshlrev_b64 v[12:13], v13, v[12:13]
	v_cndmask_b32_e32 v2, v2, v7, vcc
	v_bfrev_b32_e32 v7, 28
	v_and_b32_e32 v12, 3, v12
	v_lshl_add_u32 v2, v2, 23, v7
	v_cndmask_b32_e32 v6, v6, v12, vcc
	v_and_or_b32 v2, v18, s96, v2
	v_lshl_or_b32 v2, v6, 21, v2
                                        ; implicit-def: $vgpr6
.LBB2_3704:                             ;   in Loop: Header=BB2_3145 Depth=3
	s_andn2_saveexec_b64 s[68:69], s[68:69]
; %bb.3705:                             ;   in Loop: Header=BB2_3145 Depth=3
	v_cmp_lt_i32_e32 vcc, -1, v18
	v_mov_b32_e32 v2, 0xc7600000
	v_mov_b32_e32 v7, 0x47600000
	v_cndmask_b32_e32 v2, v2, v7, vcc
	v_cmp_eq_u32_e32 vcc, 0, v6
	v_mov_b32_e32 v6, 0x7f800001
	v_cndmask_b32_e32 v2, v6, v2, vcc
; %bb.3706:                             ;   in Loop: Header=BB2_3145 Depth=3
	s_or_b64 exec, exec, s[68:69]
.LBB2_3707:                             ;   in Loop: Header=BB2_3145 Depth=3
	s_or_b64 exec, exec, s[30:31]
.LBB2_3708:                             ;   in Loop: Header=BB2_3145 Depth=3
	s_or_b64 exec, exec, s[28:29]
	v_max_f32_e32 v2, v2, v2
	v_max_f32_e32 v0, v0, v0
	v_min_f32_e32 v2, v0, v2
.LBB2_3709:                             ;   in Loop: Header=BB2_3145 Depth=3
	v_and_b32_sdwa v0, v2, s97 dst_sel:DWORD dst_unused:UNUSED_PAD src0_sel:BYTE_3 src1_sel:DWORD
	v_and_b32_e32 v6, 0x7f800000, v2
	v_mov_b32_e32 v7, v51
	v_and_b32_e32 v50, 0x7fffff, v2
	v_or_b32_e32 v38, 0x7b, v0
	v_cmp_ne_u64_e32 vcc, s[52:53], v[6:7]
	s_and_saveexec_b64 s[28:29], vcc
	s_xor_b64 s[30:31], exec, s[28:29]
	s_cbranch_execz .LBB2_3719
; %bb.3710:                             ;   in Loop: Header=BB2_3145 Depth=3
	v_and_b32_e32 v6, 0x7fffffff, v2
	v_mov_b32_e32 v7, v51
	v_cmp_gt_u64_e32 vcc, s[54:55], v[6:7]
	s_and_saveexec_b64 s[68:69], vcc
	s_cbranch_execz .LBB2_3718
; %bb.3711:                             ;   in Loop: Header=BB2_3145 Depth=3
	v_cmp_ne_u32_e32 vcc, 0, v2
	v_mov_b32_e32 v38, 0
	s_and_saveexec_b64 s[70:71], vcc
	s_cbranch_execz .LBB2_3717
; %bb.3712:                             ;   in Loop: Header=BB2_3145 Depth=3
	v_bfe_u32 v2, v2, 23, 8
	v_sub_u32_e32 v7, 0x71, v2
	v_cmp_gt_u32_e32 vcc, s38, v2
	v_add_u32_e32 v6, 0xffffff81, v2
	v_cndmask_b32_e32 v7, 0, v7, vcc
	v_cmp_eq_u32_e32 vcc, 0, v2
	v_mov_b32_e32 v2, 0xffffff82
	v_cndmask_b32_e32 v2, v6, v2, vcc
	v_mov_b32_e32 v6, 0x70
	v_cndmask_b32_e32 v24, v7, v6, vcc
	v_add_u32_e32 v6, 21, v24
	v_or_b32_e32 v12, 0x800000, v50
	v_lshlrev_b64 v[6:7], v6, -1
	v_cndmask_b32_e32 v50, v12, v50, vcc
	v_not_b32_e32 v6, v6
	v_and_b32_e32 v12, v50, v6
	v_add_u32_e32 v6, 20, v24
	v_lshrrev_b64 v[16:17], v24, v[50:51]
	v_not_b32_e32 v7, v7
	v_lshlrev_b64 v[14:15], v6, 1
	v_lshrrev_b32_e32 v6, 23, v16
	v_and_b32_e32 v13, 0, v7
	v_add3_u32 v7, v24, v2, v6
	v_bfe_u32 v2, v16, 21, 1
	v_add_u32_e32 v2, -1, v2
	v_cmp_eq_u64_e32 vcc, v[12:13], v[14:15]
	v_cndmask_b32_e32 v2, 0, v2, vcc
	v_add_u32_e32 v2, v2, v16
	v_and_b32_e32 v2, 0x1fffff, v2
	v_add_co_u32_e32 v12, vcc, v2, v16
	v_add_u32_e32 v6, 14, v7
	v_addc_co_u32_e32 v13, vcc, 0, v17, vcc
	v_cmp_ne_u32_e32 vcc, 0, v6
                                        ; implicit-def: $vgpr2
	s_and_saveexec_b64 s[28:29], vcc
	s_xor_b64 s[28:29], exec, s[28:29]
; %bb.3713:                             ;   in Loop: Header=BB2_3145 Depth=3
	v_add_u32_e32 v2, 15, v7
	v_cmp_lt_u64_e32 vcc, s[56:57], v[12:13]
	v_cndmask_b32_e32 v2, v6, v2, vcc
	v_cndmask_b32_e64 v6, 0, 1, vcc
	v_lshrrev_b64 v[12:13], v6, v[12:13]
; %bb.3714:                             ;   in Loop: Header=BB2_3145 Depth=3
	s_andn2_saveexec_b64 s[28:29], s[28:29]
; %bb.3715:                             ;   in Loop: Header=BB2_3145 Depth=3
	v_bfe_u32 v2, v12, 23, 1
; %bb.3716:                             ;   in Loop: Header=BB2_3145 Depth=3
	s_or_b64 exec, exec, s[28:29]
	v_lshrrev_b64 v[6:7], 21, v[12:13]
	v_cmp_gt_i32_e32 vcc, 32, v2
	v_cndmask_b32_e32 v7, 0, v7, vcc
	v_cndmask_b32_e32 v6, 3, v6, vcc
	v_cmp_eq_u32_e32 vcc, 0, v2
	v_min_i32_e32 v2, 31, v2
	v_cmp_eq_u64_e64 s[28:29], 0, v[6:7]
	v_lshlrev_b32_e32 v2, 2, v2
	v_and_or_b32 v2, v6, 3, v2
	s_and_b64 s[28:29], vcc, s[28:29]
	v_cndmask_b32_e64 v2, v2, 0, s[28:29]
	v_or_b32_e32 v38, v2, v0
.LBB2_3717:                             ;   in Loop: Header=BB2_3145 Depth=3
	s_or_b64 exec, exec, s[70:71]
.LBB2_3718:                             ;   in Loop: Header=BB2_3145 Depth=3
	s_or_b64 exec, exec, s[68:69]
                                        ; implicit-def: $vgpr2
.LBB2_3719:                             ;   in Loop: Header=BB2_3145 Depth=3
	s_andn2_saveexec_b64 s[28:29], s[30:31]
; %bb.3720:                             ;   in Loop: Header=BB2_3145 Depth=3
	v_or_b32_sdwa v0, v2, s39 dst_sel:DWORD dst_unused:UNUSED_PAD src0_sel:BYTE_3 src1_sel:DWORD
	v_cmp_eq_u64_e32 vcc, 0, v[50:51]
	v_cndmask_b32_e32 v38, v0, v38, vcc
; %bb.3721:                             ;   in Loop: Header=BB2_3145 Depth=3
	s_or_b64 exec, exec, s[28:29]
	v_mov_b32_e32 v50, v23
	v_mov_b32_e32 v12, v19
	;; [unrolled: 1-line block ×3, first 2 shown]
	v_cmp_ne_u16_sdwa s[28:29], v23, v51 src0_sel:BYTE_0 src1_sel:DWORD
	s_and_b64 vcc, exec, s[66:67]
	s_cbranch_vccz .LBB2_3739
; %bb.3722:                             ;   in Loop: Header=BB2_3145 Depth=3
	v_mov_b32_e32 v2, 0
	v_mov_b32_e32 v0, 0
	s_and_saveexec_b64 s[30:31], s[28:29]
	s_cbranch_execz .LBB2_3730
; %bb.3723:                             ;   in Loop: Header=BB2_3145 Depth=3
	v_cmp_ne_u16_sdwa vcc, v23, s97 src0_sel:BYTE_0 src1_sel:DWORD
	v_bfrev_b32_e32 v0, 1
	s_and_saveexec_b64 s[68:69], vcc
	s_cbranch_execz .LBB2_3729
; %bb.3724:                             ;   in Loop: Header=BB2_3145 Depth=3
	v_and_b32_e32 v0, 0x7c, v23
	v_and_b32_e32 v6, 3, v23
	v_cmp_ne_u32_e32 vcc, s95, v0
                                        ; implicit-def: $vgpr0
	s_and_saveexec_b64 s[70:71], vcc
	s_xor_b64 s[70:71], exec, s[70:71]
	s_cbranch_execz .LBB2_3726
; %bb.3725:                             ;   in Loop: Header=BB2_3145 Depth=3
	v_ffbh_u32_e32 v7, v6
	v_min_u32_e32 v7, 32, v7
	v_subrev_u32_e32 v14, 29, v7
	v_bfe_u32 v0, v23, 2, 5
	v_lshlrev_b64 v[14:15], v14, v[50:51]
	v_sub_u32_e32 v7, 30, v7
	v_and_b32_e32 v14, 3, v14
	v_cmp_eq_u32_e32 vcc, 0, v0
	v_cndmask_b32_e32 v0, v0, v7, vcc
	v_cndmask_b32_e32 v6, v6, v14, vcc
	v_bfrev_b32_e32 v14, 28
	v_lshlrev_b32_e32 v7, 24, v23
	v_lshl_add_u32 v0, v0, 23, v14
	v_and_or_b32 v0, v7, s96, v0
	v_lshl_or_b32 v0, v6, 21, v0
                                        ; implicit-def: $vgpr6
.LBB2_3726:                             ;   in Loop: Header=BB2_3145 Depth=3
	s_andn2_saveexec_b64 s[70:71], s[70:71]
; %bb.3727:                             ;   in Loop: Header=BB2_3145 Depth=3
	v_mov_b32_e32 v0, -1
	v_cmp_gt_i16_sdwa vcc, sext(v23), v0 src0_sel:BYTE_0 src1_sel:DWORD
	v_mov_b32_e32 v0, 0xc7600000
	v_mov_b32_e32 v7, 0x47600000
	v_cndmask_b32_e32 v0, v0, v7, vcc
	v_cmp_eq_u32_e32 vcc, 0, v6
	v_mov_b32_e32 v6, 0x7f800001
	v_cndmask_b32_e32 v0, v6, v0, vcc
; %bb.3728:                             ;   in Loop: Header=BB2_3145 Depth=3
	s_or_b64 exec, exec, s[70:71]
.LBB2_3729:                             ;   in Loop: Header=BB2_3145 Depth=3
	s_or_b64 exec, exec, s[68:69]
.LBB2_3730:                             ;   in Loop: Header=BB2_3145 Depth=3
	s_or_b64 exec, exec, s[30:31]
	v_cmp_ne_u16_sdwa vcc, v19, v51 src0_sel:BYTE_0 src1_sel:DWORD
	s_and_saveexec_b64 s[30:31], vcc
	s_cbranch_execz .LBB2_3738
; %bb.3731:                             ;   in Loop: Header=BB2_3145 Depth=3
	v_cmp_ne_u16_sdwa vcc, v19, s97 src0_sel:BYTE_0 src1_sel:DWORD
	v_bfrev_b32_e32 v2, 1
	s_and_saveexec_b64 s[68:69], vcc
	s_cbranch_execz .LBB2_3737
; %bb.3732:                             ;   in Loop: Header=BB2_3145 Depth=3
	v_and_b32_e32 v2, 0x7c, v19
	v_and_b32_e32 v6, 3, v19
	v_cmp_ne_u32_e32 vcc, s95, v2
                                        ; implicit-def: $vgpr2
	s_and_saveexec_b64 s[70:71], vcc
	s_xor_b64 s[70:71], exec, s[70:71]
	s_cbranch_execz .LBB2_3734
; %bb.3733:                             ;   in Loop: Header=BB2_3145 Depth=3
	v_ffbh_u32_e32 v7, v6
	v_min_u32_e32 v7, 32, v7
	v_subrev_u32_e32 v14, 29, v7
	v_bfe_u32 v2, v19, 2, 5
	v_lshlrev_b64 v[14:15], v14, v[12:13]
	v_sub_u32_e32 v7, 30, v7
	v_and_b32_e32 v14, 3, v14
	v_cmp_eq_u32_e32 vcc, 0, v2
	v_cndmask_b32_e32 v2, v2, v7, vcc
	v_cndmask_b32_e32 v6, v6, v14, vcc
	v_bfrev_b32_e32 v14, 28
	v_lshlrev_b32_e32 v7, 24, v19
	v_lshl_add_u32 v2, v2, 23, v14
	v_and_or_b32 v2, v7, s96, v2
	v_lshl_or_b32 v2, v6, 21, v2
                                        ; implicit-def: $vgpr6
.LBB2_3734:                             ;   in Loop: Header=BB2_3145 Depth=3
	s_andn2_saveexec_b64 s[70:71], s[70:71]
; %bb.3735:                             ;   in Loop: Header=BB2_3145 Depth=3
	v_mov_b32_e32 v2, -1
	v_cmp_gt_i16_sdwa vcc, sext(v19), v2 src0_sel:BYTE_0 src1_sel:DWORD
	v_mov_b32_e32 v2, 0xc7600000
	v_mov_b32_e32 v7, 0x47600000
	v_cndmask_b32_e32 v2, v2, v7, vcc
	v_cmp_eq_u32_e32 vcc, 0, v6
	v_mov_b32_e32 v6, 0x7f800001
	v_cndmask_b32_e32 v2, v6, v2, vcc
; %bb.3736:                             ;   in Loop: Header=BB2_3145 Depth=3
	s_or_b64 exec, exec, s[70:71]
.LBB2_3737:                             ;   in Loop: Header=BB2_3145 Depth=3
	s_or_b64 exec, exec, s[68:69]
.LBB2_3738:                             ;   in Loop: Header=BB2_3145 Depth=3
	s_or_b64 exec, exec, s[30:31]
	v_max_f32_e32 v2, v2, v2
	v_max_f32_e32 v0, v0, v0
	;; [unrolled: 1-line block ×3, first 2 shown]
	s_branch .LBB2_3757
.LBB2_3739:                             ;   in Loop: Header=BB2_3145 Depth=3
                                        ; implicit-def: $vgpr2
	s_cbranch_execz .LBB2_3757
; %bb.3740:                             ;   in Loop: Header=BB2_3145 Depth=3
	v_mov_b32_e32 v2, 0
	v_mov_b32_e32 v0, 0
	s_and_saveexec_b64 s[30:31], s[28:29]
	s_cbranch_execz .LBB2_3748
; %bb.3741:                             ;   in Loop: Header=BB2_3145 Depth=3
	v_cmp_ne_u16_sdwa vcc, v23, s97 src0_sel:BYTE_0 src1_sel:DWORD
	v_bfrev_b32_e32 v0, 1
	s_and_saveexec_b64 s[28:29], vcc
	s_cbranch_execz .LBB2_3747
; %bb.3742:                             ;   in Loop: Header=BB2_3145 Depth=3
	v_and_b32_e32 v0, 0x7c, v23
	v_and_b32_e32 v6, 3, v23
	v_cmp_ne_u32_e32 vcc, s95, v0
                                        ; implicit-def: $vgpr0
	s_and_saveexec_b64 s[68:69], vcc
	s_xor_b64 s[68:69], exec, s[68:69]
	s_cbranch_execz .LBB2_3744
; %bb.3743:                             ;   in Loop: Header=BB2_3145 Depth=3
	v_ffbh_u32_e32 v7, v6
	v_min_u32_e32 v7, 32, v7
	v_subrev_u32_e32 v14, 29, v7
	v_bfe_u32 v0, v23, 2, 5
	v_lshlrev_b64 v[14:15], v14, v[50:51]
	v_sub_u32_e32 v7, 30, v7
	v_and_b32_e32 v14, 3, v14
	v_cmp_eq_u32_e32 vcc, 0, v0
	v_cndmask_b32_e32 v0, v0, v7, vcc
	v_cndmask_b32_e32 v6, v6, v14, vcc
	v_bfrev_b32_e32 v14, 28
	v_lshlrev_b32_e32 v7, 24, v23
	v_lshl_add_u32 v0, v0, 23, v14
	v_and_or_b32 v0, v7, s96, v0
	v_lshl_or_b32 v0, v6, 21, v0
                                        ; implicit-def: $vgpr6
.LBB2_3744:                             ;   in Loop: Header=BB2_3145 Depth=3
	s_andn2_saveexec_b64 s[68:69], s[68:69]
; %bb.3745:                             ;   in Loop: Header=BB2_3145 Depth=3
	v_mov_b32_e32 v0, -1
	v_cmp_gt_i16_sdwa vcc, sext(v23), v0 src0_sel:BYTE_0 src1_sel:DWORD
	v_mov_b32_e32 v0, 0xc7600000
	v_mov_b32_e32 v7, 0x47600000
	v_cndmask_b32_e32 v0, v0, v7, vcc
	v_cmp_eq_u32_e32 vcc, 0, v6
	v_mov_b32_e32 v6, 0x7f800001
	v_cndmask_b32_e32 v0, v6, v0, vcc
; %bb.3746:                             ;   in Loop: Header=BB2_3145 Depth=3
	s_or_b64 exec, exec, s[68:69]
.LBB2_3747:                             ;   in Loop: Header=BB2_3145 Depth=3
	s_or_b64 exec, exec, s[28:29]
.LBB2_3748:                             ;   in Loop: Header=BB2_3145 Depth=3
	s_or_b64 exec, exec, s[30:31]
	v_cmp_ne_u16_sdwa vcc, v19, v51 src0_sel:BYTE_0 src1_sel:DWORD
	s_and_saveexec_b64 s[28:29], vcc
	s_cbranch_execz .LBB2_3756
; %bb.3749:                             ;   in Loop: Header=BB2_3145 Depth=3
	v_cmp_ne_u16_sdwa vcc, v19, s97 src0_sel:BYTE_0 src1_sel:DWORD
	v_bfrev_b32_e32 v2, 1
	s_and_saveexec_b64 s[30:31], vcc
	s_cbranch_execz .LBB2_3755
; %bb.3750:                             ;   in Loop: Header=BB2_3145 Depth=3
	v_and_b32_e32 v2, 0x7c, v19
	v_and_b32_e32 v6, 3, v19
	v_cmp_ne_u32_e32 vcc, s95, v2
                                        ; implicit-def: $vgpr2
	s_and_saveexec_b64 s[68:69], vcc
	s_xor_b64 s[68:69], exec, s[68:69]
	s_cbranch_execz .LBB2_3752
; %bb.3751:                             ;   in Loop: Header=BB2_3145 Depth=3
	v_ffbh_u32_e32 v7, v6
	v_min_u32_e32 v7, 32, v7
	v_subrev_u32_e32 v14, 29, v7
	v_bfe_u32 v2, v19, 2, 5
	v_lshlrev_b64 v[14:15], v14, v[12:13]
	v_sub_u32_e32 v7, 30, v7
	v_and_b32_e32 v13, 3, v14
	v_cmp_eq_u32_e32 vcc, 0, v2
	v_cndmask_b32_e32 v2, v2, v7, vcc
	v_cndmask_b32_e32 v6, v6, v13, vcc
	v_bfrev_b32_e32 v13, 28
	v_lshlrev_b32_e32 v7, 24, v19
	v_lshl_add_u32 v2, v2, 23, v13
	v_and_or_b32 v2, v7, s96, v2
	v_lshl_or_b32 v2, v6, 21, v2
                                        ; implicit-def: $vgpr6
.LBB2_3752:                             ;   in Loop: Header=BB2_3145 Depth=3
	s_andn2_saveexec_b64 s[68:69], s[68:69]
; %bb.3753:                             ;   in Loop: Header=BB2_3145 Depth=3
	v_mov_b32_e32 v2, -1
	v_cmp_gt_i16_sdwa vcc, sext(v19), v2 src0_sel:BYTE_0 src1_sel:DWORD
	v_mov_b32_e32 v2, 0xc7600000
	v_mov_b32_e32 v7, 0x47600000
	v_cndmask_b32_e32 v2, v2, v7, vcc
	v_cmp_eq_u32_e32 vcc, 0, v6
	v_mov_b32_e32 v6, 0x7f800001
	v_cndmask_b32_e32 v2, v6, v2, vcc
; %bb.3754:                             ;   in Loop: Header=BB2_3145 Depth=3
	s_or_b64 exec, exec, s[68:69]
.LBB2_3755:                             ;   in Loop: Header=BB2_3145 Depth=3
	s_or_b64 exec, exec, s[30:31]
.LBB2_3756:                             ;   in Loop: Header=BB2_3145 Depth=3
	s_or_b64 exec, exec, s[28:29]
	v_max_f32_e32 v2, v2, v2
	v_max_f32_e32 v0, v0, v0
	v_min_f32_e32 v2, v0, v2
.LBB2_3757:                             ;   in Loop: Header=BB2_3145 Depth=3
	v_and_b32_sdwa v0, v2, s97 dst_sel:DWORD dst_unused:UNUSED_PAD src0_sel:BYTE_3 src1_sel:DWORD
	v_and_b32_e32 v6, 0x7f800000, v2
	v_mov_b32_e32 v7, v51
	v_and_b32_e32 v14, 0x7fffff, v2
	v_mov_b32_e32 v15, v51
	v_or_b32_e32 v39, 0x7b, v0
	v_cmp_ne_u64_e32 vcc, s[52:53], v[6:7]
	s_and_saveexec_b64 s[28:29], vcc
	s_xor_b64 s[30:31], exec, s[28:29]
	s_cbranch_execz .LBB2_3767
; %bb.3758:                             ;   in Loop: Header=BB2_3145 Depth=3
	v_and_b32_e32 v6, 0x7fffffff, v2
	v_mov_b32_e32 v7, v51
	v_cmp_gt_u64_e32 vcc, s[54:55], v[6:7]
	s_and_saveexec_b64 s[68:69], vcc
	s_cbranch_execz .LBB2_3766
; %bb.3759:                             ;   in Loop: Header=BB2_3145 Depth=3
	v_cmp_ne_u32_e32 vcc, 0, v2
	v_mov_b32_e32 v39, 0
	s_and_saveexec_b64 s[70:71], vcc
	s_cbranch_execz .LBB2_3765
; %bb.3760:                             ;   in Loop: Header=BB2_3145 Depth=3
	v_bfe_u32 v2, v2, 23, 8
	v_sub_u32_e32 v7, 0x71, v2
	v_cmp_gt_u32_e32 vcc, s38, v2
	v_add_u32_e32 v6, 0xffffff81, v2
	v_cndmask_b32_e32 v7, 0, v7, vcc
	v_cmp_eq_u32_e32 vcc, 0, v2
	v_mov_b32_e32 v2, 0xffffff82
	v_cndmask_b32_e32 v2, v6, v2, vcc
	v_mov_b32_e32 v6, 0x70
	v_cndmask_b32_e32 v24, v7, v6, vcc
	v_add_u32_e32 v6, 21, v24
	v_or_b32_e32 v13, 0x800000, v14
	v_lshlrev_b64 v[6:7], v6, -1
	v_cndmask_b32_e32 v14, v13, v14, vcc
	v_not_b32_e32 v6, v6
	v_and_b32_e32 v16, v14, v6
	v_add_u32_e32 v6, 20, v24
	v_lshrrev_b64 v[14:15], v24, v[14:15]
	v_not_b32_e32 v7, v7
	v_lshlrev_b64 v[30:31], v6, 1
	v_lshrrev_b32_e32 v6, 23, v14
	v_and_b32_e32 v17, 0, v7
	v_add3_u32 v7, v24, v2, v6
	v_bfe_u32 v2, v14, 21, 1
	v_add_u32_e32 v2, -1, v2
	v_cmp_eq_u64_e32 vcc, v[16:17], v[30:31]
	v_cndmask_b32_e32 v2, 0, v2, vcc
	v_add_u32_e32 v2, v2, v14
	v_and_b32_e32 v2, 0x1fffff, v2
	v_add_co_u32_e32 v14, vcc, v2, v14
	v_add_u32_e32 v6, 14, v7
	v_addc_co_u32_e32 v15, vcc, 0, v15, vcc
	v_cmp_ne_u32_e32 vcc, 0, v6
                                        ; implicit-def: $vgpr2
	s_and_saveexec_b64 s[28:29], vcc
	s_xor_b64 s[28:29], exec, s[28:29]
; %bb.3761:                             ;   in Loop: Header=BB2_3145 Depth=3
	v_add_u32_e32 v2, 15, v7
	v_cmp_lt_u64_e32 vcc, s[56:57], v[14:15]
	v_cndmask_b32_e32 v2, v6, v2, vcc
	v_cndmask_b32_e64 v6, 0, 1, vcc
	v_lshrrev_b64 v[14:15], v6, v[14:15]
; %bb.3762:                             ;   in Loop: Header=BB2_3145 Depth=3
	s_andn2_saveexec_b64 s[28:29], s[28:29]
; %bb.3763:                             ;   in Loop: Header=BB2_3145 Depth=3
	v_bfe_u32 v2, v14, 23, 1
; %bb.3764:                             ;   in Loop: Header=BB2_3145 Depth=3
	s_or_b64 exec, exec, s[28:29]
	v_lshrrev_b64 v[6:7], 21, v[14:15]
	v_cmp_gt_i32_e32 vcc, 32, v2
	v_cndmask_b32_e32 v7, 0, v7, vcc
	v_cndmask_b32_e32 v6, 3, v6, vcc
	v_cmp_eq_u32_e32 vcc, 0, v2
	v_min_i32_e32 v2, 31, v2
	v_cmp_eq_u64_e64 s[28:29], 0, v[6:7]
	v_lshlrev_b32_e32 v2, 2, v2
	v_and_or_b32 v2, v6, 3, v2
	s_and_b64 s[28:29], vcc, s[28:29]
	v_cndmask_b32_e64 v2, v2, 0, s[28:29]
	v_or_b32_e32 v39, v2, v0
.LBB2_3765:                             ;   in Loop: Header=BB2_3145 Depth=3
	s_or_b64 exec, exec, s[70:71]
.LBB2_3766:                             ;   in Loop: Header=BB2_3145 Depth=3
	s_or_b64 exec, exec, s[68:69]
                                        ; implicit-def: $vgpr2
                                        ; implicit-def: $vgpr14_vgpr15
.LBB2_3767:                             ;   in Loop: Header=BB2_3145 Depth=3
	s_andn2_saveexec_b64 s[28:29], s[30:31]
; %bb.3768:                             ;   in Loop: Header=BB2_3145 Depth=3
	v_or_b32_sdwa v0, v2, s39 dst_sel:DWORD dst_unused:UNUSED_PAD src0_sel:BYTE_3 src1_sel:DWORD
	v_cmp_eq_u64_e32 vcc, 0, v[14:15]
	v_cndmask_b32_e32 v39, v0, v39, vcc
; %bb.3769:                             ;   in Loop: Header=BB2_3145 Depth=3
	s_or_b64 exec, exec, s[28:29]
	v_lshrrev_b16_e32 v14, 8, v50
	v_lshrrev_b16_e32 v16, 8, v12
	v_cmp_ne_u16_e64 s[28:29], 0, v14
	s_and_b64 vcc, exec, s[66:67]
	s_cbranch_vccz .LBB2_3787
; %bb.3770:                             ;   in Loop: Header=BB2_3145 Depth=3
	v_mov_b32_e32 v2, 0
	v_mov_b32_e32 v0, 0
	s_and_saveexec_b64 s[30:31], s[28:29]
	s_cbranch_execz .LBB2_3778
; %bb.3771:                             ;   in Loop: Header=BB2_3145 Depth=3
	v_cmp_ne_u16_e32 vcc, s97, v14
	v_bfrev_b32_e32 v0, 1
	s_and_saveexec_b64 s[68:69], vcc
	s_cbranch_execz .LBB2_3777
; %bb.3772:                             ;   in Loop: Header=BB2_3145 Depth=3
	v_and_b32_e32 v0, 0x7c, v14
	v_and_b32_e32 v6, 3, v14
	v_cmp_ne_u32_e32 vcc, s95, v0
                                        ; implicit-def: $vgpr0
	s_and_saveexec_b64 s[70:71], vcc
	s_xor_b64 s[70:71], exec, s[70:71]
	s_cbranch_execz .LBB2_3774
; %bb.3773:                             ;   in Loop: Header=BB2_3145 Depth=3
	v_ffbh_u32_e32 v7, v6
	v_min_u32_e32 v7, 32, v7
	v_mov_b32_e32 v15, v51
	v_subrev_u32_e32 v13, 29, v7
	v_bfe_u32 v0, v14, 2, 5
	v_lshlrev_b64 v[30:31], v13, v[14:15]
	v_sub_u32_e32 v7, 30, v7
	v_and_b32_e32 v13, 3, v30
	v_cmp_eq_u32_e32 vcc, 0, v0
	v_cndmask_b32_e32 v0, v0, v7, vcc
	v_cndmask_b32_e32 v6, v6, v13, vcc
	v_bfrev_b32_e32 v13, 28
	v_lshlrev_b32_e32 v7, 16, v50
	v_lshl_add_u32 v0, v0, 23, v13
	v_and_or_b32 v0, v7, s96, v0
	v_lshl_or_b32 v0, v6, 21, v0
                                        ; implicit-def: $vgpr6
.LBB2_3774:                             ;   in Loop: Header=BB2_3145 Depth=3
	s_andn2_saveexec_b64 s[70:71], s[70:71]
; %bb.3775:                             ;   in Loop: Header=BB2_3145 Depth=3
	v_cmp_lt_i16_e32 vcc, -1, v50
	v_mov_b32_e32 v0, 0xc7600000
	v_mov_b32_e32 v7, 0x47600000
	v_cndmask_b32_e32 v0, v0, v7, vcc
	v_cmp_eq_u32_e32 vcc, 0, v6
	v_mov_b32_e32 v6, 0x7f800001
	v_cndmask_b32_e32 v0, v6, v0, vcc
; %bb.3776:                             ;   in Loop: Header=BB2_3145 Depth=3
	s_or_b64 exec, exec, s[70:71]
.LBB2_3777:                             ;   in Loop: Header=BB2_3145 Depth=3
	s_or_b64 exec, exec, s[68:69]
.LBB2_3778:                             ;   in Loop: Header=BB2_3145 Depth=3
	s_or_b64 exec, exec, s[30:31]
	v_cmp_ne_u16_e32 vcc, 0, v16
	s_and_saveexec_b64 s[30:31], vcc
	s_cbranch_execz .LBB2_3786
; %bb.3779:                             ;   in Loop: Header=BB2_3145 Depth=3
	v_cmp_ne_u16_e32 vcc, s97, v16
	v_bfrev_b32_e32 v2, 1
	s_and_saveexec_b64 s[68:69], vcc
	s_cbranch_execz .LBB2_3785
; %bb.3780:                             ;   in Loop: Header=BB2_3145 Depth=3
	v_and_b32_e32 v2, 0x7c, v16
	v_and_b32_e32 v6, 3, v16
	v_cmp_ne_u32_e32 vcc, s95, v2
                                        ; implicit-def: $vgpr2
	s_and_saveexec_b64 s[70:71], vcc
	s_xor_b64 s[70:71], exec, s[70:71]
	s_cbranch_execz .LBB2_3782
; %bb.3781:                             ;   in Loop: Header=BB2_3145 Depth=3
	v_ffbh_u32_e32 v7, v6
	v_min_u32_e32 v7, 32, v7
	v_mov_b32_e32 v17, v51
	v_subrev_u32_e32 v13, 29, v7
	v_bfe_u32 v2, v16, 2, 5
	v_lshlrev_b64 v[30:31], v13, v[16:17]
	v_sub_u32_e32 v7, 30, v7
	v_and_b32_e32 v13, 3, v30
	v_cmp_eq_u32_e32 vcc, 0, v2
	v_cndmask_b32_e32 v2, v2, v7, vcc
	v_cndmask_b32_e32 v6, v6, v13, vcc
	v_bfrev_b32_e32 v13, 28
	v_lshlrev_b32_e32 v7, 16, v12
	v_lshl_add_u32 v2, v2, 23, v13
	v_and_or_b32 v2, v7, s96, v2
	v_lshl_or_b32 v2, v6, 21, v2
                                        ; implicit-def: $vgpr6
.LBB2_3782:                             ;   in Loop: Header=BB2_3145 Depth=3
	s_andn2_saveexec_b64 s[70:71], s[70:71]
; %bb.3783:                             ;   in Loop: Header=BB2_3145 Depth=3
	v_cmp_lt_i16_e32 vcc, -1, v12
	v_mov_b32_e32 v2, 0xc7600000
	v_mov_b32_e32 v7, 0x47600000
	v_cndmask_b32_e32 v2, v2, v7, vcc
	v_cmp_eq_u32_e32 vcc, 0, v6
	v_mov_b32_e32 v6, 0x7f800001
	v_cndmask_b32_e32 v2, v6, v2, vcc
; %bb.3784:                             ;   in Loop: Header=BB2_3145 Depth=3
	s_or_b64 exec, exec, s[70:71]
.LBB2_3785:                             ;   in Loop: Header=BB2_3145 Depth=3
	s_or_b64 exec, exec, s[68:69]
.LBB2_3786:                             ;   in Loop: Header=BB2_3145 Depth=3
	s_or_b64 exec, exec, s[30:31]
	v_max_f32_e32 v2, v2, v2
	v_max_f32_e32 v0, v0, v0
	;; [unrolled: 1-line block ×3, first 2 shown]
	s_branch .LBB2_3805
.LBB2_3787:                             ;   in Loop: Header=BB2_3145 Depth=3
                                        ; implicit-def: $vgpr2
	s_cbranch_execz .LBB2_3805
; %bb.3788:                             ;   in Loop: Header=BB2_3145 Depth=3
	v_mov_b32_e32 v2, 0
	v_mov_b32_e32 v0, 0
	s_and_saveexec_b64 s[30:31], s[28:29]
	s_cbranch_execz .LBB2_3796
; %bb.3789:                             ;   in Loop: Header=BB2_3145 Depth=3
	v_cmp_ne_u16_e32 vcc, s97, v14
	v_bfrev_b32_e32 v0, 1
	s_and_saveexec_b64 s[28:29], vcc
	s_cbranch_execz .LBB2_3795
; %bb.3790:                             ;   in Loop: Header=BB2_3145 Depth=3
	v_and_b32_e32 v0, 0x7c, v14
	v_and_b32_e32 v6, 3, v14
	v_cmp_ne_u32_e32 vcc, s95, v0
                                        ; implicit-def: $vgpr0
	s_and_saveexec_b64 s[68:69], vcc
	s_xor_b64 s[68:69], exec, s[68:69]
	s_cbranch_execz .LBB2_3792
; %bb.3791:                             ;   in Loop: Header=BB2_3145 Depth=3
	v_ffbh_u32_e32 v7, v6
	v_min_u32_e32 v7, 32, v7
	v_mov_b32_e32 v15, v51
	v_subrev_u32_e32 v13, 29, v7
	v_bfe_u32 v0, v14, 2, 5
	v_lshlrev_b64 v[14:15], v13, v[14:15]
	v_sub_u32_e32 v7, 30, v7
	v_and_b32_e32 v13, 3, v14
	v_cmp_eq_u32_e32 vcc, 0, v0
	v_cndmask_b32_e32 v0, v0, v7, vcc
	v_cndmask_b32_e32 v6, v6, v13, vcc
	v_bfrev_b32_e32 v13, 28
	v_lshlrev_b32_e32 v7, 16, v50
	v_lshl_add_u32 v0, v0, 23, v13
	v_and_or_b32 v0, v7, s96, v0
	v_lshl_or_b32 v0, v6, 21, v0
                                        ; implicit-def: $vgpr6
.LBB2_3792:                             ;   in Loop: Header=BB2_3145 Depth=3
	s_andn2_saveexec_b64 s[68:69], s[68:69]
; %bb.3793:                             ;   in Loop: Header=BB2_3145 Depth=3
	v_cmp_lt_i16_e32 vcc, -1, v50
	v_mov_b32_e32 v0, 0xc7600000
	v_mov_b32_e32 v7, 0x47600000
	v_cndmask_b32_e32 v0, v0, v7, vcc
	v_cmp_eq_u32_e32 vcc, 0, v6
	v_mov_b32_e32 v6, 0x7f800001
	v_cndmask_b32_e32 v0, v6, v0, vcc
; %bb.3794:                             ;   in Loop: Header=BB2_3145 Depth=3
	s_or_b64 exec, exec, s[68:69]
.LBB2_3795:                             ;   in Loop: Header=BB2_3145 Depth=3
	s_or_b64 exec, exec, s[28:29]
.LBB2_3796:                             ;   in Loop: Header=BB2_3145 Depth=3
	s_or_b64 exec, exec, s[30:31]
	v_cmp_ne_u16_e32 vcc, 0, v16
	s_and_saveexec_b64 s[28:29], vcc
	s_cbranch_execz .LBB2_3804
; %bb.3797:                             ;   in Loop: Header=BB2_3145 Depth=3
	v_cmp_ne_u16_e32 vcc, s97, v16
	v_bfrev_b32_e32 v2, 1
	s_and_saveexec_b64 s[30:31], vcc
	s_cbranch_execz .LBB2_3803
; %bb.3798:                             ;   in Loop: Header=BB2_3145 Depth=3
	v_and_b32_e32 v2, 0x7c, v16
	v_and_b32_e32 v6, 3, v16
	v_cmp_ne_u32_e32 vcc, s95, v2
                                        ; implicit-def: $vgpr2
	s_and_saveexec_b64 s[68:69], vcc
	s_xor_b64 s[68:69], exec, s[68:69]
	s_cbranch_execz .LBB2_3800
; %bb.3799:                             ;   in Loop: Header=BB2_3145 Depth=3
	v_ffbh_u32_e32 v7, v6
	v_bfe_u32 v2, v16, 2, 5
	v_min_u32_e32 v7, 32, v7
	v_mov_b32_e32 v17, v51
	v_subrev_u32_e32 v13, 29, v7
	v_sub_u32_e32 v7, 30, v7
	v_cmp_eq_u32_e32 vcc, 0, v2
	v_lshlrev_b64 v[14:15], v13, v[16:17]
	v_cndmask_b32_e32 v2, v2, v7, vcc
	v_lshlrev_b32_e32 v7, 16, v12
	v_bfrev_b32_e32 v12, 28
	v_and_b32_e32 v13, 3, v14
	v_lshl_add_u32 v2, v2, 23, v12
	v_cndmask_b32_e32 v6, v6, v13, vcc
	v_and_or_b32 v2, v7, s96, v2
	v_lshl_or_b32 v2, v6, 21, v2
                                        ; implicit-def: $vgpr6
                                        ; implicit-def: $vgpr12_vgpr13
.LBB2_3800:                             ;   in Loop: Header=BB2_3145 Depth=3
	s_andn2_saveexec_b64 s[68:69], s[68:69]
; %bb.3801:                             ;   in Loop: Header=BB2_3145 Depth=3
	v_cmp_lt_i16_e32 vcc, -1, v12
	v_mov_b32_e32 v2, 0xc7600000
	v_mov_b32_e32 v7, 0x47600000
	v_cndmask_b32_e32 v2, v2, v7, vcc
	v_cmp_eq_u32_e32 vcc, 0, v6
	v_mov_b32_e32 v6, 0x7f800001
	v_cndmask_b32_e32 v2, v6, v2, vcc
; %bb.3802:                             ;   in Loop: Header=BB2_3145 Depth=3
	s_or_b64 exec, exec, s[68:69]
.LBB2_3803:                             ;   in Loop: Header=BB2_3145 Depth=3
	s_or_b64 exec, exec, s[30:31]
.LBB2_3804:                             ;   in Loop: Header=BB2_3145 Depth=3
	s_or_b64 exec, exec, s[28:29]
	v_max_f32_e32 v2, v2, v2
	v_max_f32_e32 v0, v0, v0
	v_min_f32_e32 v2, v0, v2
.LBB2_3805:                             ;   in Loop: Header=BB2_3145 Depth=3
	v_and_b32_sdwa v0, v2, s97 dst_sel:DWORD dst_unused:UNUSED_PAD src0_sel:BYTE_3 src1_sel:DWORD
	v_and_b32_e32 v12, 0x7f800000, v2
	v_mov_b32_e32 v13, v51
	v_and_b32_e32 v50, 0x7fffff, v2
	v_or_b32_e32 v6, 0x7b, v0
	v_cmp_ne_u64_e32 vcc, s[52:53], v[12:13]
	s_and_saveexec_b64 s[28:29], vcc
	s_xor_b64 s[30:31], exec, s[28:29]
	s_cbranch_execz .LBB2_3815
; %bb.3806:                             ;   in Loop: Header=BB2_3145 Depth=3
	v_and_b32_e32 v12, 0x7fffffff, v2
	v_mov_b32_e32 v13, v51
	v_cmp_gt_u64_e32 vcc, s[54:55], v[12:13]
	s_and_saveexec_b64 s[68:69], vcc
	s_cbranch_execz .LBB2_3814
; %bb.3807:                             ;   in Loop: Header=BB2_3145 Depth=3
	v_cmp_ne_u32_e32 vcc, 0, v2
	v_mov_b32_e32 v6, 0
	s_and_saveexec_b64 s[70:71], vcc
	s_cbranch_execz .LBB2_3813
; %bb.3808:                             ;   in Loop: Header=BB2_3145 Depth=3
	v_bfe_u32 v2, v2, 23, 8
	v_sub_u32_e32 v7, 0x71, v2
	v_cmp_gt_u32_e32 vcc, s38, v2
	v_add_u32_e32 v6, 0xffffff81, v2
	v_cndmask_b32_e32 v7, 0, v7, vcc
	v_cmp_eq_u32_e32 vcc, 0, v2
	v_mov_b32_e32 v2, 0xffffff82
	v_cndmask_b32_e32 v2, v6, v2, vcc
	v_mov_b32_e32 v6, 0x70
	v_cndmask_b32_e32 v24, v7, v6, vcc
	v_add_u32_e32 v6, 21, v24
	v_or_b32_e32 v12, 0x800000, v50
	v_lshlrev_b64 v[6:7], v6, -1
	v_cndmask_b32_e32 v50, v12, v50, vcc
	v_not_b32_e32 v6, v6
	v_and_b32_e32 v12, v50, v6
	v_add_u32_e32 v6, 20, v24
	v_lshrrev_b64 v[16:17], v24, v[50:51]
	v_not_b32_e32 v7, v7
	v_lshlrev_b64 v[14:15], v6, 1
	v_lshrrev_b32_e32 v6, 23, v16
	v_and_b32_e32 v13, 0, v7
	v_add3_u32 v7, v24, v2, v6
	v_bfe_u32 v2, v16, 21, 1
	v_add_u32_e32 v2, -1, v2
	v_cmp_eq_u64_e32 vcc, v[12:13], v[14:15]
	v_cndmask_b32_e32 v2, 0, v2, vcc
	v_add_u32_e32 v2, v2, v16
	v_and_b32_e32 v2, 0x1fffff, v2
	v_add_co_u32_e32 v12, vcc, v2, v16
	v_add_u32_e32 v6, 14, v7
	v_addc_co_u32_e32 v13, vcc, 0, v17, vcc
	v_cmp_ne_u32_e32 vcc, 0, v6
                                        ; implicit-def: $vgpr2
	s_and_saveexec_b64 s[28:29], vcc
	s_xor_b64 s[28:29], exec, s[28:29]
; %bb.3809:                             ;   in Loop: Header=BB2_3145 Depth=3
	v_add_u32_e32 v2, 15, v7
	v_cmp_lt_u64_e32 vcc, s[56:57], v[12:13]
	v_cndmask_b32_e32 v2, v6, v2, vcc
	v_cndmask_b32_e64 v6, 0, 1, vcc
	v_lshrrev_b64 v[12:13], v6, v[12:13]
; %bb.3810:                             ;   in Loop: Header=BB2_3145 Depth=3
	s_andn2_saveexec_b64 s[28:29], s[28:29]
; %bb.3811:                             ;   in Loop: Header=BB2_3145 Depth=3
	v_bfe_u32 v2, v12, 23, 1
; %bb.3812:                             ;   in Loop: Header=BB2_3145 Depth=3
	s_or_b64 exec, exec, s[28:29]
	v_lshrrev_b64 v[6:7], 21, v[12:13]
	v_cmp_gt_i32_e32 vcc, 32, v2
	v_cndmask_b32_e32 v7, 0, v7, vcc
	v_cndmask_b32_e32 v6, 3, v6, vcc
	v_cmp_eq_u32_e32 vcc, 0, v2
	v_min_i32_e32 v2, 31, v2
	v_cmp_eq_u64_e64 s[28:29], 0, v[6:7]
	v_lshlrev_b32_e32 v2, 2, v2
	v_and_or_b32 v2, v6, 3, v2
	s_and_b64 s[28:29], vcc, s[28:29]
	v_cndmask_b32_e64 v2, v2, 0, s[28:29]
	v_or_b32_e32 v6, v2, v0
.LBB2_3813:                             ;   in Loop: Header=BB2_3145 Depth=3
	s_or_b64 exec, exec, s[70:71]
.LBB2_3814:                             ;   in Loop: Header=BB2_3145 Depth=3
	s_or_b64 exec, exec, s[68:69]
                                        ; implicit-def: $vgpr2
.LBB2_3815:                             ;   in Loop: Header=BB2_3145 Depth=3
	s_andn2_saveexec_b64 s[28:29], s[30:31]
; %bb.3816:                             ;   in Loop: Header=BB2_3145 Depth=3
	v_or_b32_sdwa v0, v2, s39 dst_sel:DWORD dst_unused:UNUSED_PAD src0_sel:BYTE_3 src1_sel:DWORD
	v_cmp_eq_u64_e32 vcc, 0, v[50:51]
	v_cndmask_b32_e32 v6, v0, v6, vcc
; %bb.3817:                             ;   in Loop: Header=BB2_3145 Depth=3
	s_or_b64 exec, exec, s[28:29]
	v_lshrrev_b32_e32 v14, 16, v23
	v_lshrrev_b32_e32 v12, 16, v19
	v_cmp_ne_u16_sdwa s[28:29], v14, v51 src0_sel:BYTE_0 src1_sel:DWORD
	s_and_b64 vcc, exec, s[66:67]
	s_cbranch_vccz .LBB2_3835
; %bb.3818:                             ;   in Loop: Header=BB2_3145 Depth=3
	v_mov_b32_e32 v2, 0
	v_mov_b32_e32 v0, 0
	s_and_saveexec_b64 s[30:31], s[28:29]
	s_cbranch_execz .LBB2_3826
; %bb.3819:                             ;   in Loop: Header=BB2_3145 Depth=3
	v_cmp_ne_u16_sdwa vcc, v14, s97 src0_sel:BYTE_0 src1_sel:DWORD
	v_bfrev_b32_e32 v0, 1
	s_and_saveexec_b64 s[68:69], vcc
	s_cbranch_execz .LBB2_3825
; %bb.3820:                             ;   in Loop: Header=BB2_3145 Depth=3
	v_and_b32_e32 v0, 0x7c0000, v23
	v_bfe_u32 v7, v23, 16, 2
	v_cmp_ne_u32_e32 vcc, s36, v0
                                        ; implicit-def: $vgpr0
	s_and_saveexec_b64 s[70:71], vcc
	s_xor_b64 s[70:71], exec, s[70:71]
	s_cbranch_execz .LBB2_3822
; %bb.3821:                             ;   in Loop: Header=BB2_3145 Depth=3
	v_ffbh_u32_e32 v13, v7
	v_min_u32_e32 v13, 32, v13
	v_subrev_u32_e32 v15, 29, v13
	v_bfe_u32 v0, v23, 18, 5
	v_lshlrev_b64 v[16:17], v15, v[14:15]
	v_sub_u32_e32 v13, 30, v13
	v_and_b32_e32 v15, 3, v16
	v_cmp_eq_u32_e32 vcc, 0, v0
	v_cndmask_b32_e32 v0, v0, v13, vcc
	v_cndmask_b32_e32 v7, v7, v15, vcc
	v_bfrev_b32_e32 v15, 28
	v_lshlrev_b32_e32 v13, 24, v14
	v_lshl_add_u32 v0, v0, 23, v15
	v_and_or_b32 v0, v13, s96, v0
	v_lshl_or_b32 v0, v7, 21, v0
                                        ; implicit-def: $vgpr7
.LBB2_3822:                             ;   in Loop: Header=BB2_3145 Depth=3
	s_andn2_saveexec_b64 s[70:71], s[70:71]
; %bb.3823:                             ;   in Loop: Header=BB2_3145 Depth=3
	v_mov_b32_e32 v0, -1
	v_cmp_gt_i16_sdwa vcc, sext(v14), v0 src0_sel:BYTE_0 src1_sel:DWORD
	v_mov_b32_e32 v0, 0xc7600000
	v_mov_b32_e32 v13, 0x47600000
	v_cndmask_b32_e32 v0, v0, v13, vcc
	v_cmp_eq_u32_e32 vcc, 0, v7
	v_mov_b32_e32 v7, 0x7f800001
	v_cndmask_b32_e32 v0, v7, v0, vcc
; %bb.3824:                             ;   in Loop: Header=BB2_3145 Depth=3
	s_or_b64 exec, exec, s[70:71]
.LBB2_3825:                             ;   in Loop: Header=BB2_3145 Depth=3
	s_or_b64 exec, exec, s[68:69]
.LBB2_3826:                             ;   in Loop: Header=BB2_3145 Depth=3
	s_or_b64 exec, exec, s[30:31]
	v_cmp_ne_u16_sdwa vcc, v12, v51 src0_sel:BYTE_0 src1_sel:DWORD
	s_and_saveexec_b64 s[30:31], vcc
	s_cbranch_execz .LBB2_3834
; %bb.3827:                             ;   in Loop: Header=BB2_3145 Depth=3
	v_cmp_ne_u16_sdwa vcc, v12, s97 src0_sel:BYTE_0 src1_sel:DWORD
	v_bfrev_b32_e32 v2, 1
	s_and_saveexec_b64 s[68:69], vcc
	s_cbranch_execz .LBB2_3833
; %bb.3828:                             ;   in Loop: Header=BB2_3145 Depth=3
	v_and_b32_e32 v2, 0x7c0000, v19
	v_bfe_u32 v7, v19, 16, 2
	v_cmp_ne_u32_e32 vcc, s36, v2
                                        ; implicit-def: $vgpr2
	s_and_saveexec_b64 s[70:71], vcc
	s_xor_b64 s[70:71], exec, s[70:71]
	s_cbranch_execz .LBB2_3830
; %bb.3829:                             ;   in Loop: Header=BB2_3145 Depth=3
	v_ffbh_u32_e32 v13, v7
	v_min_u32_e32 v13, 32, v13
	v_subrev_u32_e32 v15, 29, v13
	v_bfe_u32 v2, v19, 18, 5
	v_lshlrev_b64 v[16:17], v15, v[12:13]
	v_sub_u32_e32 v13, 30, v13
	v_and_b32_e32 v15, 3, v16
	v_cmp_eq_u32_e32 vcc, 0, v2
	v_cndmask_b32_e32 v2, v2, v13, vcc
	v_cndmask_b32_e32 v7, v7, v15, vcc
	v_bfrev_b32_e32 v15, 28
	v_lshlrev_b32_e32 v13, 24, v12
	v_lshl_add_u32 v2, v2, 23, v15
	v_and_or_b32 v2, v13, s96, v2
	v_lshl_or_b32 v2, v7, 21, v2
                                        ; implicit-def: $vgpr7
.LBB2_3830:                             ;   in Loop: Header=BB2_3145 Depth=3
	s_andn2_saveexec_b64 s[70:71], s[70:71]
; %bb.3831:                             ;   in Loop: Header=BB2_3145 Depth=3
	v_mov_b32_e32 v2, -1
	v_cmp_gt_i16_sdwa vcc, sext(v12), v2 src0_sel:BYTE_0 src1_sel:DWORD
	v_mov_b32_e32 v2, 0xc7600000
	v_mov_b32_e32 v13, 0x47600000
	v_cndmask_b32_e32 v2, v2, v13, vcc
	v_cmp_eq_u32_e32 vcc, 0, v7
	v_mov_b32_e32 v7, 0x7f800001
	v_cndmask_b32_e32 v2, v7, v2, vcc
; %bb.3832:                             ;   in Loop: Header=BB2_3145 Depth=3
	s_or_b64 exec, exec, s[70:71]
.LBB2_3833:                             ;   in Loop: Header=BB2_3145 Depth=3
	s_or_b64 exec, exec, s[68:69]
.LBB2_3834:                             ;   in Loop: Header=BB2_3145 Depth=3
	s_or_b64 exec, exec, s[30:31]
	v_max_f32_e32 v2, v2, v2
	v_max_f32_e32 v0, v0, v0
	;; [unrolled: 1-line block ×3, first 2 shown]
	s_branch .LBB2_3853
.LBB2_3835:                             ;   in Loop: Header=BB2_3145 Depth=3
                                        ; implicit-def: $vgpr2
	s_cbranch_execz .LBB2_3853
; %bb.3836:                             ;   in Loop: Header=BB2_3145 Depth=3
	v_mov_b32_e32 v2, 0
	v_mov_b32_e32 v0, 0
	s_and_saveexec_b64 s[30:31], s[28:29]
	s_cbranch_execz .LBB2_3844
; %bb.3837:                             ;   in Loop: Header=BB2_3145 Depth=3
	v_cmp_ne_u16_sdwa vcc, v14, s97 src0_sel:BYTE_0 src1_sel:DWORD
	v_bfrev_b32_e32 v0, 1
	s_and_saveexec_b64 s[28:29], vcc
	s_cbranch_execz .LBB2_3843
; %bb.3838:                             ;   in Loop: Header=BB2_3145 Depth=3
	v_and_b32_e32 v0, 0x7c0000, v23
	v_bfe_u32 v7, v23, 16, 2
	v_cmp_ne_u32_e32 vcc, s36, v0
                                        ; implicit-def: $vgpr0
	s_and_saveexec_b64 s[68:69], vcc
	s_xor_b64 s[68:69], exec, s[68:69]
	s_cbranch_execz .LBB2_3840
; %bb.3839:                             ;   in Loop: Header=BB2_3145 Depth=3
	v_ffbh_u32_e32 v13, v7
	v_bfe_u32 v0, v23, 18, 5
	v_min_u32_e32 v13, 32, v13
	v_subrev_u32_e32 v15, 29, v13
	v_sub_u32_e32 v13, 30, v13
	v_cmp_eq_u32_e32 vcc, 0, v0
	v_lshlrev_b64 v[16:17], v15, v[14:15]
	v_cndmask_b32_e32 v0, v0, v13, vcc
	v_lshlrev_b32_e32 v13, 24, v14
	v_bfrev_b32_e32 v14, 28
	v_and_b32_e32 v15, 3, v16
	v_lshl_add_u32 v0, v0, 23, v14
	v_cndmask_b32_e32 v7, v7, v15, vcc
	v_and_or_b32 v0, v13, s96, v0
	v_lshl_or_b32 v0, v7, 21, v0
                                        ; implicit-def: $vgpr7
                                        ; implicit-def: $vgpr14
.LBB2_3840:                             ;   in Loop: Header=BB2_3145 Depth=3
	s_andn2_saveexec_b64 s[68:69], s[68:69]
; %bb.3841:                             ;   in Loop: Header=BB2_3145 Depth=3
	v_mov_b32_e32 v0, -1
	v_cmp_gt_i16_sdwa vcc, sext(v14), v0 src0_sel:BYTE_0 src1_sel:DWORD
	v_mov_b32_e32 v0, 0xc7600000
	v_mov_b32_e32 v13, 0x47600000
	v_cndmask_b32_e32 v0, v0, v13, vcc
	v_cmp_eq_u32_e32 vcc, 0, v7
	v_mov_b32_e32 v7, 0x7f800001
	v_cndmask_b32_e32 v0, v7, v0, vcc
; %bb.3842:                             ;   in Loop: Header=BB2_3145 Depth=3
	s_or_b64 exec, exec, s[68:69]
.LBB2_3843:                             ;   in Loop: Header=BB2_3145 Depth=3
	s_or_b64 exec, exec, s[28:29]
.LBB2_3844:                             ;   in Loop: Header=BB2_3145 Depth=3
	s_or_b64 exec, exec, s[30:31]
	v_cmp_ne_u16_sdwa vcc, v12, v51 src0_sel:BYTE_0 src1_sel:DWORD
	s_and_saveexec_b64 s[28:29], vcc
	s_cbranch_execz .LBB2_3852
; %bb.3845:                             ;   in Loop: Header=BB2_3145 Depth=3
	v_cmp_ne_u16_sdwa vcc, v12, s97 src0_sel:BYTE_0 src1_sel:DWORD
	v_bfrev_b32_e32 v2, 1
	s_and_saveexec_b64 s[30:31], vcc
	s_cbranch_execz .LBB2_3851
; %bb.3846:                             ;   in Loop: Header=BB2_3145 Depth=3
	v_and_b32_e32 v2, 0x7c0000, v19
	v_bfe_u32 v7, v19, 16, 2
	v_cmp_ne_u32_e32 vcc, s36, v2
                                        ; implicit-def: $vgpr2
	s_and_saveexec_b64 s[68:69], vcc
	s_xor_b64 s[68:69], exec, s[68:69]
	s_cbranch_execz .LBB2_3848
; %bb.3847:                             ;   in Loop: Header=BB2_3145 Depth=3
	v_ffbh_u32_e32 v13, v7
	v_min_u32_e32 v13, 32, v13
	v_bfe_u32 v2, v19, 18, 5
	v_subrev_u32_e32 v14, 29, v13
	v_lshlrev_b64 v[14:15], v14, v[12:13]
	v_sub_u32_e32 v13, 30, v13
	v_cmp_eq_u32_e32 vcc, 0, v2
	v_cndmask_b32_e32 v2, v2, v13, vcc
	v_bfrev_b32_e32 v13, 28
	v_and_b32_e32 v14, 3, v14
	v_lshlrev_b32_e32 v12, 24, v12
	v_lshl_add_u32 v2, v2, 23, v13
	v_cndmask_b32_e32 v7, v7, v14, vcc
	v_and_or_b32 v2, v12, s96, v2
	v_lshl_or_b32 v2, v7, 21, v2
                                        ; implicit-def: $vgpr7
                                        ; implicit-def: $vgpr12
.LBB2_3848:                             ;   in Loop: Header=BB2_3145 Depth=3
	s_andn2_saveexec_b64 s[68:69], s[68:69]
; %bb.3849:                             ;   in Loop: Header=BB2_3145 Depth=3
	v_mov_b32_e32 v2, -1
	v_cmp_gt_i16_sdwa vcc, sext(v12), v2 src0_sel:BYTE_0 src1_sel:DWORD
	v_mov_b32_e32 v2, 0xc7600000
	v_mov_b32_e32 v12, 0x47600000
	v_cndmask_b32_e32 v2, v2, v12, vcc
	v_cmp_eq_u32_e32 vcc, 0, v7
	v_mov_b32_e32 v7, 0x7f800001
	v_cndmask_b32_e32 v2, v7, v2, vcc
; %bb.3850:                             ;   in Loop: Header=BB2_3145 Depth=3
	s_or_b64 exec, exec, s[68:69]
.LBB2_3851:                             ;   in Loop: Header=BB2_3145 Depth=3
	s_or_b64 exec, exec, s[30:31]
.LBB2_3852:                             ;   in Loop: Header=BB2_3145 Depth=3
	s_or_b64 exec, exec, s[28:29]
	v_max_f32_e32 v2, v2, v2
	v_max_f32_e32 v0, v0, v0
	v_min_f32_e32 v2, v0, v2
.LBB2_3853:                             ;   in Loop: Header=BB2_3145 Depth=3
	v_and_b32_sdwa v0, v2, s97 dst_sel:DWORD dst_unused:UNUSED_PAD src0_sel:BYTE_3 src1_sel:DWORD
	v_and_b32_e32 v12, 0x7f800000, v2
	v_mov_b32_e32 v13, v51
	v_and_b32_e32 v50, 0x7fffff, v2
	v_or_b32_e32 v54, 0x7b, v0
	v_cmp_ne_u64_e32 vcc, s[52:53], v[12:13]
	s_and_saveexec_b64 s[28:29], vcc
	s_xor_b64 s[30:31], exec, s[28:29]
	s_cbranch_execz .LBB2_3863
; %bb.3854:                             ;   in Loop: Header=BB2_3145 Depth=3
	v_and_b32_e32 v12, 0x7fffffff, v2
	v_mov_b32_e32 v13, v51
	v_cmp_gt_u64_e32 vcc, s[54:55], v[12:13]
	s_and_saveexec_b64 s[68:69], vcc
	s_cbranch_execz .LBB2_3862
; %bb.3855:                             ;   in Loop: Header=BB2_3145 Depth=3
	v_cmp_ne_u32_e32 vcc, 0, v2
	v_mov_b32_e32 v54, 0
	s_and_saveexec_b64 s[70:71], vcc
	s_cbranch_execz .LBB2_3861
; %bb.3856:                             ;   in Loop: Header=BB2_3145 Depth=3
	v_bfe_u32 v2, v2, 23, 8
	v_sub_u32_e32 v12, 0x71, v2
	v_cmp_gt_u32_e32 vcc, s38, v2
	v_add_u32_e32 v7, 0xffffff81, v2
	v_cndmask_b32_e32 v12, 0, v12, vcc
	v_cmp_eq_u32_e32 vcc, 0, v2
	v_mov_b32_e32 v2, 0xffffff82
	v_cndmask_b32_e32 v2, v7, v2, vcc
	v_mov_b32_e32 v7, 0x70
	v_or_b32_e32 v13, 0x800000, v50
	v_cndmask_b32_e32 v7, v12, v7, vcc
	v_cndmask_b32_e32 v50, v13, v50, vcc
	v_add_u32_e32 v12, 21, v7
	v_lshlrev_b64 v[12:13], v12, -1
	v_add_u32_e32 v14, 20, v7
	v_lshrrev_b64 v[30:31], v7, v[50:51]
	v_not_b32_e32 v13, v13
	v_not_b32_e32 v12, v12
	v_lshlrev_b64 v[16:17], v14, 1
	v_lshrrev_b32_e32 v14, 23, v30
	v_and_b32_e32 v13, 0, v13
	v_and_b32_e32 v12, v50, v12
	v_add3_u32 v14, v7, v2, v14
	v_bfe_u32 v2, v30, 21, 1
	v_add_u32_e32 v2, -1, v2
	v_cmp_eq_u64_e32 vcc, v[12:13], v[16:17]
	v_cndmask_b32_e32 v2, 0, v2, vcc
	v_add_u32_e32 v2, v2, v30
	v_and_b32_e32 v2, 0x1fffff, v2
	v_add_co_u32_e32 v12, vcc, v2, v30
	v_add_u32_e32 v7, 14, v14
	v_addc_co_u32_e32 v13, vcc, 0, v31, vcc
	v_cmp_ne_u32_e32 vcc, 0, v7
                                        ; implicit-def: $vgpr2
	s_and_saveexec_b64 s[28:29], vcc
	s_xor_b64 s[28:29], exec, s[28:29]
; %bb.3857:                             ;   in Loop: Header=BB2_3145 Depth=3
	v_add_u32_e32 v2, 15, v14
	v_cmp_lt_u64_e32 vcc, s[56:57], v[12:13]
	v_cndmask_b32_e32 v2, v7, v2, vcc
	v_cndmask_b32_e64 v7, 0, 1, vcc
	v_lshrrev_b64 v[12:13], v7, v[12:13]
; %bb.3858:                             ;   in Loop: Header=BB2_3145 Depth=3
	s_andn2_saveexec_b64 s[28:29], s[28:29]
; %bb.3859:                             ;   in Loop: Header=BB2_3145 Depth=3
	v_bfe_u32 v2, v12, 23, 1
; %bb.3860:                             ;   in Loop: Header=BB2_3145 Depth=3
	s_or_b64 exec, exec, s[28:29]
	v_lshrrev_b64 v[12:13], 21, v[12:13]
	v_cmp_gt_i32_e32 vcc, 32, v2
	v_cndmask_b32_e32 v13, 0, v13, vcc
	v_cndmask_b32_e32 v12, 3, v12, vcc
	v_cmp_eq_u32_e32 vcc, 0, v2
	v_min_i32_e32 v2, 31, v2
	v_cmp_eq_u64_e64 s[28:29], 0, v[12:13]
	v_lshlrev_b32_e32 v2, 2, v2
	v_and_or_b32 v2, v12, 3, v2
	s_and_b64 s[28:29], vcc, s[28:29]
	v_cndmask_b32_e64 v2, v2, 0, s[28:29]
	v_or_b32_e32 v54, v2, v0
.LBB2_3861:                             ;   in Loop: Header=BB2_3145 Depth=3
	s_or_b64 exec, exec, s[70:71]
.LBB2_3862:                             ;   in Loop: Header=BB2_3145 Depth=3
	s_or_b64 exec, exec, s[68:69]
                                        ; implicit-def: $vgpr2
.LBB2_3863:                             ;   in Loop: Header=BB2_3145 Depth=3
	s_andn2_saveexec_b64 s[28:29], s[30:31]
; %bb.3864:                             ;   in Loop: Header=BB2_3145 Depth=3
	v_or_b32_sdwa v0, v2, s39 dst_sel:DWORD dst_unused:UNUSED_PAD src0_sel:BYTE_3 src1_sel:DWORD
	v_cmp_eq_u64_e32 vcc, 0, v[50:51]
	v_cndmask_b32_e32 v54, v0, v54, vcc
; %bb.3865:                             ;   in Loop: Header=BB2_3145 Depth=3
	s_or_b64 exec, exec, s[28:29]
	v_lshrrev_b32_e32 v14, 24, v23
	v_lshrrev_b32_e32 v12, 24, v19
	v_cmp_lt_u64_e64 s[28:29], s[42:43], v[22:23]
	s_and_b64 vcc, exec, s[66:67]
	s_cbranch_vccz .LBB2_3883
; %bb.3866:                             ;   in Loop: Header=BB2_3145 Depth=3
	v_mov_b32_e32 v2, 0
	v_mov_b32_e32 v0, 0
	s_and_saveexec_b64 s[30:31], s[28:29]
	s_cbranch_execz .LBB2_3874
; %bb.3867:                             ;   in Loop: Header=BB2_3145 Depth=3
	v_cmp_ne_u32_e32 vcc, s97, v14
	v_bfrev_b32_e32 v0, 1
	s_and_saveexec_b64 s[68:69], vcc
	s_cbranch_execz .LBB2_3873
; %bb.3868:                             ;   in Loop: Header=BB2_3145 Depth=3
	v_and_b32_e32 v0, 0x7c000000, v23
	v_bfe_u32 v7, v23, 24, 2
	v_cmp_ne_u32_e32 vcc, s37, v0
                                        ; implicit-def: $vgpr0
	s_and_saveexec_b64 s[70:71], vcc
	s_xor_b64 s[70:71], exec, s[70:71]
	s_cbranch_execz .LBB2_3870
; %bb.3869:                             ;   in Loop: Header=BB2_3145 Depth=3
	v_ffbh_u32_e32 v13, v7
	v_bfe_u32 v0, v23, 26, 5
	v_min_u32_e32 v13, 32, v13
	v_subrev_u32_e32 v15, 29, v13
	v_sub_u32_e32 v13, 30, v13
	v_cmp_eq_u32_e32 vcc, 0, v0
	v_lshlrev_b64 v[16:17], v15, v[14:15]
	v_cndmask_b32_e32 v0, v0, v13, vcc
	v_bfrev_b32_e32 v13, 28
	v_and_b32_e32 v15, 3, v16
	v_lshl_add_u32 v0, v0, 23, v13
	v_cndmask_b32_e32 v7, v7, v15, vcc
	v_and_or_b32 v0, v23, s96, v0
	v_lshl_or_b32 v0, v7, 21, v0
                                        ; implicit-def: $vgpr7
.LBB2_3870:                             ;   in Loop: Header=BB2_3145 Depth=3
	s_andn2_saveexec_b64 s[70:71], s[70:71]
; %bb.3871:                             ;   in Loop: Header=BB2_3145 Depth=3
	v_cmp_lt_i64_e32 vcc, -1, v[22:23]
	v_mov_b32_e32 v0, 0xc7600000
	v_mov_b32_e32 v13, 0x47600000
	v_cndmask_b32_e32 v0, v0, v13, vcc
	v_cmp_eq_u32_e32 vcc, 0, v7
	v_mov_b32_e32 v7, 0x7f800001
	v_cndmask_b32_e32 v0, v7, v0, vcc
; %bb.3872:                             ;   in Loop: Header=BB2_3145 Depth=3
	s_or_b64 exec, exec, s[70:71]
.LBB2_3873:                             ;   in Loop: Header=BB2_3145 Depth=3
	s_or_b64 exec, exec, s[68:69]
.LBB2_3874:                             ;   in Loop: Header=BB2_3145 Depth=3
	s_or_b64 exec, exec, s[30:31]
	v_cmp_lt_u64_e32 vcc, s[42:43], v[18:19]
	s_and_saveexec_b64 s[30:31], vcc
	s_cbranch_execz .LBB2_3882
; %bb.3875:                             ;   in Loop: Header=BB2_3145 Depth=3
	v_cmp_ne_u32_e32 vcc, s97, v12
	v_bfrev_b32_e32 v2, 1
	s_and_saveexec_b64 s[68:69], vcc
	s_cbranch_execz .LBB2_3881
; %bb.3876:                             ;   in Loop: Header=BB2_3145 Depth=3
	v_and_b32_e32 v2, 0x7c000000, v19
	v_bfe_u32 v7, v19, 24, 2
	v_cmp_ne_u32_e32 vcc, s37, v2
                                        ; implicit-def: $vgpr2
	s_and_saveexec_b64 s[70:71], vcc
	s_xor_b64 s[70:71], exec, s[70:71]
	s_cbranch_execz .LBB2_3878
; %bb.3877:                             ;   in Loop: Header=BB2_3145 Depth=3
	v_ffbh_u32_e32 v13, v7
	v_min_u32_e32 v13, 32, v13
	v_bfe_u32 v2, v19, 26, 5
	v_subrev_u32_e32 v15, 29, v13
	v_lshlrev_b64 v[16:17], v15, v[12:13]
	v_sub_u32_e32 v13, 30, v13
	v_cmp_eq_u32_e32 vcc, 0, v2
	v_cndmask_b32_e32 v2, v2, v13, vcc
	v_bfrev_b32_e32 v13, 28
	v_and_b32_e32 v15, 3, v16
	v_lshl_add_u32 v2, v2, 23, v13
	v_cndmask_b32_e32 v7, v7, v15, vcc
	v_and_or_b32 v2, v19, s96, v2
	v_lshl_or_b32 v2, v7, 21, v2
                                        ; implicit-def: $vgpr7
.LBB2_3878:                             ;   in Loop: Header=BB2_3145 Depth=3
	s_andn2_saveexec_b64 s[70:71], s[70:71]
; %bb.3879:                             ;   in Loop: Header=BB2_3145 Depth=3
	v_cmp_lt_i64_e32 vcc, -1, v[18:19]
	v_mov_b32_e32 v2, 0xc7600000
	v_mov_b32_e32 v13, 0x47600000
	v_cndmask_b32_e32 v2, v2, v13, vcc
	v_cmp_eq_u32_e32 vcc, 0, v7
	v_mov_b32_e32 v7, 0x7f800001
	v_cndmask_b32_e32 v2, v7, v2, vcc
; %bb.3880:                             ;   in Loop: Header=BB2_3145 Depth=3
	s_or_b64 exec, exec, s[70:71]
.LBB2_3881:                             ;   in Loop: Header=BB2_3145 Depth=3
	s_or_b64 exec, exec, s[68:69]
.LBB2_3882:                             ;   in Loop: Header=BB2_3145 Depth=3
	s_or_b64 exec, exec, s[30:31]
	v_max_f32_e32 v2, v2, v2
	v_max_f32_e32 v0, v0, v0
	;; [unrolled: 1-line block ×3, first 2 shown]
	s_branch .LBB2_3901
.LBB2_3883:                             ;   in Loop: Header=BB2_3145 Depth=3
                                        ; implicit-def: $vgpr2
	s_cbranch_execz .LBB2_3901
; %bb.3884:                             ;   in Loop: Header=BB2_3145 Depth=3
	v_mov_b32_e32 v2, 0
	v_mov_b32_e32 v0, 0
	s_and_saveexec_b64 s[30:31], s[28:29]
	s_cbranch_execz .LBB2_3892
; %bb.3885:                             ;   in Loop: Header=BB2_3145 Depth=3
	v_cmp_ne_u32_e32 vcc, s97, v14
	v_bfrev_b32_e32 v0, 1
	s_and_saveexec_b64 s[28:29], vcc
	s_cbranch_execz .LBB2_3891
; %bb.3886:                             ;   in Loop: Header=BB2_3145 Depth=3
	v_and_b32_e32 v0, 0x7c000000, v23
	v_bfe_u32 v7, v23, 24, 2
	v_cmp_ne_u32_e32 vcc, s37, v0
                                        ; implicit-def: $vgpr0
	s_and_saveexec_b64 s[68:69], vcc
	s_xor_b64 s[68:69], exec, s[68:69]
	s_cbranch_execz .LBB2_3888
; %bb.3887:                             ;   in Loop: Header=BB2_3145 Depth=3
	v_ffbh_u32_e32 v13, v7
	v_bfe_u32 v0, v23, 26, 5
	v_min_u32_e32 v13, 32, v13
	v_subrev_u32_e32 v15, 29, v13
	v_sub_u32_e32 v13, 30, v13
	v_cmp_eq_u32_e32 vcc, 0, v0
	v_lshlrev_b64 v[14:15], v15, v[14:15]
	v_cndmask_b32_e32 v0, v0, v13, vcc
	v_bfrev_b32_e32 v13, 28
	v_and_b32_e32 v14, 3, v14
	v_lshl_add_u32 v0, v0, 23, v13
	v_cndmask_b32_e32 v7, v7, v14, vcc
	v_and_or_b32 v0, v23, s96, v0
	v_lshl_or_b32 v0, v7, 21, v0
                                        ; implicit-def: $vgpr7
                                        ; implicit-def: $vgpr22_vgpr23
.LBB2_3888:                             ;   in Loop: Header=BB2_3145 Depth=3
	s_andn2_saveexec_b64 s[68:69], s[68:69]
; %bb.3889:                             ;   in Loop: Header=BB2_3145 Depth=3
	v_cmp_lt_i64_e32 vcc, -1, v[22:23]
	v_mov_b32_e32 v0, 0xc7600000
	v_mov_b32_e32 v13, 0x47600000
	v_cndmask_b32_e32 v0, v0, v13, vcc
	v_cmp_eq_u32_e32 vcc, 0, v7
	v_mov_b32_e32 v7, 0x7f800001
	v_cndmask_b32_e32 v0, v7, v0, vcc
; %bb.3890:                             ;   in Loop: Header=BB2_3145 Depth=3
	s_or_b64 exec, exec, s[68:69]
.LBB2_3891:                             ;   in Loop: Header=BB2_3145 Depth=3
	s_or_b64 exec, exec, s[28:29]
.LBB2_3892:                             ;   in Loop: Header=BB2_3145 Depth=3
	s_or_b64 exec, exec, s[30:31]
	v_cmp_lt_u64_e32 vcc, s[42:43], v[18:19]
	s_and_saveexec_b64 s[28:29], vcc
	s_cbranch_execz .LBB2_3900
; %bb.3893:                             ;   in Loop: Header=BB2_3145 Depth=3
	v_cmp_ne_u32_e32 vcc, s97, v12
	v_bfrev_b32_e32 v2, 1
	s_and_saveexec_b64 s[30:31], vcc
	s_cbranch_execz .LBB2_3899
; %bb.3894:                             ;   in Loop: Header=BB2_3145 Depth=3
	v_and_b32_e32 v2, 0x7c000000, v19
	v_bfe_u32 v7, v19, 24, 2
	v_cmp_ne_u32_e32 vcc, s37, v2
                                        ; implicit-def: $vgpr2
	s_and_saveexec_b64 s[68:69], vcc
	s_xor_b64 s[68:69], exec, s[68:69]
	s_cbranch_execz .LBB2_3896
; %bb.3895:                             ;   in Loop: Header=BB2_3145 Depth=3
	v_ffbh_u32_e32 v13, v7
	v_min_u32_e32 v14, 32, v13
	v_subrev_u32_e32 v13, 29, v14
	v_bfe_u32 v2, v19, 26, 5
	v_lshlrev_b64 v[12:13], v13, v[12:13]
	v_sub_u32_e32 v13, 30, v14
	v_and_b32_e32 v12, 3, v12
	v_cmp_eq_u32_e32 vcc, 0, v2
	v_cndmask_b32_e32 v2, v2, v13, vcc
	v_cndmask_b32_e32 v7, v7, v12, vcc
	v_bfrev_b32_e32 v12, 28
	v_lshl_add_u32 v2, v2, 23, v12
	v_and_or_b32 v2, v19, s96, v2
	v_lshl_or_b32 v2, v7, 21, v2
                                        ; implicit-def: $vgpr7
                                        ; implicit-def: $vgpr18_vgpr19
.LBB2_3896:                             ;   in Loop: Header=BB2_3145 Depth=3
	s_andn2_saveexec_b64 s[68:69], s[68:69]
; %bb.3897:                             ;   in Loop: Header=BB2_3145 Depth=3
	v_cmp_lt_i64_e32 vcc, -1, v[18:19]
	v_mov_b32_e32 v2, 0xc7600000
	v_mov_b32_e32 v12, 0x47600000
	v_cndmask_b32_e32 v2, v2, v12, vcc
	v_cmp_eq_u32_e32 vcc, 0, v7
	v_mov_b32_e32 v7, 0x7f800001
	v_cndmask_b32_e32 v2, v7, v2, vcc
; %bb.3898:                             ;   in Loop: Header=BB2_3145 Depth=3
	s_or_b64 exec, exec, s[68:69]
.LBB2_3899:                             ;   in Loop: Header=BB2_3145 Depth=3
	s_or_b64 exec, exec, s[30:31]
.LBB2_3900:                             ;   in Loop: Header=BB2_3145 Depth=3
	s_or_b64 exec, exec, s[28:29]
	v_max_f32_e32 v2, v2, v2
	v_max_f32_e32 v0, v0, v0
	v_min_f32_e32 v2, v0, v2
.LBB2_3901:                             ;   in Loop: Header=BB2_3145 Depth=3
	v_and_b32_sdwa v0, v2, s97 dst_sel:DWORD dst_unused:UNUSED_PAD src0_sel:BYTE_3 src1_sel:DWORD
	v_and_b32_e32 v12, 0x7f800000, v2
	v_mov_b32_e32 v13, v51
	v_and_b32_e32 v50, 0x7fffff, v2
	v_or_b32_e32 v18, 0x7b, v0
	v_cmp_ne_u64_e32 vcc, s[52:53], v[12:13]
	s_and_saveexec_b64 s[28:29], vcc
	s_xor_b64 s[30:31], exec, s[28:29]
	s_cbranch_execz .LBB2_3911
; %bb.3902:                             ;   in Loop: Header=BB2_3145 Depth=3
	v_and_b32_e32 v12, 0x7fffffff, v2
	v_mov_b32_e32 v13, v51
	v_cmp_gt_u64_e32 vcc, s[54:55], v[12:13]
	s_and_saveexec_b64 s[68:69], vcc
	s_cbranch_execz .LBB2_3910
; %bb.3903:                             ;   in Loop: Header=BB2_3145 Depth=3
	v_cmp_ne_u32_e32 vcc, 0, v2
	v_mov_b32_e32 v18, 0
	s_and_saveexec_b64 s[70:71], vcc
	s_cbranch_execz .LBB2_3909
; %bb.3904:                             ;   in Loop: Header=BB2_3145 Depth=3
	v_bfe_u32 v2, v2, 23, 8
	v_sub_u32_e32 v12, 0x71, v2
	v_cmp_gt_u32_e32 vcc, s38, v2
	v_add_u32_e32 v7, 0xffffff81, v2
	v_cndmask_b32_e32 v12, 0, v12, vcc
	v_cmp_eq_u32_e32 vcc, 0, v2
	v_mov_b32_e32 v2, 0xffffff82
	v_cndmask_b32_e32 v2, v7, v2, vcc
	v_mov_b32_e32 v7, 0x70
	v_or_b32_e32 v13, 0x800000, v50
	v_cndmask_b32_e32 v7, v12, v7, vcc
	v_cndmask_b32_e32 v50, v13, v50, vcc
	v_add_u32_e32 v12, 21, v7
	v_lshlrev_b64 v[12:13], v12, -1
	v_add_u32_e32 v14, 20, v7
	v_lshrrev_b64 v[18:19], v7, v[50:51]
	v_not_b32_e32 v13, v13
	v_not_b32_e32 v12, v12
	v_lshlrev_b64 v[16:17], v14, 1
	v_lshrrev_b32_e32 v14, 23, v18
	v_and_b32_e32 v13, 0, v13
	v_and_b32_e32 v12, v50, v12
	v_add3_u32 v14, v7, v2, v14
	v_bfe_u32 v2, v18, 21, 1
	v_add_u32_e32 v2, -1, v2
	v_cmp_eq_u64_e32 vcc, v[12:13], v[16:17]
	v_cndmask_b32_e32 v2, 0, v2, vcc
	v_add_u32_e32 v2, v2, v18
	v_and_b32_e32 v2, 0x1fffff, v2
	v_add_co_u32_e32 v12, vcc, v2, v18
	v_add_u32_e32 v7, 14, v14
	v_addc_co_u32_e32 v13, vcc, 0, v19, vcc
	v_cmp_ne_u32_e32 vcc, 0, v7
                                        ; implicit-def: $vgpr2
	s_and_saveexec_b64 s[28:29], vcc
	s_xor_b64 s[28:29], exec, s[28:29]
; %bb.3905:                             ;   in Loop: Header=BB2_3145 Depth=3
	v_add_u32_e32 v2, 15, v14
	v_cmp_lt_u64_e32 vcc, s[56:57], v[12:13]
	v_cndmask_b32_e32 v2, v7, v2, vcc
	v_cndmask_b32_e64 v7, 0, 1, vcc
	v_lshrrev_b64 v[12:13], v7, v[12:13]
; %bb.3906:                             ;   in Loop: Header=BB2_3145 Depth=3
	s_andn2_saveexec_b64 s[28:29], s[28:29]
; %bb.3907:                             ;   in Loop: Header=BB2_3145 Depth=3
	v_bfe_u32 v2, v12, 23, 1
; %bb.3908:                             ;   in Loop: Header=BB2_3145 Depth=3
	s_or_b64 exec, exec, s[28:29]
	v_lshrrev_b64 v[12:13], 21, v[12:13]
	v_cmp_gt_i32_e32 vcc, 32, v2
	v_cndmask_b32_e32 v13, 0, v13, vcc
	v_cndmask_b32_e32 v12, 3, v12, vcc
	v_cmp_eq_u32_e32 vcc, 0, v2
	v_min_i32_e32 v2, 31, v2
	v_lshlrev_b32_e32 v2, 2, v2
	v_cmp_eq_u64_e64 s[28:29], 0, v[12:13]
	v_and_b32_e32 v2, 0xfc, v2
	v_and_or_b32 v2, v12, 3, v2
	s_and_b64 s[28:29], vcc, s[28:29]
	v_cndmask_b32_e64 v2, v2, 0, s[28:29]
	v_or_b32_e32 v18, v2, v0
.LBB2_3909:                             ;   in Loop: Header=BB2_3145 Depth=3
	s_or_b64 exec, exec, s[70:71]
.LBB2_3910:                             ;   in Loop: Header=BB2_3145 Depth=3
	s_or_b64 exec, exec, s[68:69]
                                        ; implicit-def: $vgpr2
.LBB2_3911:                             ;   in Loop: Header=BB2_3145 Depth=3
	s_andn2_saveexec_b64 s[28:29], s[30:31]
; %bb.3912:                             ;   in Loop: Header=BB2_3145 Depth=3
	v_or_b32_sdwa v0, v2, s39 dst_sel:DWORD dst_unused:UNUSED_PAD src0_sel:BYTE_3 src1_sel:DWORD
	v_cmp_eq_u64_e32 vcc, 0, v[50:51]
	v_cndmask_b32_e32 v18, v0, v18, vcc
; %bb.3913:                             ;   in Loop: Header=BB2_3145 Depth=3
	s_or_b64 exec, exec, s[28:29]
	v_cndmask_b32_e64 v0, 0, 1, s[66:67]
	v_cmp_ne_u32_e64 s[28:29], 1, v0
	s_andn2_b64 vcc, exec, s[66:67]
	v_cmp_ne_u16_sdwa s[30:31], v26, v51 src0_sel:BYTE_0 src1_sel:DWORD
	s_cbranch_vccnz .LBB2_3931
; %bb.3914:                             ;   in Loop: Header=BB2_3145 Depth=3
	v_mov_b32_e32 v2, 0
	v_mov_b32_e32 v0, 0
	s_and_saveexec_b64 s[68:69], s[30:31]
	s_cbranch_execz .LBB2_3922
; %bb.3915:                             ;   in Loop: Header=BB2_3145 Depth=3
	v_cmp_ne_u16_sdwa vcc, sext(v26), s94 src0_sel:BYTE_0 src1_sel:DWORD
	v_bfrev_b32_e32 v0, 1
	s_and_saveexec_b64 s[70:71], vcc
	s_cbranch_execz .LBB2_3921
; %bb.3916:                             ;   in Loop: Header=BB2_3145 Depth=3
	v_and_b32_e32 v0, 0x7c, v26
	v_and_b32_e32 v7, 3, v26
	v_cmp_ne_u32_e32 vcc, s95, v0
                                        ; implicit-def: $vgpr0
	s_and_saveexec_b64 s[72:73], vcc
	s_xor_b64 s[72:73], exec, s[72:73]
	s_cbranch_execz .LBB2_3918
; %bb.3917:                             ;   in Loop: Header=BB2_3145 Depth=3
	v_ffbh_u32_e32 v12, v7
	v_min_u32_e32 v14, 32, v12
	v_subrev_u32_e32 v12, 29, v14
	v_bfe_u32 v0, v26, 2, 5
	v_lshlrev_b64 v[12:13], v12, v[26:27]
	v_sub_u32_e32 v13, 30, v14
	v_cmp_eq_u32_e32 vcc, 0, v0
	v_and_b32_e32 v12, 3, v12
	v_cndmask_b32_e32 v0, v0, v13, vcc
	v_bfrev_b32_e32 v13, 28
	v_cndmask_b32_e32 v7, v7, v12, vcc
	v_lshlrev_b32_e32 v12, 24, v26
	v_lshl_add_u32 v0, v0, 23, v13
	v_and_or_b32 v0, v12, s96, v0
	v_lshl_or_b32 v0, v7, 21, v0
                                        ; implicit-def: $vgpr7
.LBB2_3918:                             ;   in Loop: Header=BB2_3145 Depth=3
	s_andn2_saveexec_b64 s[72:73], s[72:73]
; %bb.3919:                             ;   in Loop: Header=BB2_3145 Depth=3
	v_mov_b32_e32 v0, -1
	v_cmp_gt_i16_sdwa vcc, sext(v26), v0 src0_sel:BYTE_0 src1_sel:DWORD
	v_mov_b32_e32 v0, 0xc7600000
	v_mov_b32_e32 v12, 0x47600000
	v_cndmask_b32_e32 v0, v0, v12, vcc
	v_cmp_eq_u32_e32 vcc, 0, v7
	v_mov_b32_e32 v7, 0x7f800001
	v_cndmask_b32_e32 v0, v7, v0, vcc
; %bb.3920:                             ;   in Loop: Header=BB2_3145 Depth=3
	s_or_b64 exec, exec, s[72:73]
.LBB2_3921:                             ;   in Loop: Header=BB2_3145 Depth=3
	s_or_b64 exec, exec, s[70:71]
.LBB2_3922:                             ;   in Loop: Header=BB2_3145 Depth=3
	s_or_b64 exec, exec, s[68:69]
	s_waitcnt vmcnt(0)
	v_cmp_ne_u16_sdwa vcc, sext(v8), v51 src0_sel:BYTE_0 src1_sel:DWORD
	s_and_saveexec_b64 s[68:69], vcc
	s_cbranch_execz .LBB2_3930
; %bb.3923:                             ;   in Loop: Header=BB2_3145 Depth=3
	v_cmp_ne_u16_sdwa vcc, sext(v8), s94 src0_sel:BYTE_0 src1_sel:DWORD
	v_bfrev_b32_e32 v2, 1
	s_and_saveexec_b64 s[70:71], vcc
	s_cbranch_execz .LBB2_3929
; %bb.3924:                             ;   in Loop: Header=BB2_3145 Depth=3
	v_and_b32_e32 v2, 0x7c, v8
	v_and_b32_e32 v7, 3, v8
	v_cmp_ne_u32_e32 vcc, s95, v2
                                        ; implicit-def: $vgpr2
	s_and_saveexec_b64 s[72:73], vcc
	s_xor_b64 s[72:73], exec, s[72:73]
	s_cbranch_execz .LBB2_3926
; %bb.3925:                             ;   in Loop: Header=BB2_3145 Depth=3
	v_ffbh_u32_e32 v12, v7
	v_min_u32_e32 v14, 32, v12
	v_subrev_u32_e32 v12, 29, v14
	v_bfe_u32 v2, v8, 2, 5
	v_lshlrev_b64 v[12:13], v12, v[8:9]
	v_sub_u32_e32 v13, 30, v14
	v_cmp_eq_u32_e32 vcc, 0, v2
	v_and_b32_e32 v12, 3, v12
	v_cndmask_b32_e32 v2, v2, v13, vcc
	v_bfrev_b32_e32 v13, 28
	v_cndmask_b32_e32 v7, v7, v12, vcc
	v_lshlrev_b32_e32 v12, 24, v8
	v_lshl_add_u32 v2, v2, 23, v13
	v_and_or_b32 v2, v12, s96, v2
	v_lshl_or_b32 v2, v7, 21, v2
                                        ; implicit-def: $vgpr7
.LBB2_3926:                             ;   in Loop: Header=BB2_3145 Depth=3
	s_andn2_saveexec_b64 s[72:73], s[72:73]
; %bb.3927:                             ;   in Loop: Header=BB2_3145 Depth=3
	v_mov_b32_e32 v2, -1
	v_cmp_gt_i16_sdwa vcc, sext(v8), v2 src0_sel:BYTE_0 src1_sel:DWORD
	v_mov_b32_e32 v2, 0xc7600000
	v_mov_b32_e32 v12, 0x47600000
	v_cndmask_b32_e32 v2, v2, v12, vcc
	v_cmp_eq_u32_e32 vcc, 0, v7
	v_mov_b32_e32 v7, 0x7f800001
	v_cndmask_b32_e32 v2, v7, v2, vcc
; %bb.3928:                             ;   in Loop: Header=BB2_3145 Depth=3
	s_or_b64 exec, exec, s[72:73]
.LBB2_3929:                             ;   in Loop: Header=BB2_3145 Depth=3
	s_or_b64 exec, exec, s[70:71]
.LBB2_3930:                             ;   in Loop: Header=BB2_3145 Depth=3
	s_or_b64 exec, exec, s[68:69]
	v_max_f32_e32 v2, v2, v2
	v_max_f32_e32 v0, v0, v0
	;; [unrolled: 1-line block ×3, first 2 shown]
	s_branch .LBB2_3949
.LBB2_3931:                             ;   in Loop: Header=BB2_3145 Depth=3
                                        ; implicit-def: $vgpr2
	s_cbranch_execz .LBB2_3949
; %bb.3932:                             ;   in Loop: Header=BB2_3145 Depth=3
	v_mov_b32_e32 v2, 0
	v_mov_b32_e32 v0, 0
	s_and_saveexec_b64 s[68:69], s[30:31]
	s_cbranch_execz .LBB2_3940
; %bb.3933:                             ;   in Loop: Header=BB2_3145 Depth=3
	v_cmp_ne_u16_sdwa vcc, sext(v26), s94 src0_sel:BYTE_0 src1_sel:DWORD
	v_bfrev_b32_e32 v0, 1
	s_and_saveexec_b64 s[30:31], vcc
	s_cbranch_execz .LBB2_3939
; %bb.3934:                             ;   in Loop: Header=BB2_3145 Depth=3
	v_and_b32_e32 v0, 0x7c, v26
	v_and_b32_e32 v7, 3, v26
	v_cmp_ne_u32_e32 vcc, s95, v0
                                        ; implicit-def: $vgpr0
	s_and_saveexec_b64 s[70:71], vcc
	s_xor_b64 s[70:71], exec, s[70:71]
	s_cbranch_execz .LBB2_3936
; %bb.3935:                             ;   in Loop: Header=BB2_3145 Depth=3
	v_ffbh_u32_e32 v12, v7
	v_min_u32_e32 v14, 32, v12
	v_subrev_u32_e32 v12, 29, v14
	v_bfe_u32 v0, v26, 2, 5
	v_lshlrev_b64 v[12:13], v12, v[26:27]
	v_sub_u32_e32 v13, 30, v14
	v_cmp_eq_u32_e32 vcc, 0, v0
	v_and_b32_e32 v12, 3, v12
	v_cndmask_b32_e32 v0, v0, v13, vcc
	v_bfrev_b32_e32 v13, 28
	v_cndmask_b32_e32 v7, v7, v12, vcc
	v_lshlrev_b32_e32 v12, 24, v26
	v_lshl_add_u32 v0, v0, 23, v13
	v_and_or_b32 v0, v12, s96, v0
	v_lshl_or_b32 v0, v7, 21, v0
                                        ; implicit-def: $vgpr7
.LBB2_3936:                             ;   in Loop: Header=BB2_3145 Depth=3
	s_andn2_saveexec_b64 s[70:71], s[70:71]
; %bb.3937:                             ;   in Loop: Header=BB2_3145 Depth=3
	v_mov_b32_e32 v0, -1
	v_cmp_gt_i16_sdwa vcc, sext(v26), v0 src0_sel:BYTE_0 src1_sel:DWORD
	v_mov_b32_e32 v0, 0xc7600000
	v_mov_b32_e32 v12, 0x47600000
	v_cndmask_b32_e32 v0, v0, v12, vcc
	v_cmp_eq_u32_e32 vcc, 0, v7
	v_mov_b32_e32 v7, 0x7f800001
	v_cndmask_b32_e32 v0, v7, v0, vcc
; %bb.3938:                             ;   in Loop: Header=BB2_3145 Depth=3
	s_or_b64 exec, exec, s[70:71]
.LBB2_3939:                             ;   in Loop: Header=BB2_3145 Depth=3
	s_or_b64 exec, exec, s[30:31]
.LBB2_3940:                             ;   in Loop: Header=BB2_3145 Depth=3
	s_or_b64 exec, exec, s[68:69]
	s_waitcnt vmcnt(0)
	v_cmp_ne_u16_sdwa vcc, sext(v8), v51 src0_sel:BYTE_0 src1_sel:DWORD
	s_and_saveexec_b64 s[30:31], vcc
	s_cbranch_execz .LBB2_3948
; %bb.3941:                             ;   in Loop: Header=BB2_3145 Depth=3
	v_cmp_ne_u16_sdwa vcc, sext(v8), s94 src0_sel:BYTE_0 src1_sel:DWORD
	v_bfrev_b32_e32 v2, 1
	s_and_saveexec_b64 s[68:69], vcc
	s_cbranch_execz .LBB2_3947
; %bb.3942:                             ;   in Loop: Header=BB2_3145 Depth=3
	v_and_b32_e32 v2, 0x7c, v8
	v_and_b32_e32 v7, 3, v8
	v_cmp_ne_u32_e32 vcc, s95, v2
                                        ; implicit-def: $vgpr2
	s_and_saveexec_b64 s[70:71], vcc
	s_xor_b64 s[70:71], exec, s[70:71]
	s_cbranch_execz .LBB2_3944
; %bb.3943:                             ;   in Loop: Header=BB2_3145 Depth=3
	v_ffbh_u32_e32 v12, v7
	v_min_u32_e32 v14, 32, v12
	v_subrev_u32_e32 v12, 29, v14
	v_bfe_u32 v2, v8, 2, 5
	v_lshlrev_b64 v[12:13], v12, v[8:9]
	v_sub_u32_e32 v13, 30, v14
	v_cmp_eq_u32_e32 vcc, 0, v2
	v_and_b32_e32 v12, 3, v12
	v_cndmask_b32_e32 v2, v2, v13, vcc
	v_bfrev_b32_e32 v13, 28
	v_cndmask_b32_e32 v7, v7, v12, vcc
	v_lshlrev_b32_e32 v12, 24, v8
	v_lshl_add_u32 v2, v2, 23, v13
	v_and_or_b32 v2, v12, s96, v2
	v_lshl_or_b32 v2, v7, 21, v2
                                        ; implicit-def: $vgpr7
.LBB2_3944:                             ;   in Loop: Header=BB2_3145 Depth=3
	s_andn2_saveexec_b64 s[70:71], s[70:71]
; %bb.3945:                             ;   in Loop: Header=BB2_3145 Depth=3
	v_mov_b32_e32 v2, -1
	v_cmp_gt_i16_sdwa vcc, sext(v8), v2 src0_sel:BYTE_0 src1_sel:DWORD
	v_mov_b32_e32 v2, 0xc7600000
	v_mov_b32_e32 v12, 0x47600000
	v_cndmask_b32_e32 v2, v2, v12, vcc
	v_cmp_eq_u32_e32 vcc, 0, v7
	v_mov_b32_e32 v7, 0x7f800001
	v_cndmask_b32_e32 v2, v7, v2, vcc
; %bb.3946:                             ;   in Loop: Header=BB2_3145 Depth=3
	s_or_b64 exec, exec, s[70:71]
.LBB2_3947:                             ;   in Loop: Header=BB2_3145 Depth=3
	s_or_b64 exec, exec, s[68:69]
.LBB2_3948:                             ;   in Loop: Header=BB2_3145 Depth=3
	s_or_b64 exec, exec, s[30:31]
	v_max_f32_e32 v2, v2, v2
	v_max_f32_e32 v0, v0, v0
	v_min_f32_e32 v2, v0, v2
.LBB2_3949:                             ;   in Loop: Header=BB2_3145 Depth=3
	v_and_b32_sdwa v0, v2, s97 dst_sel:DWORD dst_unused:UNUSED_PAD src0_sel:BYTE_3 src1_sel:DWORD
	v_and_b32_e32 v12, 0x7f800000, v2
	v_mov_b32_e32 v13, v51
	v_and_b32_e32 v50, 0x7fffff, v2
	v_or_b32_e32 v19, 0x7b, v0
	v_cmp_ne_u64_e32 vcc, s[52:53], v[12:13]
	s_and_saveexec_b64 s[30:31], vcc
	s_xor_b64 s[68:69], exec, s[30:31]
	s_cbranch_execz .LBB2_3959
; %bb.3950:                             ;   in Loop: Header=BB2_3145 Depth=3
	v_and_b32_e32 v12, 0x7fffffff, v2
	v_mov_b32_e32 v13, v51
	v_cmp_gt_u64_e32 vcc, s[54:55], v[12:13]
	s_and_saveexec_b64 s[70:71], vcc
	s_cbranch_execz .LBB2_3958
; %bb.3951:                             ;   in Loop: Header=BB2_3145 Depth=3
	v_cmp_ne_u32_e32 vcc, 0, v2
	v_mov_b32_e32 v19, 0
	s_and_saveexec_b64 s[72:73], vcc
	s_cbranch_execz .LBB2_3957
; %bb.3952:                             ;   in Loop: Header=BB2_3145 Depth=3
	v_bfe_u32 v2, v2, 23, 8
	v_sub_u32_e32 v12, 0x71, v2
	v_cmp_gt_u32_e32 vcc, s38, v2
	v_add_u32_e32 v7, 0xffffff81, v2
	v_cndmask_b32_e32 v12, 0, v12, vcc
	v_cmp_eq_u32_e32 vcc, 0, v2
	v_mov_b32_e32 v2, 0xffffff82
	v_cndmask_b32_e32 v2, v7, v2, vcc
	v_mov_b32_e32 v7, 0x70
	v_or_b32_e32 v13, 0x800000, v50
	v_cndmask_b32_e32 v7, v12, v7, vcc
	v_cndmask_b32_e32 v50, v13, v50, vcc
	v_add_u32_e32 v12, 21, v7
	v_lshlrev_b64 v[12:13], v12, -1
	v_add_u32_e32 v14, 20, v7
	v_lshrrev_b64 v[22:23], v7, v[50:51]
	v_not_b32_e32 v13, v13
	v_not_b32_e32 v12, v12
	v_lshlrev_b64 v[16:17], v14, 1
	v_lshrrev_b32_e32 v14, 23, v22
	v_and_b32_e32 v13, 0, v13
	v_and_b32_e32 v12, v50, v12
	v_add3_u32 v14, v7, v2, v14
	v_bfe_u32 v2, v22, 21, 1
	v_add_u32_e32 v2, -1, v2
	v_cmp_eq_u64_e32 vcc, v[12:13], v[16:17]
	v_cndmask_b32_e32 v2, 0, v2, vcc
	v_add_u32_e32 v2, v2, v22
	v_and_b32_e32 v2, 0x1fffff, v2
	v_add_co_u32_e32 v12, vcc, v2, v22
	v_add_u32_e32 v7, 14, v14
	v_addc_co_u32_e32 v13, vcc, 0, v23, vcc
	v_cmp_ne_u32_e32 vcc, 0, v7
                                        ; implicit-def: $vgpr2
	s_and_saveexec_b64 s[30:31], vcc
	s_xor_b64 s[30:31], exec, s[30:31]
; %bb.3953:                             ;   in Loop: Header=BB2_3145 Depth=3
	v_add_u32_e32 v2, 15, v14
	v_cmp_lt_u64_e32 vcc, s[56:57], v[12:13]
	v_cndmask_b32_e32 v2, v7, v2, vcc
	v_cndmask_b32_e64 v7, 0, 1, vcc
	v_lshrrev_b64 v[12:13], v7, v[12:13]
; %bb.3954:                             ;   in Loop: Header=BB2_3145 Depth=3
	s_andn2_saveexec_b64 vcc, s[30:31]
; %bb.3955:                             ;   in Loop: Header=BB2_3145 Depth=3
	v_bfe_u32 v2, v12, 23, 1
; %bb.3956:                             ;   in Loop: Header=BB2_3145 Depth=3
	s_or_b64 exec, exec, vcc
	v_lshrrev_b64 v[12:13], 21, v[12:13]
	v_cmp_gt_i32_e32 vcc, 32, v2
	v_cndmask_b32_e32 v13, 0, v13, vcc
	v_cndmask_b32_e32 v12, 3, v12, vcc
	v_cmp_eq_u32_e32 vcc, 0, v2
	v_min_i32_e32 v2, 31, v2
	v_cmp_eq_u64_e64 s[30:31], 0, v[12:13]
	v_lshlrev_b32_e32 v2, 2, v2
	v_and_or_b32 v2, v12, 3, v2
	s_and_b64 vcc, vcc, s[30:31]
	v_cndmask_b32_e64 v2, v2, 0, vcc
	v_or_b32_e32 v19, v2, v0
.LBB2_3957:                             ;   in Loop: Header=BB2_3145 Depth=3
	s_or_b64 exec, exec, s[72:73]
.LBB2_3958:                             ;   in Loop: Header=BB2_3145 Depth=3
	s_or_b64 exec, exec, s[70:71]
                                        ; implicit-def: $vgpr2
.LBB2_3959:                             ;   in Loop: Header=BB2_3145 Depth=3
	s_andn2_saveexec_b64 s[30:31], s[68:69]
; %bb.3960:                             ;   in Loop: Header=BB2_3145 Depth=3
	v_or_b32_sdwa v0, v2, s39 dst_sel:DWORD dst_unused:UNUSED_PAD src0_sel:BYTE_3 src1_sel:DWORD
	v_cmp_eq_u64_e32 vcc, 0, v[50:51]
	v_cndmask_b32_e32 v19, v0, v19, vcc
; %bb.3961:                             ;   in Loop: Header=BB2_3145 Depth=3
	s_or_b64 exec, exec, s[30:31]
	v_lshrrev_b16_e32 v50, 8, v26
	s_waitcnt vmcnt(0)
	v_lshrrev_b16_e32 v12, 8, v8
	s_and_b64 vcc, exec, s[28:29]
	v_cmp_ne_u16_e64 s[30:31], 0, v50
	s_cbranch_vccnz .LBB2_3979
; %bb.3962:                             ;   in Loop: Header=BB2_3145 Depth=3
	v_mov_b32_e32 v2, 0
	v_mov_b32_e32 v0, 0
	s_and_saveexec_b64 s[68:69], s[30:31]
	s_cbranch_execz .LBB2_3970
; %bb.3963:                             ;   in Loop: Header=BB2_3145 Depth=3
	v_cmp_ne_u16_e32 vcc, s97, v50
	v_bfrev_b32_e32 v0, 1
	s_and_saveexec_b64 s[70:71], vcc
	s_cbranch_execz .LBB2_3969
; %bb.3964:                             ;   in Loop: Header=BB2_3145 Depth=3
	v_and_b32_e32 v0, 0x7c, v50
	v_and_b32_e32 v7, 3, v50
	v_cmp_ne_u32_e32 vcc, s95, v0
                                        ; implicit-def: $vgpr0
	s_and_saveexec_b64 s[72:73], vcc
	s_xor_b64 s[72:73], exec, s[72:73]
	s_cbranch_execz .LBB2_3966
; %bb.3965:                             ;   in Loop: Header=BB2_3145 Depth=3
	v_ffbh_u32_e32 v13, v7
	v_min_u32_e32 v13, 32, v13
	v_subrev_u32_e32 v14, 29, v13
	v_bfe_u32 v0, v50, 2, 5
	v_lshlrev_b64 v[14:15], v14, v[50:51]
	v_sub_u32_e32 v13, 30, v13
	v_and_b32_e32 v14, 3, v14
	v_cmp_eq_u32_e32 vcc, 0, v0
	v_cndmask_b32_e32 v0, v0, v13, vcc
	v_cndmask_b32_e32 v7, v7, v14, vcc
	v_bfrev_b32_e32 v14, 28
	v_lshlrev_b32_e32 v13, 16, v26
	v_lshl_add_u32 v0, v0, 23, v14
	v_and_or_b32 v0, v13, s96, v0
	v_lshl_or_b32 v0, v7, 21, v0
                                        ; implicit-def: $vgpr7
.LBB2_3966:                             ;   in Loop: Header=BB2_3145 Depth=3
	s_andn2_saveexec_b64 s[72:73], s[72:73]
; %bb.3967:                             ;   in Loop: Header=BB2_3145 Depth=3
	v_cmp_lt_i16_e32 vcc, -1, v26
	v_mov_b32_e32 v0, 0xc7600000
	v_mov_b32_e32 v13, 0x47600000
	v_cndmask_b32_e32 v0, v0, v13, vcc
	v_cmp_eq_u32_e32 vcc, 0, v7
	v_mov_b32_e32 v7, 0x7f800001
	v_cndmask_b32_e32 v0, v7, v0, vcc
; %bb.3968:                             ;   in Loop: Header=BB2_3145 Depth=3
	s_or_b64 exec, exec, s[72:73]
.LBB2_3969:                             ;   in Loop: Header=BB2_3145 Depth=3
	s_or_b64 exec, exec, s[70:71]
.LBB2_3970:                             ;   in Loop: Header=BB2_3145 Depth=3
	s_or_b64 exec, exec, s[68:69]
	v_cmp_ne_u16_e32 vcc, 0, v12
	s_and_saveexec_b64 s[68:69], vcc
	s_cbranch_execz .LBB2_3978
; %bb.3971:                             ;   in Loop: Header=BB2_3145 Depth=3
	v_cmp_ne_u16_e32 vcc, s97, v12
	v_bfrev_b32_e32 v2, 1
	s_and_saveexec_b64 s[70:71], vcc
	s_cbranch_execz .LBB2_3977
; %bb.3972:                             ;   in Loop: Header=BB2_3145 Depth=3
	v_and_b32_e32 v2, 0x7c, v12
	v_and_b32_e32 v7, 3, v12
	v_cmp_ne_u32_e32 vcc, s95, v2
                                        ; implicit-def: $vgpr2
	s_and_saveexec_b64 s[72:73], vcc
	s_xor_b64 s[72:73], exec, s[72:73]
	s_cbranch_execz .LBB2_3974
; %bb.3973:                             ;   in Loop: Header=BB2_3145 Depth=3
	v_ffbh_u32_e32 v14, v7
	v_min_u32_e32 v16, 32, v14
	v_mov_b32_e32 v13, v51
	v_subrev_u32_e32 v14, 29, v16
	v_bfe_u32 v2, v12, 2, 5
	v_lshlrev_b64 v[14:15], v14, v[12:13]
	v_sub_u32_e32 v13, 30, v16
	v_and_b32_e32 v14, 3, v14
	v_cmp_eq_u32_e32 vcc, 0, v2
	v_cndmask_b32_e32 v2, v2, v13, vcc
	v_cndmask_b32_e32 v7, v7, v14, vcc
	v_bfrev_b32_e32 v14, 28
	v_lshlrev_b32_e32 v13, 16, v8
	v_lshl_add_u32 v2, v2, 23, v14
	v_and_or_b32 v2, v13, s96, v2
	v_lshl_or_b32 v2, v7, 21, v2
                                        ; implicit-def: $vgpr7
.LBB2_3974:                             ;   in Loop: Header=BB2_3145 Depth=3
	s_andn2_saveexec_b64 s[72:73], s[72:73]
; %bb.3975:                             ;   in Loop: Header=BB2_3145 Depth=3
	v_cmp_lt_i16_e32 vcc, -1, v8
	v_mov_b32_e32 v2, 0xc7600000
	v_mov_b32_e32 v13, 0x47600000
	v_cndmask_b32_e32 v2, v2, v13, vcc
	v_cmp_eq_u32_e32 vcc, 0, v7
	v_mov_b32_e32 v7, 0x7f800001
	v_cndmask_b32_e32 v2, v7, v2, vcc
; %bb.3976:                             ;   in Loop: Header=BB2_3145 Depth=3
	s_or_b64 exec, exec, s[72:73]
.LBB2_3977:                             ;   in Loop: Header=BB2_3145 Depth=3
	s_or_b64 exec, exec, s[70:71]
.LBB2_3978:                             ;   in Loop: Header=BB2_3145 Depth=3
	s_or_b64 exec, exec, s[68:69]
	v_max_f32_e32 v2, v2, v2
	v_max_f32_e32 v0, v0, v0
	;; [unrolled: 1-line block ×3, first 2 shown]
	s_branch .LBB2_3997
.LBB2_3979:                             ;   in Loop: Header=BB2_3145 Depth=3
                                        ; implicit-def: $vgpr2
	s_cbranch_execz .LBB2_3997
; %bb.3980:                             ;   in Loop: Header=BB2_3145 Depth=3
	v_mov_b32_e32 v2, 0
	v_mov_b32_e32 v0, 0
	s_and_saveexec_b64 s[68:69], s[30:31]
	s_cbranch_execz .LBB2_3988
; %bb.3981:                             ;   in Loop: Header=BB2_3145 Depth=3
	v_cmp_ne_u16_e32 vcc, s97, v50
	v_bfrev_b32_e32 v0, 1
	s_and_saveexec_b64 s[30:31], vcc
	s_cbranch_execz .LBB2_3987
; %bb.3982:                             ;   in Loop: Header=BB2_3145 Depth=3
	v_and_b32_e32 v0, 0x7c, v50
	v_and_b32_e32 v7, 3, v50
	v_cmp_ne_u32_e32 vcc, s95, v0
                                        ; implicit-def: $vgpr0
	s_and_saveexec_b64 s[70:71], vcc
	s_xor_b64 s[70:71], exec, s[70:71]
	s_cbranch_execz .LBB2_3984
; %bb.3983:                             ;   in Loop: Header=BB2_3145 Depth=3
	v_ffbh_u32_e32 v13, v7
	v_min_u32_e32 v13, 32, v13
	v_subrev_u32_e32 v14, 29, v13
	v_bfe_u32 v0, v50, 2, 5
	v_lshlrev_b64 v[14:15], v14, v[50:51]
	v_sub_u32_e32 v13, 30, v13
	v_and_b32_e32 v14, 3, v14
	v_cmp_eq_u32_e32 vcc, 0, v0
	v_cndmask_b32_e32 v0, v0, v13, vcc
	v_cndmask_b32_e32 v7, v7, v14, vcc
	v_bfrev_b32_e32 v14, 28
	v_lshlrev_b32_e32 v13, 16, v26
	v_lshl_add_u32 v0, v0, 23, v14
	v_and_or_b32 v0, v13, s96, v0
	v_lshl_or_b32 v0, v7, 21, v0
                                        ; implicit-def: $vgpr7
.LBB2_3984:                             ;   in Loop: Header=BB2_3145 Depth=3
	s_andn2_saveexec_b64 s[70:71], s[70:71]
; %bb.3985:                             ;   in Loop: Header=BB2_3145 Depth=3
	v_cmp_lt_i16_e32 vcc, -1, v26
	v_mov_b32_e32 v0, 0xc7600000
	v_mov_b32_e32 v13, 0x47600000
	v_cndmask_b32_e32 v0, v0, v13, vcc
	v_cmp_eq_u32_e32 vcc, 0, v7
	v_mov_b32_e32 v7, 0x7f800001
	v_cndmask_b32_e32 v0, v7, v0, vcc
; %bb.3986:                             ;   in Loop: Header=BB2_3145 Depth=3
	s_or_b64 exec, exec, s[70:71]
.LBB2_3987:                             ;   in Loop: Header=BB2_3145 Depth=3
	s_or_b64 exec, exec, s[30:31]
.LBB2_3988:                             ;   in Loop: Header=BB2_3145 Depth=3
	s_or_b64 exec, exec, s[68:69]
	v_cmp_ne_u16_e32 vcc, 0, v12
	s_and_saveexec_b64 s[30:31], vcc
	s_cbranch_execz .LBB2_3996
; %bb.3989:                             ;   in Loop: Header=BB2_3145 Depth=3
	v_cmp_ne_u16_e32 vcc, s97, v12
	v_bfrev_b32_e32 v2, 1
	s_and_saveexec_b64 s[68:69], vcc
	s_cbranch_execz .LBB2_3995
; %bb.3990:                             ;   in Loop: Header=BB2_3145 Depth=3
	v_and_b32_e32 v2, 0x7c, v12
	v_and_b32_e32 v7, 3, v12
	v_cmp_ne_u32_e32 vcc, s95, v2
                                        ; implicit-def: $vgpr2
	s_and_saveexec_b64 s[70:71], vcc
	s_xor_b64 s[70:71], exec, s[70:71]
	s_cbranch_execz .LBB2_3992
; %bb.3991:                             ;   in Loop: Header=BB2_3145 Depth=3
	v_ffbh_u32_e32 v14, v7
	v_min_u32_e32 v14, 32, v14
	v_mov_b32_e32 v13, v51
	v_subrev_u32_e32 v15, 29, v14
	v_bfe_u32 v2, v12, 2, 5
	v_lshlrev_b64 v[12:13], v15, v[12:13]
	v_sub_u32_e32 v13, 30, v14
	v_cmp_eq_u32_e32 vcc, 0, v2
	v_and_b32_e32 v12, 3, v12
	v_cndmask_b32_e32 v2, v2, v13, vcc
	v_bfrev_b32_e32 v13, 28
	v_cndmask_b32_e32 v7, v7, v12, vcc
	v_lshlrev_b32_e32 v12, 16, v8
	v_lshl_add_u32 v2, v2, 23, v13
	v_and_or_b32 v2, v12, s96, v2
	v_lshl_or_b32 v2, v7, 21, v2
                                        ; implicit-def: $vgpr7
.LBB2_3992:                             ;   in Loop: Header=BB2_3145 Depth=3
	s_andn2_saveexec_b64 s[70:71], s[70:71]
; %bb.3993:                             ;   in Loop: Header=BB2_3145 Depth=3
	v_cmp_lt_i16_e32 vcc, -1, v8
	v_mov_b32_e32 v2, 0xc7600000
	v_mov_b32_e32 v12, 0x47600000
	v_cndmask_b32_e32 v2, v2, v12, vcc
	v_cmp_eq_u32_e32 vcc, 0, v7
	v_mov_b32_e32 v7, 0x7f800001
	v_cndmask_b32_e32 v2, v7, v2, vcc
; %bb.3994:                             ;   in Loop: Header=BB2_3145 Depth=3
	s_or_b64 exec, exec, s[70:71]
.LBB2_3995:                             ;   in Loop: Header=BB2_3145 Depth=3
	s_or_b64 exec, exec, s[68:69]
.LBB2_3996:                             ;   in Loop: Header=BB2_3145 Depth=3
	s_or_b64 exec, exec, s[30:31]
	v_max_f32_e32 v2, v2, v2
	v_max_f32_e32 v0, v0, v0
	v_min_f32_e32 v2, v0, v2
.LBB2_3997:                             ;   in Loop: Header=BB2_3145 Depth=3
	v_and_b32_sdwa v0, v2, s97 dst_sel:DWORD dst_unused:UNUSED_PAD src0_sel:BYTE_3 src1_sel:DWORD
	v_and_b32_e32 v12, 0x7f800000, v2
	v_mov_b32_e32 v13, v51
	v_and_b32_e32 v50, 0x7fffff, v2
	v_or_b32_e32 v22, 0x7b, v0
	v_cmp_ne_u64_e32 vcc, s[52:53], v[12:13]
	s_and_saveexec_b64 s[30:31], vcc
	s_xor_b64 s[68:69], exec, s[30:31]
	s_cbranch_execz .LBB2_4007
; %bb.3998:                             ;   in Loop: Header=BB2_3145 Depth=3
	v_and_b32_e32 v12, 0x7fffffff, v2
	v_mov_b32_e32 v13, v51
	v_cmp_gt_u64_e32 vcc, s[54:55], v[12:13]
	s_and_saveexec_b64 s[70:71], vcc
	s_cbranch_execz .LBB2_4006
; %bb.3999:                             ;   in Loop: Header=BB2_3145 Depth=3
	v_cmp_ne_u32_e32 vcc, 0, v2
	v_mov_b32_e32 v22, 0
	s_and_saveexec_b64 s[72:73], vcc
	s_cbranch_execz .LBB2_4005
; %bb.4000:                             ;   in Loop: Header=BB2_3145 Depth=3
	v_bfe_u32 v2, v2, 23, 8
	v_sub_u32_e32 v12, 0x71, v2
	v_cmp_gt_u32_e32 vcc, s38, v2
	v_add_u32_e32 v7, 0xffffff81, v2
	v_cndmask_b32_e32 v12, 0, v12, vcc
	v_cmp_eq_u32_e32 vcc, 0, v2
	v_mov_b32_e32 v2, 0xffffff82
	v_cndmask_b32_e32 v2, v7, v2, vcc
	v_mov_b32_e32 v7, 0x70
	v_or_b32_e32 v13, 0x800000, v50
	v_cndmask_b32_e32 v7, v12, v7, vcc
	v_cndmask_b32_e32 v50, v13, v50, vcc
	v_add_u32_e32 v12, 21, v7
	v_lshlrev_b64 v[12:13], v12, -1
	v_add_u32_e32 v14, 20, v7
	v_lshrrev_b64 v[22:23], v7, v[50:51]
	v_not_b32_e32 v13, v13
	v_not_b32_e32 v12, v12
	v_lshlrev_b64 v[16:17], v14, 1
	v_lshrrev_b32_e32 v14, 23, v22
	v_and_b32_e32 v13, 0, v13
	v_and_b32_e32 v12, v50, v12
	v_add3_u32 v14, v7, v2, v14
	v_bfe_u32 v2, v22, 21, 1
	v_add_u32_e32 v2, -1, v2
	v_cmp_eq_u64_e32 vcc, v[12:13], v[16:17]
	v_cndmask_b32_e32 v2, 0, v2, vcc
	v_add_u32_e32 v2, v2, v22
	v_and_b32_e32 v2, 0x1fffff, v2
	v_add_co_u32_e32 v12, vcc, v2, v22
	v_add_u32_e32 v7, 14, v14
	v_addc_co_u32_e32 v13, vcc, 0, v23, vcc
	v_cmp_ne_u32_e32 vcc, 0, v7
                                        ; implicit-def: $vgpr2
	s_and_saveexec_b64 s[30:31], vcc
	s_xor_b64 s[30:31], exec, s[30:31]
; %bb.4001:                             ;   in Loop: Header=BB2_3145 Depth=3
	v_add_u32_e32 v2, 15, v14
	v_cmp_lt_u64_e32 vcc, s[56:57], v[12:13]
	v_cndmask_b32_e32 v2, v7, v2, vcc
	v_cndmask_b32_e64 v7, 0, 1, vcc
	v_lshrrev_b64 v[12:13], v7, v[12:13]
; %bb.4002:                             ;   in Loop: Header=BB2_3145 Depth=3
	s_andn2_saveexec_b64 vcc, s[30:31]
; %bb.4003:                             ;   in Loop: Header=BB2_3145 Depth=3
	v_bfe_u32 v2, v12, 23, 1
; %bb.4004:                             ;   in Loop: Header=BB2_3145 Depth=3
	s_or_b64 exec, exec, vcc
	v_lshrrev_b64 v[12:13], 21, v[12:13]
	v_cmp_gt_i32_e32 vcc, 32, v2
	v_cndmask_b32_e32 v13, 0, v13, vcc
	v_cndmask_b32_e32 v12, 3, v12, vcc
	v_cmp_eq_u32_e32 vcc, 0, v2
	v_min_i32_e32 v2, 31, v2
	v_cmp_eq_u64_e64 s[30:31], 0, v[12:13]
	v_lshlrev_b32_e32 v2, 2, v2
	v_and_or_b32 v2, v12, 3, v2
	s_and_b64 vcc, vcc, s[30:31]
	v_cndmask_b32_e64 v2, v2, 0, vcc
	v_or_b32_e32 v22, v2, v0
.LBB2_4005:                             ;   in Loop: Header=BB2_3145 Depth=3
	s_or_b64 exec, exec, s[72:73]
.LBB2_4006:                             ;   in Loop: Header=BB2_3145 Depth=3
	s_or_b64 exec, exec, s[70:71]
                                        ; implicit-def: $vgpr2
.LBB2_4007:                             ;   in Loop: Header=BB2_3145 Depth=3
	s_andn2_saveexec_b64 s[30:31], s[68:69]
; %bb.4008:                             ;   in Loop: Header=BB2_3145 Depth=3
	v_or_b32_sdwa v0, v2, s39 dst_sel:DWORD dst_unused:UNUSED_PAD src0_sel:BYTE_3 src1_sel:DWORD
	v_cmp_eq_u64_e32 vcc, 0, v[50:51]
	v_cndmask_b32_e32 v22, v0, v22, vcc
; %bb.4009:                             ;   in Loop: Header=BB2_3145 Depth=3
	s_or_b64 exec, exec, s[30:31]
	v_lshrrev_b32_e32 v14, 16, v26
	v_lshrrev_b32_e32 v12, 16, v8
	s_and_b64 vcc, exec, s[28:29]
	v_cmp_ne_u16_sdwa s[30:31], v14, v51 src0_sel:BYTE_0 src1_sel:DWORD
	s_cbranch_vccnz .LBB2_4027
; %bb.4010:                             ;   in Loop: Header=BB2_3145 Depth=3
	v_mov_b32_e32 v2, 0
	v_mov_b32_e32 v0, 0
	s_and_saveexec_b64 s[68:69], s[30:31]
	s_cbranch_execz .LBB2_4018
; %bb.4011:                             ;   in Loop: Header=BB2_3145 Depth=3
	v_cmp_ne_u16_sdwa vcc, v14, s97 src0_sel:BYTE_0 src1_sel:DWORD
	v_bfrev_b32_e32 v0, 1
	s_and_saveexec_b64 s[70:71], vcc
	s_cbranch_execz .LBB2_4017
; %bb.4012:                             ;   in Loop: Header=BB2_3145 Depth=3
	v_and_b32_e32 v0, 0x7c0000, v26
	v_bfe_u32 v7, v26, 16, 2
	v_cmp_ne_u32_e32 vcc, s36, v0
                                        ; implicit-def: $vgpr0
	s_and_saveexec_b64 s[72:73], vcc
	s_xor_b64 s[72:73], exec, s[72:73]
	s_cbranch_execz .LBB2_4014
; %bb.4013:                             ;   in Loop: Header=BB2_3145 Depth=3
	v_ffbh_u32_e32 v13, v7
	v_min_u32_e32 v13, 32, v13
	v_subrev_u32_e32 v15, 29, v13
	v_bfe_u32 v0, v26, 18, 5
	v_lshlrev_b64 v[16:17], v15, v[14:15]
	v_sub_u32_e32 v13, 30, v13
	v_and_b32_e32 v15, 3, v16
	v_cmp_eq_u32_e32 vcc, 0, v0
	v_cndmask_b32_e32 v0, v0, v13, vcc
	v_cndmask_b32_e32 v7, v7, v15, vcc
	v_bfrev_b32_e32 v15, 28
	v_lshlrev_b32_e32 v13, 24, v14
	v_lshl_add_u32 v0, v0, 23, v15
	v_and_or_b32 v0, v13, s96, v0
	v_lshl_or_b32 v0, v7, 21, v0
                                        ; implicit-def: $vgpr7
.LBB2_4014:                             ;   in Loop: Header=BB2_3145 Depth=3
	s_andn2_saveexec_b64 s[72:73], s[72:73]
; %bb.4015:                             ;   in Loop: Header=BB2_3145 Depth=3
	v_mov_b32_e32 v0, -1
	v_cmp_gt_i16_sdwa vcc, sext(v14), v0 src0_sel:BYTE_0 src1_sel:DWORD
	v_mov_b32_e32 v0, 0xc7600000
	v_mov_b32_e32 v13, 0x47600000
	v_cndmask_b32_e32 v0, v0, v13, vcc
	v_cmp_eq_u32_e32 vcc, 0, v7
	v_mov_b32_e32 v7, 0x7f800001
	v_cndmask_b32_e32 v0, v7, v0, vcc
; %bb.4016:                             ;   in Loop: Header=BB2_3145 Depth=3
	s_or_b64 exec, exec, s[72:73]
.LBB2_4017:                             ;   in Loop: Header=BB2_3145 Depth=3
	s_or_b64 exec, exec, s[70:71]
.LBB2_4018:                             ;   in Loop: Header=BB2_3145 Depth=3
	s_or_b64 exec, exec, s[68:69]
	v_cmp_ne_u16_sdwa vcc, v12, v51 src0_sel:BYTE_0 src1_sel:DWORD
	s_and_saveexec_b64 s[68:69], vcc
	s_cbranch_execz .LBB2_4026
; %bb.4019:                             ;   in Loop: Header=BB2_3145 Depth=3
	v_cmp_ne_u16_sdwa vcc, v12, s97 src0_sel:BYTE_0 src1_sel:DWORD
	v_bfrev_b32_e32 v2, 1
	s_and_saveexec_b64 s[70:71], vcc
	s_cbranch_execz .LBB2_4025
; %bb.4020:                             ;   in Loop: Header=BB2_3145 Depth=3
	v_and_b32_e32 v2, 0x7c0000, v8
	v_bfe_u32 v7, v8, 16, 2
	v_cmp_ne_u32_e32 vcc, s36, v2
                                        ; implicit-def: $vgpr2
	s_and_saveexec_b64 s[72:73], vcc
	s_xor_b64 s[72:73], exec, s[72:73]
	s_cbranch_execz .LBB2_4022
; %bb.4021:                             ;   in Loop: Header=BB2_3145 Depth=3
	v_ffbh_u32_e32 v13, v7
	v_min_u32_e32 v13, 32, v13
	v_subrev_u32_e32 v15, 29, v13
	v_bfe_u32 v2, v8, 18, 5
	v_lshlrev_b64 v[16:17], v15, v[12:13]
	v_sub_u32_e32 v13, 30, v13
	v_and_b32_e32 v15, 3, v16
	v_cmp_eq_u32_e32 vcc, 0, v2
	v_cndmask_b32_e32 v2, v2, v13, vcc
	v_cndmask_b32_e32 v7, v7, v15, vcc
	v_bfrev_b32_e32 v15, 28
	v_lshlrev_b32_e32 v13, 24, v12
	v_lshl_add_u32 v2, v2, 23, v15
	v_and_or_b32 v2, v13, s96, v2
	v_lshl_or_b32 v2, v7, 21, v2
                                        ; implicit-def: $vgpr7
.LBB2_4022:                             ;   in Loop: Header=BB2_3145 Depth=3
	s_andn2_saveexec_b64 s[72:73], s[72:73]
; %bb.4023:                             ;   in Loop: Header=BB2_3145 Depth=3
	v_mov_b32_e32 v2, -1
	v_cmp_gt_i16_sdwa vcc, sext(v12), v2 src0_sel:BYTE_0 src1_sel:DWORD
	v_mov_b32_e32 v2, 0xc7600000
	v_mov_b32_e32 v13, 0x47600000
	v_cndmask_b32_e32 v2, v2, v13, vcc
	v_cmp_eq_u32_e32 vcc, 0, v7
	v_mov_b32_e32 v7, 0x7f800001
	v_cndmask_b32_e32 v2, v7, v2, vcc
; %bb.4024:                             ;   in Loop: Header=BB2_3145 Depth=3
	s_or_b64 exec, exec, s[72:73]
.LBB2_4025:                             ;   in Loop: Header=BB2_3145 Depth=3
	s_or_b64 exec, exec, s[70:71]
.LBB2_4026:                             ;   in Loop: Header=BB2_3145 Depth=3
	s_or_b64 exec, exec, s[68:69]
	v_max_f32_e32 v2, v2, v2
	v_max_f32_e32 v0, v0, v0
	;; [unrolled: 1-line block ×3, first 2 shown]
	s_branch .LBB2_4045
.LBB2_4027:                             ;   in Loop: Header=BB2_3145 Depth=3
                                        ; implicit-def: $vgpr2
	s_cbranch_execz .LBB2_4045
; %bb.4028:                             ;   in Loop: Header=BB2_3145 Depth=3
	v_mov_b32_e32 v2, 0
	v_mov_b32_e32 v0, 0
	s_and_saveexec_b64 s[68:69], s[30:31]
	s_cbranch_execz .LBB2_4036
; %bb.4029:                             ;   in Loop: Header=BB2_3145 Depth=3
	v_cmp_ne_u16_sdwa vcc, v14, s97 src0_sel:BYTE_0 src1_sel:DWORD
	v_bfrev_b32_e32 v0, 1
	s_and_saveexec_b64 s[30:31], vcc
	s_cbranch_execz .LBB2_4035
; %bb.4030:                             ;   in Loop: Header=BB2_3145 Depth=3
	v_and_b32_e32 v0, 0x7c0000, v26
	v_bfe_u32 v7, v26, 16, 2
	v_cmp_ne_u32_e32 vcc, s36, v0
                                        ; implicit-def: $vgpr0
	s_and_saveexec_b64 s[70:71], vcc
	s_xor_b64 s[70:71], exec, s[70:71]
	s_cbranch_execz .LBB2_4032
; %bb.4031:                             ;   in Loop: Header=BB2_3145 Depth=3
	v_ffbh_u32_e32 v13, v7
	v_bfe_u32 v0, v26, 18, 5
	v_min_u32_e32 v13, 32, v13
	v_subrev_u32_e32 v15, 29, v13
	v_sub_u32_e32 v13, 30, v13
	v_cmp_eq_u32_e32 vcc, 0, v0
	v_lshlrev_b64 v[16:17], v15, v[14:15]
	v_cndmask_b32_e32 v0, v0, v13, vcc
	v_lshlrev_b32_e32 v13, 24, v14
	v_bfrev_b32_e32 v14, 28
	v_and_b32_e32 v15, 3, v16
	v_lshl_add_u32 v0, v0, 23, v14
	v_cndmask_b32_e32 v7, v7, v15, vcc
	v_and_or_b32 v0, v13, s96, v0
	v_lshl_or_b32 v0, v7, 21, v0
                                        ; implicit-def: $vgpr7
                                        ; implicit-def: $vgpr14
.LBB2_4032:                             ;   in Loop: Header=BB2_3145 Depth=3
	s_andn2_saveexec_b64 s[70:71], s[70:71]
; %bb.4033:                             ;   in Loop: Header=BB2_3145 Depth=3
	v_mov_b32_e32 v0, -1
	v_cmp_gt_i16_sdwa vcc, sext(v14), v0 src0_sel:BYTE_0 src1_sel:DWORD
	v_mov_b32_e32 v0, 0xc7600000
	v_mov_b32_e32 v13, 0x47600000
	v_cndmask_b32_e32 v0, v0, v13, vcc
	v_cmp_eq_u32_e32 vcc, 0, v7
	v_mov_b32_e32 v7, 0x7f800001
	v_cndmask_b32_e32 v0, v7, v0, vcc
; %bb.4034:                             ;   in Loop: Header=BB2_3145 Depth=3
	s_or_b64 exec, exec, s[70:71]
.LBB2_4035:                             ;   in Loop: Header=BB2_3145 Depth=3
	s_or_b64 exec, exec, s[30:31]
.LBB2_4036:                             ;   in Loop: Header=BB2_3145 Depth=3
	s_or_b64 exec, exec, s[68:69]
	v_cmp_ne_u16_sdwa vcc, v12, v51 src0_sel:BYTE_0 src1_sel:DWORD
	s_and_saveexec_b64 s[30:31], vcc
	s_cbranch_execz .LBB2_4044
; %bb.4037:                             ;   in Loop: Header=BB2_3145 Depth=3
	v_cmp_ne_u16_sdwa vcc, v12, s97 src0_sel:BYTE_0 src1_sel:DWORD
	v_bfrev_b32_e32 v2, 1
	s_and_saveexec_b64 s[68:69], vcc
	s_cbranch_execz .LBB2_4043
; %bb.4038:                             ;   in Loop: Header=BB2_3145 Depth=3
	v_and_b32_e32 v2, 0x7c0000, v8
	v_bfe_u32 v7, v8, 16, 2
	v_cmp_ne_u32_e32 vcc, s36, v2
                                        ; implicit-def: $vgpr2
	s_and_saveexec_b64 s[70:71], vcc
	s_xor_b64 s[70:71], exec, s[70:71]
	s_cbranch_execz .LBB2_4040
; %bb.4039:                             ;   in Loop: Header=BB2_3145 Depth=3
	v_ffbh_u32_e32 v13, v7
	v_min_u32_e32 v13, 32, v13
	v_bfe_u32 v2, v8, 18, 5
	v_subrev_u32_e32 v14, 29, v13
	v_lshlrev_b64 v[14:15], v14, v[12:13]
	v_sub_u32_e32 v13, 30, v13
	v_cmp_eq_u32_e32 vcc, 0, v2
	v_cndmask_b32_e32 v2, v2, v13, vcc
	v_bfrev_b32_e32 v13, 28
	v_and_b32_e32 v14, 3, v14
	v_lshlrev_b32_e32 v12, 24, v12
	v_lshl_add_u32 v2, v2, 23, v13
	v_cndmask_b32_e32 v7, v7, v14, vcc
	v_and_or_b32 v2, v12, s96, v2
	v_lshl_or_b32 v2, v7, 21, v2
                                        ; implicit-def: $vgpr7
                                        ; implicit-def: $vgpr12
.LBB2_4040:                             ;   in Loop: Header=BB2_3145 Depth=3
	s_andn2_saveexec_b64 s[70:71], s[70:71]
; %bb.4041:                             ;   in Loop: Header=BB2_3145 Depth=3
	v_mov_b32_e32 v2, -1
	v_cmp_gt_i16_sdwa vcc, sext(v12), v2 src0_sel:BYTE_0 src1_sel:DWORD
	v_mov_b32_e32 v2, 0xc7600000
	v_mov_b32_e32 v12, 0x47600000
	v_cndmask_b32_e32 v2, v2, v12, vcc
	v_cmp_eq_u32_e32 vcc, 0, v7
	v_mov_b32_e32 v7, 0x7f800001
	v_cndmask_b32_e32 v2, v7, v2, vcc
; %bb.4042:                             ;   in Loop: Header=BB2_3145 Depth=3
	s_or_b64 exec, exec, s[70:71]
.LBB2_4043:                             ;   in Loop: Header=BB2_3145 Depth=3
	s_or_b64 exec, exec, s[68:69]
.LBB2_4044:                             ;   in Loop: Header=BB2_3145 Depth=3
	s_or_b64 exec, exec, s[30:31]
	v_max_f32_e32 v2, v2, v2
	v_max_f32_e32 v0, v0, v0
	v_min_f32_e32 v2, v0, v2
.LBB2_4045:                             ;   in Loop: Header=BB2_3145 Depth=3
	v_and_b32_sdwa v0, v2, s97 dst_sel:DWORD dst_unused:UNUSED_PAD src0_sel:BYTE_3 src1_sel:DWORD
	v_and_b32_e32 v12, 0x7f800000, v2
	v_mov_b32_e32 v13, v51
	v_and_b32_e32 v50, 0x7fffff, v2
	v_or_b32_e32 v23, 0x7b, v0
	v_cmp_ne_u64_e32 vcc, s[52:53], v[12:13]
	s_and_saveexec_b64 s[30:31], vcc
	s_xor_b64 s[68:69], exec, s[30:31]
	s_cbranch_execz .LBB2_4055
; %bb.4046:                             ;   in Loop: Header=BB2_3145 Depth=3
	v_and_b32_e32 v12, 0x7fffffff, v2
	v_mov_b32_e32 v13, v51
	v_cmp_gt_u64_e32 vcc, s[54:55], v[12:13]
	s_and_saveexec_b64 s[70:71], vcc
	s_cbranch_execz .LBB2_4054
; %bb.4047:                             ;   in Loop: Header=BB2_3145 Depth=3
	v_cmp_ne_u32_e32 vcc, 0, v2
	v_mov_b32_e32 v23, 0
	s_and_saveexec_b64 s[72:73], vcc
	s_cbranch_execz .LBB2_4053
; %bb.4048:                             ;   in Loop: Header=BB2_3145 Depth=3
	v_bfe_u32 v2, v2, 23, 8
	v_sub_u32_e32 v12, 0x71, v2
	v_cmp_gt_u32_e32 vcc, s38, v2
	v_add_u32_e32 v7, 0xffffff81, v2
	v_cndmask_b32_e32 v12, 0, v12, vcc
	v_cmp_eq_u32_e32 vcc, 0, v2
	v_mov_b32_e32 v2, 0xffffff82
	v_cndmask_b32_e32 v2, v7, v2, vcc
	v_mov_b32_e32 v7, 0x70
	v_or_b32_e32 v13, 0x800000, v50
	v_cndmask_b32_e32 v7, v12, v7, vcc
	v_cndmask_b32_e32 v50, v13, v50, vcc
	v_add_u32_e32 v12, 21, v7
	v_lshlrev_b64 v[12:13], v12, -1
	v_add_u32_e32 v14, 20, v7
	v_lshrrev_b64 v[30:31], v7, v[50:51]
	v_not_b32_e32 v13, v13
	v_not_b32_e32 v12, v12
	v_lshlrev_b64 v[16:17], v14, 1
	v_lshrrev_b32_e32 v14, 23, v30
	v_and_b32_e32 v13, 0, v13
	v_and_b32_e32 v12, v50, v12
	v_add3_u32 v14, v7, v2, v14
	v_bfe_u32 v2, v30, 21, 1
	v_add_u32_e32 v2, -1, v2
	v_cmp_eq_u64_e32 vcc, v[12:13], v[16:17]
	v_cndmask_b32_e32 v2, 0, v2, vcc
	v_add_u32_e32 v2, v2, v30
	v_and_b32_e32 v2, 0x1fffff, v2
	v_add_co_u32_e32 v12, vcc, v2, v30
	v_add_u32_e32 v7, 14, v14
	v_addc_co_u32_e32 v13, vcc, 0, v31, vcc
	v_cmp_ne_u32_e32 vcc, 0, v7
                                        ; implicit-def: $vgpr2
	s_and_saveexec_b64 s[30:31], vcc
	s_xor_b64 s[30:31], exec, s[30:31]
; %bb.4049:                             ;   in Loop: Header=BB2_3145 Depth=3
	v_add_u32_e32 v2, 15, v14
	v_cmp_lt_u64_e32 vcc, s[56:57], v[12:13]
	v_cndmask_b32_e32 v2, v7, v2, vcc
	v_cndmask_b32_e64 v7, 0, 1, vcc
	v_lshrrev_b64 v[12:13], v7, v[12:13]
; %bb.4050:                             ;   in Loop: Header=BB2_3145 Depth=3
	s_andn2_saveexec_b64 vcc, s[30:31]
; %bb.4051:                             ;   in Loop: Header=BB2_3145 Depth=3
	v_bfe_u32 v2, v12, 23, 1
; %bb.4052:                             ;   in Loop: Header=BB2_3145 Depth=3
	s_or_b64 exec, exec, vcc
	v_lshrrev_b64 v[12:13], 21, v[12:13]
	v_cmp_gt_i32_e32 vcc, 32, v2
	v_cndmask_b32_e32 v13, 0, v13, vcc
	v_cndmask_b32_e32 v12, 3, v12, vcc
	v_cmp_eq_u32_e32 vcc, 0, v2
	v_min_i32_e32 v2, 31, v2
	v_cmp_eq_u64_e64 s[30:31], 0, v[12:13]
	v_lshlrev_b32_e32 v2, 2, v2
	v_and_or_b32 v2, v12, 3, v2
	s_and_b64 vcc, vcc, s[30:31]
	v_cndmask_b32_e64 v2, v2, 0, vcc
	v_or_b32_e32 v23, v2, v0
.LBB2_4053:                             ;   in Loop: Header=BB2_3145 Depth=3
	s_or_b64 exec, exec, s[72:73]
.LBB2_4054:                             ;   in Loop: Header=BB2_3145 Depth=3
	s_or_b64 exec, exec, s[70:71]
                                        ; implicit-def: $vgpr2
.LBB2_4055:                             ;   in Loop: Header=BB2_3145 Depth=3
	s_andn2_saveexec_b64 s[30:31], s[68:69]
; %bb.4056:                             ;   in Loop: Header=BB2_3145 Depth=3
	v_or_b32_sdwa v0, v2, s39 dst_sel:DWORD dst_unused:UNUSED_PAD src0_sel:BYTE_3 src1_sel:DWORD
	v_cmp_eq_u64_e32 vcc, 0, v[50:51]
	v_cndmask_b32_e32 v23, v0, v23, vcc
; %bb.4057:                             ;   in Loop: Header=BB2_3145 Depth=3
	s_or_b64 exec, exec, s[30:31]
	v_lshrrev_b32_e32 v14, 24, v26
	v_lshrrev_b32_e32 v12, 24, v8
	s_and_b64 vcc, exec, s[28:29]
	v_cmp_lt_u32_e64 s[30:31], s43, v26
	s_cbranch_vccnz .LBB2_4075
; %bb.4058:                             ;   in Loop: Header=BB2_3145 Depth=3
	v_mov_b32_e32 v2, 0
	v_mov_b32_e32 v0, 0
	s_and_saveexec_b64 s[68:69], s[30:31]
	s_cbranch_execz .LBB2_4066
; %bb.4059:                             ;   in Loop: Header=BB2_3145 Depth=3
	v_cmp_ne_u32_e32 vcc, s97, v14
	v_bfrev_b32_e32 v0, 1
	s_and_saveexec_b64 s[70:71], vcc
	s_cbranch_execz .LBB2_4065
; %bb.4060:                             ;   in Loop: Header=BB2_3145 Depth=3
	v_and_b32_e32 v0, 0x7c000000, v26
	v_bfe_u32 v7, v26, 24, 2
	v_cmp_ne_u32_e32 vcc, s37, v0
                                        ; implicit-def: $vgpr0
	s_and_saveexec_b64 s[72:73], vcc
	s_xor_b64 s[72:73], exec, s[72:73]
	s_cbranch_execz .LBB2_4062
; %bb.4061:                             ;   in Loop: Header=BB2_3145 Depth=3
	v_ffbh_u32_e32 v13, v7
	v_bfe_u32 v0, v26, 26, 5
	v_min_u32_e32 v13, 32, v13
	v_subrev_u32_e32 v15, 29, v13
	v_sub_u32_e32 v13, 30, v13
	v_cmp_eq_u32_e32 vcc, 0, v0
	v_lshlrev_b64 v[16:17], v15, v[14:15]
	v_cndmask_b32_e32 v0, v0, v13, vcc
	v_bfrev_b32_e32 v13, 28
	v_and_b32_e32 v15, 3, v16
	v_lshl_add_u32 v0, v0, 23, v13
	v_cndmask_b32_e32 v7, v7, v15, vcc
	v_and_or_b32 v0, v26, s96, v0
	v_lshl_or_b32 v0, v7, 21, v0
                                        ; implicit-def: $vgpr7
.LBB2_4062:                             ;   in Loop: Header=BB2_3145 Depth=3
	s_andn2_saveexec_b64 s[72:73], s[72:73]
; %bb.4063:                             ;   in Loop: Header=BB2_3145 Depth=3
	v_cmp_lt_i32_e32 vcc, -1, v26
	v_mov_b32_e32 v0, 0xc7600000
	v_mov_b32_e32 v13, 0x47600000
	v_cndmask_b32_e32 v0, v0, v13, vcc
	v_cmp_eq_u32_e32 vcc, 0, v7
	v_mov_b32_e32 v7, 0x7f800001
	v_cndmask_b32_e32 v0, v7, v0, vcc
; %bb.4064:                             ;   in Loop: Header=BB2_3145 Depth=3
	s_or_b64 exec, exec, s[72:73]
.LBB2_4065:                             ;   in Loop: Header=BB2_3145 Depth=3
	s_or_b64 exec, exec, s[70:71]
.LBB2_4066:                             ;   in Loop: Header=BB2_3145 Depth=3
	s_or_b64 exec, exec, s[68:69]
	v_cmp_lt_u32_e32 vcc, s43, v8
	s_and_saveexec_b64 s[68:69], vcc
	s_cbranch_execz .LBB2_4074
; %bb.4067:                             ;   in Loop: Header=BB2_3145 Depth=3
	v_cmp_ne_u32_e32 vcc, s97, v12
	v_bfrev_b32_e32 v2, 1
	s_and_saveexec_b64 s[70:71], vcc
	s_cbranch_execz .LBB2_4073
; %bb.4068:                             ;   in Loop: Header=BB2_3145 Depth=3
	v_and_b32_e32 v2, 0x7c000000, v8
	v_bfe_u32 v7, v8, 24, 2
	v_cmp_ne_u32_e32 vcc, s37, v2
                                        ; implicit-def: $vgpr2
	s_and_saveexec_b64 s[72:73], vcc
	s_xor_b64 s[72:73], exec, s[72:73]
	s_cbranch_execz .LBB2_4070
; %bb.4069:                             ;   in Loop: Header=BB2_3145 Depth=3
	v_ffbh_u32_e32 v13, v7
	v_min_u32_e32 v13, 32, v13
	v_bfe_u32 v2, v8, 26, 5
	v_subrev_u32_e32 v15, 29, v13
	v_lshlrev_b64 v[16:17], v15, v[12:13]
	v_sub_u32_e32 v13, 30, v13
	v_cmp_eq_u32_e32 vcc, 0, v2
	v_cndmask_b32_e32 v2, v2, v13, vcc
	v_bfrev_b32_e32 v13, 28
	v_and_b32_e32 v15, 3, v16
	v_lshl_add_u32 v2, v2, 23, v13
	v_cndmask_b32_e32 v7, v7, v15, vcc
	v_and_or_b32 v2, v8, s96, v2
	v_lshl_or_b32 v2, v7, 21, v2
                                        ; implicit-def: $vgpr7
.LBB2_4070:                             ;   in Loop: Header=BB2_3145 Depth=3
	s_andn2_saveexec_b64 s[72:73], s[72:73]
; %bb.4071:                             ;   in Loop: Header=BB2_3145 Depth=3
	v_cmp_lt_i32_e32 vcc, -1, v8
	v_mov_b32_e32 v2, 0xc7600000
	v_mov_b32_e32 v13, 0x47600000
	v_cndmask_b32_e32 v2, v2, v13, vcc
	v_cmp_eq_u32_e32 vcc, 0, v7
	v_mov_b32_e32 v7, 0x7f800001
	v_cndmask_b32_e32 v2, v7, v2, vcc
; %bb.4072:                             ;   in Loop: Header=BB2_3145 Depth=3
	s_or_b64 exec, exec, s[72:73]
.LBB2_4073:                             ;   in Loop: Header=BB2_3145 Depth=3
	s_or_b64 exec, exec, s[70:71]
.LBB2_4074:                             ;   in Loop: Header=BB2_3145 Depth=3
	s_or_b64 exec, exec, s[68:69]
	v_max_f32_e32 v2, v2, v2
	v_max_f32_e32 v0, v0, v0
	;; [unrolled: 1-line block ×3, first 2 shown]
	s_branch .LBB2_4093
.LBB2_4075:                             ;   in Loop: Header=BB2_3145 Depth=3
                                        ; implicit-def: $vgpr7
	s_cbranch_execz .LBB2_4093
; %bb.4076:                             ;   in Loop: Header=BB2_3145 Depth=3
	v_mov_b32_e32 v2, 0
	v_mov_b32_e32 v0, 0
	s_and_saveexec_b64 s[68:69], s[30:31]
	s_cbranch_execz .LBB2_4084
; %bb.4077:                             ;   in Loop: Header=BB2_3145 Depth=3
	v_cmp_ne_u32_e32 vcc, s97, v14
	v_bfrev_b32_e32 v0, 1
	s_and_saveexec_b64 s[30:31], vcc
	s_cbranch_execz .LBB2_4083
; %bb.4078:                             ;   in Loop: Header=BB2_3145 Depth=3
	v_and_b32_e32 v0, 0x7c000000, v26
	v_bfe_u32 v7, v26, 24, 2
	v_cmp_ne_u32_e32 vcc, s37, v0
                                        ; implicit-def: $vgpr0
	s_and_saveexec_b64 s[70:71], vcc
	s_xor_b64 s[70:71], exec, s[70:71]
	s_cbranch_execz .LBB2_4080
; %bb.4079:                             ;   in Loop: Header=BB2_3145 Depth=3
	v_ffbh_u32_e32 v13, v7
	v_bfe_u32 v0, v26, 26, 5
	v_min_u32_e32 v13, 32, v13
	v_subrev_u32_e32 v15, 29, v13
	v_sub_u32_e32 v13, 30, v13
	v_cmp_eq_u32_e32 vcc, 0, v0
	v_lshlrev_b64 v[14:15], v15, v[14:15]
	v_cndmask_b32_e32 v0, v0, v13, vcc
	v_bfrev_b32_e32 v13, 28
	v_and_b32_e32 v14, 3, v14
	v_lshl_add_u32 v0, v0, 23, v13
	v_cndmask_b32_e32 v7, v7, v14, vcc
	v_and_or_b32 v0, v26, s96, v0
	v_lshl_or_b32 v0, v7, 21, v0
                                        ; implicit-def: $vgpr7
.LBB2_4080:                             ;   in Loop: Header=BB2_3145 Depth=3
	s_andn2_saveexec_b64 s[70:71], s[70:71]
; %bb.4081:                             ;   in Loop: Header=BB2_3145 Depth=3
	v_cmp_lt_i32_e32 vcc, -1, v26
	v_mov_b32_e32 v0, 0xc7600000
	v_mov_b32_e32 v13, 0x47600000
	v_cndmask_b32_e32 v0, v0, v13, vcc
	v_cmp_eq_u32_e32 vcc, 0, v7
	v_mov_b32_e32 v7, 0x7f800001
	v_cndmask_b32_e32 v0, v7, v0, vcc
; %bb.4082:                             ;   in Loop: Header=BB2_3145 Depth=3
	s_or_b64 exec, exec, s[70:71]
.LBB2_4083:                             ;   in Loop: Header=BB2_3145 Depth=3
	s_or_b64 exec, exec, s[30:31]
.LBB2_4084:                             ;   in Loop: Header=BB2_3145 Depth=3
	s_or_b64 exec, exec, s[68:69]
	v_cmp_lt_u32_e32 vcc, s43, v8
	s_and_saveexec_b64 s[30:31], vcc
	s_cbranch_execz .LBB2_4092
; %bb.4085:                             ;   in Loop: Header=BB2_3145 Depth=3
	v_cmp_ne_u32_e32 vcc, s97, v12
	v_bfrev_b32_e32 v2, 1
	s_and_saveexec_b64 s[68:69], vcc
	s_cbranch_execz .LBB2_4091
; %bb.4086:                             ;   in Loop: Header=BB2_3145 Depth=3
	v_and_b32_e32 v2, 0x7c000000, v8
	v_bfe_u32 v7, v8, 24, 2
	v_cmp_ne_u32_e32 vcc, s37, v2
                                        ; implicit-def: $vgpr2
	s_and_saveexec_b64 s[70:71], vcc
	s_xor_b64 s[70:71], exec, s[70:71]
	s_cbranch_execz .LBB2_4088
; %bb.4087:                             ;   in Loop: Header=BB2_3145 Depth=3
	v_ffbh_u32_e32 v13, v7
	v_min_u32_e32 v14, 32, v13
	v_subrev_u32_e32 v13, 29, v14
	v_bfe_u32 v2, v8, 26, 5
	v_lshlrev_b64 v[12:13], v13, v[12:13]
	v_sub_u32_e32 v13, 30, v14
	v_and_b32_e32 v12, 3, v12
	v_cmp_eq_u32_e32 vcc, 0, v2
	v_cndmask_b32_e32 v2, v2, v13, vcc
	v_cndmask_b32_e32 v7, v7, v12, vcc
	v_bfrev_b32_e32 v12, 28
	v_lshl_add_u32 v2, v2, 23, v12
	v_and_or_b32 v2, v8, s96, v2
	v_lshl_or_b32 v2, v7, 21, v2
                                        ; implicit-def: $vgpr7
.LBB2_4088:                             ;   in Loop: Header=BB2_3145 Depth=3
	s_andn2_saveexec_b64 s[70:71], s[70:71]
; %bb.4089:                             ;   in Loop: Header=BB2_3145 Depth=3
	v_cmp_lt_i32_e32 vcc, -1, v8
	v_mov_b32_e32 v2, 0xc7600000
	v_mov_b32_e32 v12, 0x47600000
	v_cndmask_b32_e32 v2, v2, v12, vcc
	v_cmp_eq_u32_e32 vcc, 0, v7
	v_mov_b32_e32 v7, 0x7f800001
	v_cndmask_b32_e32 v2, v7, v2, vcc
; %bb.4090:                             ;   in Loop: Header=BB2_3145 Depth=3
	s_or_b64 exec, exec, s[70:71]
.LBB2_4091:                             ;   in Loop: Header=BB2_3145 Depth=3
	s_or_b64 exec, exec, s[68:69]
.LBB2_4092:                             ;   in Loop: Header=BB2_3145 Depth=3
	s_or_b64 exec, exec, s[30:31]
	v_max_f32_e32 v2, v2, v2
	v_max_f32_e32 v0, v0, v0
	v_min_f32_e32 v7, v0, v2
.LBB2_4093:                             ;   in Loop: Header=BB2_3145 Depth=3
	v_and_b32_sdwa v0, v7, s97 dst_sel:DWORD dst_unused:UNUSED_PAD src0_sel:BYTE_3 src1_sel:DWORD
	v_and_b32_e32 v12, 0x7f800000, v7
	v_mov_b32_e32 v13, v51
	v_and_b32_e32 v50, 0x7fffff, v7
	v_or_b32_e32 v2, 0x7b, v0
	v_cmp_ne_u64_e32 vcc, s[52:53], v[12:13]
	s_and_saveexec_b64 s[30:31], vcc
	s_xor_b64 s[68:69], exec, s[30:31]
	s_cbranch_execz .LBB2_4103
; %bb.4094:                             ;   in Loop: Header=BB2_3145 Depth=3
	v_and_b32_e32 v12, 0x7fffffff, v7
	v_mov_b32_e32 v13, v51
	v_cmp_gt_u64_e32 vcc, s[54:55], v[12:13]
	s_and_saveexec_b64 s[70:71], vcc
	s_cbranch_execz .LBB2_4102
; %bb.4095:                             ;   in Loop: Header=BB2_3145 Depth=3
	v_cmp_ne_u32_e32 vcc, 0, v7
	v_mov_b32_e32 v2, 0
	s_and_saveexec_b64 s[72:73], vcc
	s_cbranch_execz .LBB2_4101
; %bb.4096:                             ;   in Loop: Header=BB2_3145 Depth=3
	v_bfe_u32 v2, v7, 23, 8
	v_sub_u32_e32 v12, 0x71, v2
	v_cmp_gt_u32_e32 vcc, s38, v2
	v_add_u32_e32 v7, 0xffffff81, v2
	v_cndmask_b32_e32 v12, 0, v12, vcc
	v_cmp_eq_u32_e32 vcc, 0, v2
	v_mov_b32_e32 v2, 0xffffff82
	v_cndmask_b32_e32 v2, v7, v2, vcc
	v_mov_b32_e32 v7, 0x70
	v_or_b32_e32 v13, 0x800000, v50
	v_cndmask_b32_e32 v7, v12, v7, vcc
	v_cndmask_b32_e32 v50, v13, v50, vcc
	v_add_u32_e32 v12, 21, v7
	v_lshlrev_b64 v[12:13], v12, -1
	v_add_u32_e32 v14, 20, v7
	v_lshrrev_b64 v[30:31], v7, v[50:51]
	v_not_b32_e32 v13, v13
	v_not_b32_e32 v12, v12
	v_lshlrev_b64 v[16:17], v14, 1
	v_lshrrev_b32_e32 v14, 23, v30
	v_and_b32_e32 v13, 0, v13
	v_and_b32_e32 v12, v50, v12
	v_add3_u32 v14, v7, v2, v14
	v_bfe_u32 v2, v30, 21, 1
	v_add_u32_e32 v2, -1, v2
	v_cmp_eq_u64_e32 vcc, v[12:13], v[16:17]
	v_cndmask_b32_e32 v2, 0, v2, vcc
	v_add_u32_e32 v2, v2, v30
	v_and_b32_e32 v2, 0x1fffff, v2
	v_add_co_u32_e32 v12, vcc, v2, v30
	v_add_u32_e32 v7, 14, v14
	v_addc_co_u32_e32 v13, vcc, 0, v31, vcc
	v_cmp_ne_u32_e32 vcc, 0, v7
                                        ; implicit-def: $vgpr2
	s_and_saveexec_b64 s[30:31], vcc
	s_xor_b64 s[30:31], exec, s[30:31]
; %bb.4097:                             ;   in Loop: Header=BB2_3145 Depth=3
	v_add_u32_e32 v2, 15, v14
	v_cmp_lt_u64_e32 vcc, s[56:57], v[12:13]
	v_cndmask_b32_e32 v2, v7, v2, vcc
	v_cndmask_b32_e64 v7, 0, 1, vcc
	v_lshrrev_b64 v[12:13], v7, v[12:13]
; %bb.4098:                             ;   in Loop: Header=BB2_3145 Depth=3
	s_andn2_saveexec_b64 vcc, s[30:31]
; %bb.4099:                             ;   in Loop: Header=BB2_3145 Depth=3
	v_bfe_u32 v2, v12, 23, 1
; %bb.4100:                             ;   in Loop: Header=BB2_3145 Depth=3
	s_or_b64 exec, exec, vcc
	v_lshrrev_b64 v[12:13], 21, v[12:13]
	v_cmp_gt_i32_e32 vcc, 32, v2
	v_cndmask_b32_e32 v13, 0, v13, vcc
	v_cndmask_b32_e32 v12, 3, v12, vcc
	v_cmp_eq_u32_e32 vcc, 0, v2
	v_min_i32_e32 v2, 31, v2
	v_cmp_eq_u64_e64 s[30:31], 0, v[12:13]
	v_lshlrev_b32_e32 v2, 2, v2
	v_and_or_b32 v2, v12, 3, v2
	s_and_b64 vcc, vcc, s[30:31]
	v_cndmask_b32_e64 v2, v2, 0, vcc
	v_or_b32_e32 v2, v2, v0
.LBB2_4101:                             ;   in Loop: Header=BB2_3145 Depth=3
	s_or_b64 exec, exec, s[72:73]
.LBB2_4102:                             ;   in Loop: Header=BB2_3145 Depth=3
	s_or_b64 exec, exec, s[70:71]
                                        ; implicit-def: $vgpr7
.LBB2_4103:                             ;   in Loop: Header=BB2_3145 Depth=3
	s_andn2_saveexec_b64 s[30:31], s[68:69]
; %bb.4104:                             ;   in Loop: Header=BB2_3145 Depth=3
	v_or_b32_sdwa v0, v7, s39 dst_sel:DWORD dst_unused:UNUSED_PAD src0_sel:BYTE_3 src1_sel:DWORD
	v_cmp_eq_u64_e32 vcc, 0, v[50:51]
	v_cndmask_b32_e32 v2, v0, v2, vcc
; %bb.4105:                             ;   in Loop: Header=BB2_3145 Depth=3
	s_or_b64 exec, exec, s[30:31]
	v_mov_b32_e32 v50, v27
	v_mov_b32_e32 v12, v9
	;; [unrolled: 1-line block ×3, first 2 shown]
	s_and_b64 vcc, exec, s[28:29]
	v_cmp_ne_u16_sdwa s[30:31], v27, v51 src0_sel:BYTE_0 src1_sel:DWORD
	s_cbranch_vccnz .LBB2_4123
; %bb.4106:                             ;   in Loop: Header=BB2_3145 Depth=3
	v_mov_b32_e32 v7, 0
	v_mov_b32_e32 v0, 0
	s_and_saveexec_b64 s[68:69], s[30:31]
	s_cbranch_execz .LBB2_4114
; %bb.4107:                             ;   in Loop: Header=BB2_3145 Depth=3
	v_cmp_ne_u16_sdwa vcc, v27, s97 src0_sel:BYTE_0 src1_sel:DWORD
	v_bfrev_b32_e32 v0, 1
	s_and_saveexec_b64 s[70:71], vcc
	s_cbranch_execz .LBB2_4113
; %bb.4108:                             ;   in Loop: Header=BB2_3145 Depth=3
	v_and_b32_e32 v0, 0x7c, v27
	v_and_b32_e32 v14, 3, v27
	v_cmp_ne_u32_e32 vcc, s95, v0
                                        ; implicit-def: $vgpr0
	s_and_saveexec_b64 s[72:73], vcc
	s_xor_b64 s[72:73], exec, s[72:73]
	s_cbranch_execz .LBB2_4110
; %bb.4109:                             ;   in Loop: Header=BB2_3145 Depth=3
	v_ffbh_u32_e32 v15, v14
	v_min_u32_e32 v15, 32, v15
	v_subrev_u32_e32 v16, 29, v15
	v_bfe_u32 v0, v27, 2, 5
	v_lshlrev_b64 v[16:17], v16, v[50:51]
	v_sub_u32_e32 v15, 30, v15
	v_and_b32_e32 v16, 3, v16
	v_cmp_eq_u32_e32 vcc, 0, v0
	v_cndmask_b32_e32 v0, v0, v15, vcc
	v_cndmask_b32_e32 v14, v14, v16, vcc
	v_bfrev_b32_e32 v16, 28
	v_lshlrev_b32_e32 v15, 24, v27
	v_lshl_add_u32 v0, v0, 23, v16
	v_and_or_b32 v0, v15, s96, v0
	v_lshl_or_b32 v0, v14, 21, v0
                                        ; implicit-def: $vgpr14
.LBB2_4110:                             ;   in Loop: Header=BB2_3145 Depth=3
	s_andn2_saveexec_b64 s[72:73], s[72:73]
; %bb.4111:                             ;   in Loop: Header=BB2_3145 Depth=3
	v_mov_b32_e32 v0, -1
	v_cmp_gt_i16_sdwa vcc, sext(v27), v0 src0_sel:BYTE_0 src1_sel:DWORD
	v_mov_b32_e32 v0, 0xc7600000
	v_mov_b32_e32 v15, 0x47600000
	v_cndmask_b32_e32 v0, v0, v15, vcc
	v_cmp_eq_u32_e32 vcc, 0, v14
	v_mov_b32_e32 v14, 0x7f800001
	v_cndmask_b32_e32 v0, v14, v0, vcc
; %bb.4112:                             ;   in Loop: Header=BB2_3145 Depth=3
	s_or_b64 exec, exec, s[72:73]
.LBB2_4113:                             ;   in Loop: Header=BB2_3145 Depth=3
	s_or_b64 exec, exec, s[70:71]
.LBB2_4114:                             ;   in Loop: Header=BB2_3145 Depth=3
	s_or_b64 exec, exec, s[68:69]
	v_cmp_ne_u16_sdwa vcc, v9, v51 src0_sel:BYTE_0 src1_sel:DWORD
	s_and_saveexec_b64 s[68:69], vcc
	s_cbranch_execz .LBB2_4122
; %bb.4115:                             ;   in Loop: Header=BB2_3145 Depth=3
	v_cmp_ne_u16_sdwa vcc, v9, s97 src0_sel:BYTE_0 src1_sel:DWORD
	v_bfrev_b32_e32 v7, 1
	s_and_saveexec_b64 s[70:71], vcc
	s_cbranch_execz .LBB2_4121
; %bb.4116:                             ;   in Loop: Header=BB2_3145 Depth=3
	v_and_b32_e32 v7, 0x7c, v9
	v_and_b32_e32 v14, 3, v9
	v_cmp_ne_u32_e32 vcc, s95, v7
                                        ; implicit-def: $vgpr7
	s_and_saveexec_b64 s[72:73], vcc
	s_xor_b64 s[72:73], exec, s[72:73]
	s_cbranch_execz .LBB2_4118
; %bb.4117:                             ;   in Loop: Header=BB2_3145 Depth=3
	v_ffbh_u32_e32 v15, v14
	v_min_u32_e32 v15, 32, v15
	v_subrev_u32_e32 v16, 29, v15
	v_bfe_u32 v7, v9, 2, 5
	v_lshlrev_b64 v[16:17], v16, v[12:13]
	v_sub_u32_e32 v15, 30, v15
	v_and_b32_e32 v16, 3, v16
	v_cmp_eq_u32_e32 vcc, 0, v7
	v_cndmask_b32_e32 v7, v7, v15, vcc
	v_cndmask_b32_e32 v14, v14, v16, vcc
	v_bfrev_b32_e32 v16, 28
	v_lshlrev_b32_e32 v15, 24, v9
	v_lshl_add_u32 v7, v7, 23, v16
	v_and_or_b32 v7, v15, s96, v7
	v_lshl_or_b32 v7, v14, 21, v7
                                        ; implicit-def: $vgpr14
.LBB2_4118:                             ;   in Loop: Header=BB2_3145 Depth=3
	s_andn2_saveexec_b64 s[72:73], s[72:73]
; %bb.4119:                             ;   in Loop: Header=BB2_3145 Depth=3
	v_mov_b32_e32 v7, -1
	v_cmp_gt_i16_sdwa vcc, sext(v9), v7 src0_sel:BYTE_0 src1_sel:DWORD
	v_mov_b32_e32 v7, 0xc7600000
	v_mov_b32_e32 v15, 0x47600000
	v_cndmask_b32_e32 v7, v7, v15, vcc
	v_cmp_eq_u32_e32 vcc, 0, v14
	v_mov_b32_e32 v14, 0x7f800001
	v_cndmask_b32_e32 v7, v14, v7, vcc
; %bb.4120:                             ;   in Loop: Header=BB2_3145 Depth=3
	s_or_b64 exec, exec, s[72:73]
.LBB2_4121:                             ;   in Loop: Header=BB2_3145 Depth=3
	s_or_b64 exec, exec, s[70:71]
.LBB2_4122:                             ;   in Loop: Header=BB2_3145 Depth=3
	s_or_b64 exec, exec, s[68:69]
	v_max_f32_e32 v7, v7, v7
	v_max_f32_e32 v0, v0, v0
	;; [unrolled: 1-line block ×3, first 2 shown]
	s_branch .LBB2_4141
.LBB2_4123:                             ;   in Loop: Header=BB2_3145 Depth=3
                                        ; implicit-def: $vgpr7
	s_cbranch_execz .LBB2_4141
; %bb.4124:                             ;   in Loop: Header=BB2_3145 Depth=3
	v_mov_b32_e32 v7, 0
	v_mov_b32_e32 v0, 0
	s_and_saveexec_b64 s[68:69], s[30:31]
	s_cbranch_execz .LBB2_4132
; %bb.4125:                             ;   in Loop: Header=BB2_3145 Depth=3
	v_cmp_ne_u16_sdwa vcc, v27, s97 src0_sel:BYTE_0 src1_sel:DWORD
	v_bfrev_b32_e32 v0, 1
	s_and_saveexec_b64 s[30:31], vcc
	s_cbranch_execz .LBB2_4131
; %bb.4126:                             ;   in Loop: Header=BB2_3145 Depth=3
	v_and_b32_e32 v0, 0x7c, v27
	v_and_b32_e32 v14, 3, v27
	v_cmp_ne_u32_e32 vcc, s95, v0
                                        ; implicit-def: $vgpr0
	s_and_saveexec_b64 s[70:71], vcc
	s_xor_b64 s[70:71], exec, s[70:71]
	s_cbranch_execz .LBB2_4128
; %bb.4127:                             ;   in Loop: Header=BB2_3145 Depth=3
	v_ffbh_u32_e32 v15, v14
	v_min_u32_e32 v15, 32, v15
	v_subrev_u32_e32 v16, 29, v15
	v_bfe_u32 v0, v27, 2, 5
	v_lshlrev_b64 v[16:17], v16, v[50:51]
	v_sub_u32_e32 v15, 30, v15
	v_and_b32_e32 v16, 3, v16
	v_cmp_eq_u32_e32 vcc, 0, v0
	v_cndmask_b32_e32 v0, v0, v15, vcc
	v_cndmask_b32_e32 v14, v14, v16, vcc
	v_bfrev_b32_e32 v16, 28
	v_lshlrev_b32_e32 v15, 24, v27
	v_lshl_add_u32 v0, v0, 23, v16
	v_and_or_b32 v0, v15, s96, v0
	v_lshl_or_b32 v0, v14, 21, v0
                                        ; implicit-def: $vgpr14
.LBB2_4128:                             ;   in Loop: Header=BB2_3145 Depth=3
	s_andn2_saveexec_b64 s[70:71], s[70:71]
; %bb.4129:                             ;   in Loop: Header=BB2_3145 Depth=3
	v_mov_b32_e32 v0, -1
	v_cmp_gt_i16_sdwa vcc, sext(v27), v0 src0_sel:BYTE_0 src1_sel:DWORD
	v_mov_b32_e32 v0, 0xc7600000
	v_mov_b32_e32 v15, 0x47600000
	v_cndmask_b32_e32 v0, v0, v15, vcc
	v_cmp_eq_u32_e32 vcc, 0, v14
	v_mov_b32_e32 v14, 0x7f800001
	v_cndmask_b32_e32 v0, v14, v0, vcc
; %bb.4130:                             ;   in Loop: Header=BB2_3145 Depth=3
	s_or_b64 exec, exec, s[70:71]
.LBB2_4131:                             ;   in Loop: Header=BB2_3145 Depth=3
	s_or_b64 exec, exec, s[30:31]
.LBB2_4132:                             ;   in Loop: Header=BB2_3145 Depth=3
	s_or_b64 exec, exec, s[68:69]
	v_cmp_ne_u16_sdwa vcc, v9, v51 src0_sel:BYTE_0 src1_sel:DWORD
	s_and_saveexec_b64 s[30:31], vcc
	s_cbranch_execz .LBB2_4140
; %bb.4133:                             ;   in Loop: Header=BB2_3145 Depth=3
	v_cmp_ne_u16_sdwa vcc, v9, s97 src0_sel:BYTE_0 src1_sel:DWORD
	v_bfrev_b32_e32 v7, 1
	s_and_saveexec_b64 s[68:69], vcc
	s_cbranch_execz .LBB2_4139
; %bb.4134:                             ;   in Loop: Header=BB2_3145 Depth=3
	v_and_b32_e32 v7, 0x7c, v9
	v_and_b32_e32 v14, 3, v9
	v_cmp_ne_u32_e32 vcc, s95, v7
                                        ; implicit-def: $vgpr7
	s_and_saveexec_b64 s[70:71], vcc
	s_xor_b64 s[70:71], exec, s[70:71]
	s_cbranch_execz .LBB2_4136
; %bb.4135:                             ;   in Loop: Header=BB2_3145 Depth=3
	v_ffbh_u32_e32 v15, v14
	v_min_u32_e32 v15, 32, v15
	v_subrev_u32_e32 v16, 29, v15
	v_bfe_u32 v7, v9, 2, 5
	v_lshlrev_b64 v[16:17], v16, v[12:13]
	v_sub_u32_e32 v13, 30, v15
	v_and_b32_e32 v15, 3, v16
	v_cmp_eq_u32_e32 vcc, 0, v7
	v_cndmask_b32_e32 v7, v7, v13, vcc
	v_cndmask_b32_e32 v13, v14, v15, vcc
	v_bfrev_b32_e32 v15, 28
	v_lshlrev_b32_e32 v14, 24, v9
	v_lshl_add_u32 v7, v7, 23, v15
	v_and_or_b32 v7, v14, s96, v7
	v_lshl_or_b32 v7, v13, 21, v7
                                        ; implicit-def: $vgpr14
.LBB2_4136:                             ;   in Loop: Header=BB2_3145 Depth=3
	s_andn2_saveexec_b64 s[70:71], s[70:71]
; %bb.4137:                             ;   in Loop: Header=BB2_3145 Depth=3
	v_mov_b32_e32 v7, -1
	v_cmp_gt_i16_sdwa vcc, sext(v9), v7 src0_sel:BYTE_0 src1_sel:DWORD
	v_mov_b32_e32 v7, 0xc7600000
	v_mov_b32_e32 v13, 0x47600000
	v_cndmask_b32_e32 v7, v7, v13, vcc
	v_cmp_eq_u32_e32 vcc, 0, v14
	v_mov_b32_e32 v13, 0x7f800001
	v_cndmask_b32_e32 v7, v13, v7, vcc
; %bb.4138:                             ;   in Loop: Header=BB2_3145 Depth=3
	s_or_b64 exec, exec, s[70:71]
.LBB2_4139:                             ;   in Loop: Header=BB2_3145 Depth=3
	s_or_b64 exec, exec, s[68:69]
.LBB2_4140:                             ;   in Loop: Header=BB2_3145 Depth=3
	s_or_b64 exec, exec, s[30:31]
	v_max_f32_e32 v7, v7, v7
	v_max_f32_e32 v0, v0, v0
	v_min_f32_e32 v7, v0, v7
.LBB2_4141:                             ;   in Loop: Header=BB2_3145 Depth=3
	v_and_b32_sdwa v0, v7, s97 dst_sel:DWORD dst_unused:UNUSED_PAD src0_sel:BYTE_3 src1_sel:DWORD
	v_and_b32_e32 v16, 0x7f800000, v7
	v_mov_b32_e32 v17, v51
	v_and_b32_e32 v14, 0x7fffff, v7
	v_mov_b32_e32 v15, v51
	v_or_b32_e32 v57, 0x7b, v0
	v_cmp_ne_u64_e32 vcc, s[52:53], v[16:17]
	s_and_saveexec_b64 s[30:31], vcc
	s_xor_b64 s[68:69], exec, s[30:31]
	s_cbranch_execz .LBB2_4151
; %bb.4142:                             ;   in Loop: Header=BB2_3145 Depth=3
	v_and_b32_e32 v16, 0x7fffffff, v7
	v_mov_b32_e32 v17, v51
	v_cmp_gt_u64_e32 vcc, s[54:55], v[16:17]
	s_and_saveexec_b64 s[70:71], vcc
	s_cbranch_execz .LBB2_4150
; %bb.4143:                             ;   in Loop: Header=BB2_3145 Depth=3
	v_cmp_ne_u32_e32 vcc, 0, v7
	v_mov_b32_e32 v57, 0
	s_and_saveexec_b64 s[72:73], vcc
	s_cbranch_execz .LBB2_4149
; %bb.4144:                             ;   in Loop: Header=BB2_3145 Depth=3
	v_bfe_u32 v7, v7, 23, 8
	v_cmp_eq_u32_e32 vcc, 0, v7
	v_add_u32_e32 v13, 0xffffff81, v7
	v_cmp_gt_u32_e64 s[30:31], s38, v7
	v_sub_u32_e32 v7, 0x71, v7
	v_mov_b32_e32 v17, 0xffffff82
	v_cndmask_b32_e64 v7, 0, v7, s[30:31]
	v_cndmask_b32_e32 v13, v13, v17, vcc
	v_mov_b32_e32 v17, 0x70
	v_or_b32_e32 v16, 0x800000, v14
	v_cndmask_b32_e32 v7, v7, v17, vcc
	v_cndmask_b32_e32 v14, v16, v14, vcc
	v_add_u32_e32 v16, 21, v7
	v_lshlrev_b64 v[16:17], v16, -1
	v_not_b32_e32 v17, v17
	v_not_b32_e32 v16, v16
	v_add_u32_e32 v24, 20, v7
	v_and_b32_e32 v17, 0, v17
	v_and_b32_e32 v16, v14, v16
	v_lshlrev_b64 v[30:31], v24, 1
	v_lshrrev_b64 v[14:15], v7, v[14:15]
	v_cmp_eq_u64_e32 vcc, v[16:17], v[30:31]
	v_lshrrev_b32_e32 v16, 23, v14
	v_add3_u32 v16, v7, v13, v16
	v_bfe_u32 v7, v14, 21, 1
	v_add_u32_e32 v7, -1, v7
	v_cndmask_b32_e32 v7, 0, v7, vcc
	v_add_u32_e32 v7, v7, v14
	v_and_b32_e32 v7, 0x1fffff, v7
	v_add_co_u32_e32 v14, vcc, v7, v14
	v_add_u32_e32 v13, 14, v16
	v_addc_co_u32_e32 v15, vcc, 0, v15, vcc
	v_cmp_ne_u32_e32 vcc, 0, v13
                                        ; implicit-def: $vgpr7
	s_and_saveexec_b64 s[30:31], vcc
	s_xor_b64 s[30:31], exec, s[30:31]
; %bb.4145:                             ;   in Loop: Header=BB2_3145 Depth=3
	v_add_u32_e32 v7, 15, v16
	v_cmp_lt_u64_e32 vcc, s[56:57], v[14:15]
	v_cndmask_b32_e32 v7, v13, v7, vcc
	v_cndmask_b32_e64 v13, 0, 1, vcc
	v_lshrrev_b64 v[14:15], v13, v[14:15]
; %bb.4146:                             ;   in Loop: Header=BB2_3145 Depth=3
	s_andn2_saveexec_b64 vcc, s[30:31]
; %bb.4147:                             ;   in Loop: Header=BB2_3145 Depth=3
	v_bfe_u32 v7, v14, 23, 1
; %bb.4148:                             ;   in Loop: Header=BB2_3145 Depth=3
	s_or_b64 exec, exec, vcc
	v_lshrrev_b64 v[14:15], 21, v[14:15]
	v_cmp_gt_i32_e32 vcc, 32, v7
	v_cndmask_b32_e32 v15, 0, v15, vcc
	v_cndmask_b32_e32 v14, 3, v14, vcc
	v_cmp_eq_u32_e32 vcc, 0, v7
	v_min_i32_e32 v7, 31, v7
	v_cmp_eq_u64_e64 s[30:31], 0, v[14:15]
	v_lshlrev_b32_e32 v7, 2, v7
	v_and_or_b32 v7, v14, 3, v7
	s_and_b64 vcc, vcc, s[30:31]
	v_cndmask_b32_e64 v7, v7, 0, vcc
	v_or_b32_e32 v57, v7, v0
.LBB2_4149:                             ;   in Loop: Header=BB2_3145 Depth=3
	s_or_b64 exec, exec, s[72:73]
.LBB2_4150:                             ;   in Loop: Header=BB2_3145 Depth=3
	s_or_b64 exec, exec, s[70:71]
                                        ; implicit-def: $vgpr7
                                        ; implicit-def: $vgpr14_vgpr15
.LBB2_4151:                             ;   in Loop: Header=BB2_3145 Depth=3
	s_andn2_saveexec_b64 s[30:31], s[68:69]
; %bb.4152:                             ;   in Loop: Header=BB2_3145 Depth=3
	v_or_b32_sdwa v0, v7, s39 dst_sel:DWORD dst_unused:UNUSED_PAD src0_sel:BYTE_3 src1_sel:DWORD
	v_cmp_eq_u64_e32 vcc, 0, v[14:15]
	v_cndmask_b32_e32 v57, v0, v57, vcc
; %bb.4153:                             ;   in Loop: Header=BB2_3145 Depth=3
	s_or_b64 exec, exec, s[30:31]
	v_lshrrev_b16_e32 v14, 8, v50
	v_lshrrev_b16_e32 v16, 8, v12
	s_and_b64 vcc, exec, s[28:29]
	v_cmp_ne_u16_e64 s[30:31], 0, v14
	s_cbranch_vccnz .LBB2_4171
; %bb.4154:                             ;   in Loop: Header=BB2_3145 Depth=3
	v_mov_b32_e32 v7, 0
	v_mov_b32_e32 v0, 0
	s_and_saveexec_b64 s[68:69], s[30:31]
	s_cbranch_execz .LBB2_4162
; %bb.4155:                             ;   in Loop: Header=BB2_3145 Depth=3
	v_cmp_ne_u16_e32 vcc, s97, v14
	v_bfrev_b32_e32 v0, 1
	s_and_saveexec_b64 s[70:71], vcc
	s_cbranch_execz .LBB2_4161
; %bb.4156:                             ;   in Loop: Header=BB2_3145 Depth=3
	v_and_b32_e32 v0, 0x7c, v14
	v_and_b32_e32 v13, 3, v14
	v_cmp_ne_u32_e32 vcc, s95, v0
                                        ; implicit-def: $vgpr0
	s_and_saveexec_b64 s[72:73], vcc
	s_xor_b64 s[72:73], exec, s[72:73]
	s_cbranch_execz .LBB2_4158
; %bb.4157:                             ;   in Loop: Header=BB2_3145 Depth=3
	v_ffbh_u32_e32 v17, v13
	v_min_u32_e32 v17, 32, v17
	v_mov_b32_e32 v15, v51
	v_subrev_u32_e32 v24, 29, v17
	v_bfe_u32 v0, v14, 2, 5
	v_lshlrev_b64 v[30:31], v24, v[14:15]
	v_sub_u32_e32 v15, 30, v17
	v_and_b32_e32 v17, 3, v30
	v_cmp_eq_u32_e32 vcc, 0, v0
	v_cndmask_b32_e32 v0, v0, v15, vcc
	v_cndmask_b32_e32 v13, v13, v17, vcc
	v_bfrev_b32_e32 v17, 28
	v_lshlrev_b32_e32 v15, 16, v50
	v_lshl_add_u32 v0, v0, 23, v17
	v_and_or_b32 v0, v15, s96, v0
	v_lshl_or_b32 v0, v13, 21, v0
                                        ; implicit-def: $vgpr13
.LBB2_4158:                             ;   in Loop: Header=BB2_3145 Depth=3
	s_andn2_saveexec_b64 s[72:73], s[72:73]
; %bb.4159:                             ;   in Loop: Header=BB2_3145 Depth=3
	v_cmp_lt_i16_e32 vcc, -1, v50
	v_mov_b32_e32 v0, 0xc7600000
	v_mov_b32_e32 v15, 0x47600000
	v_cndmask_b32_e32 v0, v0, v15, vcc
	v_cmp_eq_u32_e32 vcc, 0, v13
	v_mov_b32_e32 v13, 0x7f800001
	v_cndmask_b32_e32 v0, v13, v0, vcc
; %bb.4160:                             ;   in Loop: Header=BB2_3145 Depth=3
	s_or_b64 exec, exec, s[72:73]
.LBB2_4161:                             ;   in Loop: Header=BB2_3145 Depth=3
	s_or_b64 exec, exec, s[70:71]
.LBB2_4162:                             ;   in Loop: Header=BB2_3145 Depth=3
	s_or_b64 exec, exec, s[68:69]
	v_cmp_ne_u16_e32 vcc, 0, v16
	s_and_saveexec_b64 s[68:69], vcc
	s_cbranch_execz .LBB2_4170
; %bb.4163:                             ;   in Loop: Header=BB2_3145 Depth=3
	v_cmp_ne_u16_e32 vcc, s97, v16
	v_bfrev_b32_e32 v7, 1
	s_and_saveexec_b64 s[70:71], vcc
	s_cbranch_execz .LBB2_4169
; %bb.4164:                             ;   in Loop: Header=BB2_3145 Depth=3
	v_and_b32_e32 v7, 0x7c, v16
	v_and_b32_e32 v13, 3, v16
	v_cmp_ne_u32_e32 vcc, s95, v7
                                        ; implicit-def: $vgpr7
	s_and_saveexec_b64 s[72:73], vcc
	s_xor_b64 s[72:73], exec, s[72:73]
	s_cbranch_execz .LBB2_4166
; %bb.4165:                             ;   in Loop: Header=BB2_3145 Depth=3
	v_ffbh_u32_e32 v15, v13
	v_min_u32_e32 v15, 32, v15
	v_mov_b32_e32 v17, v51
	v_subrev_u32_e32 v24, 29, v15
	v_bfe_u32 v7, v16, 2, 5
	v_lshlrev_b64 v[30:31], v24, v[16:17]
	v_sub_u32_e32 v15, 30, v15
	v_and_b32_e32 v17, 3, v30
	v_cmp_eq_u32_e32 vcc, 0, v7
	v_cndmask_b32_e32 v7, v7, v15, vcc
	v_cndmask_b32_e32 v13, v13, v17, vcc
	v_bfrev_b32_e32 v17, 28
	v_lshlrev_b32_e32 v15, 16, v12
	v_lshl_add_u32 v7, v7, 23, v17
	v_and_or_b32 v7, v15, s96, v7
	v_lshl_or_b32 v7, v13, 21, v7
                                        ; implicit-def: $vgpr13
.LBB2_4166:                             ;   in Loop: Header=BB2_3145 Depth=3
	s_andn2_saveexec_b64 s[72:73], s[72:73]
; %bb.4167:                             ;   in Loop: Header=BB2_3145 Depth=3
	v_cmp_lt_i16_e32 vcc, -1, v12
	v_mov_b32_e32 v7, 0xc7600000
	v_mov_b32_e32 v15, 0x47600000
	v_cndmask_b32_e32 v7, v7, v15, vcc
	v_cmp_eq_u32_e32 vcc, 0, v13
	v_mov_b32_e32 v13, 0x7f800001
	v_cndmask_b32_e32 v7, v13, v7, vcc
; %bb.4168:                             ;   in Loop: Header=BB2_3145 Depth=3
	s_or_b64 exec, exec, s[72:73]
.LBB2_4169:                             ;   in Loop: Header=BB2_3145 Depth=3
	s_or_b64 exec, exec, s[70:71]
.LBB2_4170:                             ;   in Loop: Header=BB2_3145 Depth=3
	s_or_b64 exec, exec, s[68:69]
	v_max_f32_e32 v7, v7, v7
	v_max_f32_e32 v0, v0, v0
	;; [unrolled: 1-line block ×3, first 2 shown]
	s_branch .LBB2_4189
.LBB2_4171:                             ;   in Loop: Header=BB2_3145 Depth=3
                                        ; implicit-def: $vgpr7
	s_cbranch_execz .LBB2_4189
; %bb.4172:                             ;   in Loop: Header=BB2_3145 Depth=3
	v_mov_b32_e32 v7, 0
	v_mov_b32_e32 v0, 0
	s_and_saveexec_b64 s[68:69], s[30:31]
	s_cbranch_execz .LBB2_4180
; %bb.4173:                             ;   in Loop: Header=BB2_3145 Depth=3
	v_cmp_ne_u16_e32 vcc, s97, v14
	v_bfrev_b32_e32 v0, 1
	s_and_saveexec_b64 s[30:31], vcc
	s_cbranch_execz .LBB2_4179
; %bb.4174:                             ;   in Loop: Header=BB2_3145 Depth=3
	v_and_b32_e32 v0, 0x7c, v14
	v_and_b32_e32 v13, 3, v14
	v_cmp_ne_u32_e32 vcc, s95, v0
                                        ; implicit-def: $vgpr0
	s_and_saveexec_b64 s[70:71], vcc
	s_xor_b64 s[70:71], exec, s[70:71]
	s_cbranch_execz .LBB2_4176
; %bb.4175:                             ;   in Loop: Header=BB2_3145 Depth=3
	v_ffbh_u32_e32 v17, v13
	v_min_u32_e32 v17, 32, v17
	v_mov_b32_e32 v15, v51
	v_subrev_u32_e32 v24, 29, v17
	v_bfe_u32 v0, v14, 2, 5
	v_lshlrev_b64 v[14:15], v24, v[14:15]
	v_sub_u32_e32 v15, 30, v17
	v_cmp_eq_u32_e32 vcc, 0, v0
	v_and_b32_e32 v14, 3, v14
	v_cndmask_b32_e32 v0, v0, v15, vcc
	v_bfrev_b32_e32 v15, 28
	v_cndmask_b32_e32 v13, v13, v14, vcc
	v_lshlrev_b32_e32 v14, 16, v50
	v_lshl_add_u32 v0, v0, 23, v15
	v_and_or_b32 v0, v14, s96, v0
	v_lshl_or_b32 v0, v13, 21, v0
                                        ; implicit-def: $vgpr13
.LBB2_4176:                             ;   in Loop: Header=BB2_3145 Depth=3
	s_andn2_saveexec_b64 s[70:71], s[70:71]
; %bb.4177:                             ;   in Loop: Header=BB2_3145 Depth=3
	v_cmp_lt_i16_e32 vcc, -1, v50
	v_mov_b32_e32 v0, 0xc7600000
	v_mov_b32_e32 v14, 0x47600000
	v_cndmask_b32_e32 v0, v0, v14, vcc
	v_cmp_eq_u32_e32 vcc, 0, v13
	v_mov_b32_e32 v13, 0x7f800001
	v_cndmask_b32_e32 v0, v13, v0, vcc
; %bb.4178:                             ;   in Loop: Header=BB2_3145 Depth=3
	s_or_b64 exec, exec, s[70:71]
.LBB2_4179:                             ;   in Loop: Header=BB2_3145 Depth=3
	s_or_b64 exec, exec, s[30:31]
.LBB2_4180:                             ;   in Loop: Header=BB2_3145 Depth=3
	s_or_b64 exec, exec, s[68:69]
	v_cmp_ne_u16_e32 vcc, 0, v16
	s_and_saveexec_b64 s[30:31], vcc
	s_cbranch_execz .LBB2_4188
; %bb.4181:                             ;   in Loop: Header=BB2_3145 Depth=3
	v_cmp_ne_u16_e32 vcc, s97, v16
	v_bfrev_b32_e32 v7, 1
	s_and_saveexec_b64 s[68:69], vcc
	s_cbranch_execz .LBB2_4187
; %bb.4182:                             ;   in Loop: Header=BB2_3145 Depth=3
	v_and_b32_e32 v7, 0x7c, v16
	v_and_b32_e32 v14, 3, v16
	v_cmp_ne_u32_e32 vcc, s95, v7
                                        ; implicit-def: $vgpr7
	s_and_saveexec_b64 s[70:71], vcc
	s_xor_b64 s[70:71], exec, s[70:71]
	s_cbranch_execz .LBB2_4184
; %bb.4183:                             ;   in Loop: Header=BB2_3145 Depth=3
	v_ffbh_u32_e32 v13, v14
	v_min_u32_e32 v13, 32, v13
	v_mov_b32_e32 v17, v51
	v_subrev_u32_e32 v15, 29, v13
	v_bfe_u32 v7, v16, 2, 5
	v_lshlrev_b64 v[16:17], v15, v[16:17]
	v_sub_u32_e32 v13, 30, v13
	v_and_b32_e32 v15, 3, v16
	v_cmp_eq_u32_e32 vcc, 0, v7
	v_cndmask_b32_e32 v7, v7, v13, vcc
	v_cndmask_b32_e32 v13, v14, v15, vcc
	v_bfrev_b32_e32 v14, 28
	v_lshlrev_b32_e32 v12, 16, v12
	v_lshl_add_u32 v7, v7, 23, v14
	v_and_or_b32 v7, v12, s96, v7
	v_lshl_or_b32 v7, v13, 21, v7
                                        ; implicit-def: $vgpr14
                                        ; implicit-def: $vgpr12_vgpr13
.LBB2_4184:                             ;   in Loop: Header=BB2_3145 Depth=3
	s_andn2_saveexec_b64 s[70:71], s[70:71]
; %bb.4185:                             ;   in Loop: Header=BB2_3145 Depth=3
	v_cmp_lt_i16_e32 vcc, -1, v12
	v_mov_b32_e32 v7, 0xc7600000
	v_mov_b32_e32 v12, 0x47600000
	v_cndmask_b32_e32 v7, v7, v12, vcc
	v_cmp_eq_u32_e32 vcc, 0, v14
	v_mov_b32_e32 v12, 0x7f800001
	v_cndmask_b32_e32 v7, v12, v7, vcc
; %bb.4186:                             ;   in Loop: Header=BB2_3145 Depth=3
	s_or_b64 exec, exec, s[70:71]
.LBB2_4187:                             ;   in Loop: Header=BB2_3145 Depth=3
	s_or_b64 exec, exec, s[68:69]
.LBB2_4188:                             ;   in Loop: Header=BB2_3145 Depth=3
	s_or_b64 exec, exec, s[30:31]
	v_max_f32_e32 v7, v7, v7
	v_max_f32_e32 v0, v0, v0
	v_min_f32_e32 v7, v0, v7
.LBB2_4189:                             ;   in Loop: Header=BB2_3145 Depth=3
	v_and_b32_sdwa v0, v7, s97 dst_sel:DWORD dst_unused:UNUSED_PAD src0_sel:BYTE_3 src1_sel:DWORD
	v_and_b32_e32 v12, 0x7f800000, v7
	v_mov_b32_e32 v13, v51
	v_and_b32_e32 v50, 0x7fffff, v7
	v_or_b32_e32 v16, 0x7b, v0
	v_cmp_ne_u64_e32 vcc, s[52:53], v[12:13]
	s_and_saveexec_b64 s[30:31], vcc
	s_xor_b64 s[68:69], exec, s[30:31]
	s_cbranch_execz .LBB2_4199
; %bb.4190:                             ;   in Loop: Header=BB2_3145 Depth=3
	v_and_b32_e32 v12, 0x7fffffff, v7
	v_mov_b32_e32 v13, v51
	v_cmp_gt_u64_e32 vcc, s[54:55], v[12:13]
	s_and_saveexec_b64 s[70:71], vcc
	s_cbranch_execz .LBB2_4198
; %bb.4191:                             ;   in Loop: Header=BB2_3145 Depth=3
	v_cmp_ne_u32_e32 vcc, 0, v7
	v_mov_b32_e32 v16, 0
	s_and_saveexec_b64 s[72:73], vcc
	s_cbranch_execz .LBB2_4197
; %bb.4192:                             ;   in Loop: Header=BB2_3145 Depth=3
	v_bfe_u32 v7, v7, 23, 8
	v_cmp_eq_u32_e32 vcc, 0, v7
	v_add_u32_e32 v12, 0xffffff81, v7
	v_cmp_gt_u32_e64 s[30:31], s38, v7
	v_sub_u32_e32 v7, 0x71, v7
	v_mov_b32_e32 v14, 0xffffff82
	v_cndmask_b32_e64 v7, 0, v7, s[30:31]
	v_cndmask_b32_e32 v16, v12, v14, vcc
	v_mov_b32_e32 v12, 0x70
	v_cndmask_b32_e32 v7, v7, v12, vcc
	v_or_b32_e32 v13, 0x800000, v50
	v_add_u32_e32 v12, 21, v7
	v_cndmask_b32_e32 v50, v13, v50, vcc
	v_lshlrev_b64 v[12:13], v12, -1
	v_not_b32_e32 v13, v13
	v_not_b32_e32 v12, v12
	v_add_u32_e32 v14, 20, v7
	v_and_b32_e32 v13, 0, v13
	v_and_b32_e32 v12, v50, v12
	v_lshlrev_b64 v[14:15], v14, 1
	v_cmp_eq_u64_e32 vcc, v[12:13], v[14:15]
	v_lshrrev_b64 v[12:13], v7, v[50:51]
	v_lshrrev_b32_e32 v14, 23, v12
	v_add3_u32 v15, v7, v16, v14
	v_bfe_u32 v7, v12, 21, 1
	v_add_u32_e32 v7, -1, v7
	v_cndmask_b32_e32 v7, 0, v7, vcc
	v_add_u32_e32 v7, v7, v12
	v_and_b32_e32 v7, 0x1fffff, v7
	v_add_co_u32_e32 v12, vcc, v7, v12
	v_add_u32_e32 v14, 14, v15
	v_addc_co_u32_e32 v13, vcc, 0, v13, vcc
	v_cmp_ne_u32_e32 vcc, 0, v14
                                        ; implicit-def: $vgpr7
	s_and_saveexec_b64 s[30:31], vcc
	s_xor_b64 s[30:31], exec, s[30:31]
; %bb.4193:                             ;   in Loop: Header=BB2_3145 Depth=3
	v_add_u32_e32 v7, 15, v15
	v_cmp_lt_u64_e32 vcc, s[56:57], v[12:13]
	v_cndmask_b32_e32 v7, v14, v7, vcc
	v_cndmask_b32_e64 v14, 0, 1, vcc
	v_lshrrev_b64 v[12:13], v14, v[12:13]
; %bb.4194:                             ;   in Loop: Header=BB2_3145 Depth=3
	s_andn2_saveexec_b64 vcc, s[30:31]
; %bb.4195:                             ;   in Loop: Header=BB2_3145 Depth=3
	v_bfe_u32 v7, v12, 23, 1
; %bb.4196:                             ;   in Loop: Header=BB2_3145 Depth=3
	s_or_b64 exec, exec, vcc
	v_lshrrev_b64 v[12:13], 21, v[12:13]
	v_cmp_gt_i32_e32 vcc, 32, v7
	v_cndmask_b32_e32 v13, 0, v13, vcc
	v_cndmask_b32_e32 v12, 3, v12, vcc
	v_cmp_eq_u32_e32 vcc, 0, v7
	v_min_i32_e32 v7, 31, v7
	v_cmp_eq_u64_e64 s[30:31], 0, v[12:13]
	v_lshlrev_b32_e32 v7, 2, v7
	v_and_or_b32 v7, v12, 3, v7
	s_and_b64 vcc, vcc, s[30:31]
	v_cndmask_b32_e64 v7, v7, 0, vcc
	v_or_b32_e32 v16, v7, v0
.LBB2_4197:                             ;   in Loop: Header=BB2_3145 Depth=3
	s_or_b64 exec, exec, s[72:73]
.LBB2_4198:                             ;   in Loop: Header=BB2_3145 Depth=3
	s_or_b64 exec, exec, s[70:71]
                                        ; implicit-def: $vgpr7
.LBB2_4199:                             ;   in Loop: Header=BB2_3145 Depth=3
	s_andn2_saveexec_b64 s[30:31], s[68:69]
; %bb.4200:                             ;   in Loop: Header=BB2_3145 Depth=3
	v_or_b32_sdwa v0, v7, s39 dst_sel:DWORD dst_unused:UNUSED_PAD src0_sel:BYTE_3 src1_sel:DWORD
	v_cmp_eq_u64_e32 vcc, 0, v[50:51]
	v_cndmask_b32_e32 v16, v0, v16, vcc
; %bb.4201:                             ;   in Loop: Header=BB2_3145 Depth=3
	s_or_b64 exec, exec, s[30:31]
	v_lshrrev_b32_e32 v14, 16, v27
	v_lshrrev_b32_e32 v12, 16, v9
	s_and_b64 vcc, exec, s[28:29]
	v_cmp_ne_u16_sdwa s[30:31], v14, v51 src0_sel:BYTE_0 src1_sel:DWORD
	s_cbranch_vccnz .LBB2_4219
; %bb.4202:                             ;   in Loop: Header=BB2_3145 Depth=3
	v_mov_b32_e32 v7, 0
	v_mov_b32_e32 v0, 0
	s_and_saveexec_b64 s[68:69], s[30:31]
	s_cbranch_execz .LBB2_4210
; %bb.4203:                             ;   in Loop: Header=BB2_3145 Depth=3
	v_cmp_ne_u16_sdwa vcc, v14, s97 src0_sel:BYTE_0 src1_sel:DWORD
	v_bfrev_b32_e32 v0, 1
	s_and_saveexec_b64 s[70:71], vcc
	s_cbranch_execz .LBB2_4209
; %bb.4204:                             ;   in Loop: Header=BB2_3145 Depth=3
	v_and_b32_e32 v0, 0x7c0000, v27
	v_bfe_u32 v13, v27, 16, 2
	v_cmp_ne_u32_e32 vcc, s36, v0
                                        ; implicit-def: $vgpr0
	s_and_saveexec_b64 s[72:73], vcc
	s_xor_b64 s[72:73], exec, s[72:73]
	s_cbranch_execz .LBB2_4206
; %bb.4205:                             ;   in Loop: Header=BB2_3145 Depth=3
	v_ffbh_u32_e32 v15, v13
	v_min_u32_e32 v15, 32, v15
	v_subrev_u32_e32 v17, 29, v15
	v_bfe_u32 v0, v27, 18, 5
	v_lshlrev_b64 v[30:31], v17, v[14:15]
	v_sub_u32_e32 v15, 30, v15
	v_and_b32_e32 v17, 3, v30
	v_cmp_eq_u32_e32 vcc, 0, v0
	v_cndmask_b32_e32 v0, v0, v15, vcc
	v_cndmask_b32_e32 v13, v13, v17, vcc
	v_bfrev_b32_e32 v17, 28
	v_lshlrev_b32_e32 v15, 24, v14
	v_lshl_add_u32 v0, v0, 23, v17
	v_and_or_b32 v0, v15, s96, v0
	v_lshl_or_b32 v0, v13, 21, v0
                                        ; implicit-def: $vgpr13
.LBB2_4206:                             ;   in Loop: Header=BB2_3145 Depth=3
	s_andn2_saveexec_b64 s[72:73], s[72:73]
; %bb.4207:                             ;   in Loop: Header=BB2_3145 Depth=3
	v_mov_b32_e32 v0, -1
	v_cmp_gt_i16_sdwa vcc, sext(v14), v0 src0_sel:BYTE_0 src1_sel:DWORD
	v_mov_b32_e32 v0, 0xc7600000
	v_mov_b32_e32 v15, 0x47600000
	v_cndmask_b32_e32 v0, v0, v15, vcc
	v_cmp_eq_u32_e32 vcc, 0, v13
	v_mov_b32_e32 v13, 0x7f800001
	v_cndmask_b32_e32 v0, v13, v0, vcc
; %bb.4208:                             ;   in Loop: Header=BB2_3145 Depth=3
	s_or_b64 exec, exec, s[72:73]
.LBB2_4209:                             ;   in Loop: Header=BB2_3145 Depth=3
	s_or_b64 exec, exec, s[70:71]
.LBB2_4210:                             ;   in Loop: Header=BB2_3145 Depth=3
	s_or_b64 exec, exec, s[68:69]
	v_cmp_ne_u16_sdwa vcc, v12, v51 src0_sel:BYTE_0 src1_sel:DWORD
	s_and_saveexec_b64 s[68:69], vcc
	s_cbranch_execz .LBB2_4218
; %bb.4211:                             ;   in Loop: Header=BB2_3145 Depth=3
	v_cmp_ne_u16_sdwa vcc, v12, s97 src0_sel:BYTE_0 src1_sel:DWORD
	v_bfrev_b32_e32 v7, 1
	s_and_saveexec_b64 s[70:71], vcc
	s_cbranch_execz .LBB2_4217
; %bb.4212:                             ;   in Loop: Header=BB2_3145 Depth=3
	v_and_b32_e32 v7, 0x7c0000, v9
	v_bfe_u32 v13, v9, 16, 2
	v_cmp_ne_u32_e32 vcc, s36, v7
                                        ; implicit-def: $vgpr7
	s_and_saveexec_b64 s[72:73], vcc
	s_xor_b64 s[72:73], exec, s[72:73]
	s_cbranch_execz .LBB2_4214
; %bb.4213:                             ;   in Loop: Header=BB2_3145 Depth=3
	v_ffbh_u32_e32 v15, v13
	v_min_u32_e32 v15, 32, v15
	v_subrev_u32_e32 v17, 29, v15
	v_bfe_u32 v7, v9, 18, 5
	v_lshlrev_b64 v[30:31], v17, v[12:13]
	v_sub_u32_e32 v15, 30, v15
	v_and_b32_e32 v17, 3, v30
	v_cmp_eq_u32_e32 vcc, 0, v7
	v_cndmask_b32_e32 v7, v7, v15, vcc
	v_cndmask_b32_e32 v13, v13, v17, vcc
	v_bfrev_b32_e32 v17, 28
	v_lshlrev_b32_e32 v15, 24, v12
	v_lshl_add_u32 v7, v7, 23, v17
	v_and_or_b32 v7, v15, s96, v7
	v_lshl_or_b32 v7, v13, 21, v7
                                        ; implicit-def: $vgpr13
.LBB2_4214:                             ;   in Loop: Header=BB2_3145 Depth=3
	s_andn2_saveexec_b64 s[72:73], s[72:73]
; %bb.4215:                             ;   in Loop: Header=BB2_3145 Depth=3
	v_mov_b32_e32 v7, -1
	v_cmp_gt_i16_sdwa vcc, sext(v12), v7 src0_sel:BYTE_0 src1_sel:DWORD
	v_mov_b32_e32 v7, 0xc7600000
	v_mov_b32_e32 v15, 0x47600000
	v_cndmask_b32_e32 v7, v7, v15, vcc
	v_cmp_eq_u32_e32 vcc, 0, v13
	v_mov_b32_e32 v13, 0x7f800001
	v_cndmask_b32_e32 v7, v13, v7, vcc
; %bb.4216:                             ;   in Loop: Header=BB2_3145 Depth=3
	s_or_b64 exec, exec, s[72:73]
.LBB2_4217:                             ;   in Loop: Header=BB2_3145 Depth=3
	s_or_b64 exec, exec, s[70:71]
.LBB2_4218:                             ;   in Loop: Header=BB2_3145 Depth=3
	s_or_b64 exec, exec, s[68:69]
	v_max_f32_e32 v7, v7, v7
	v_max_f32_e32 v0, v0, v0
	v_max_f32_e32 v7, v0, v7
	s_branch .LBB2_4237
.LBB2_4219:                             ;   in Loop: Header=BB2_3145 Depth=3
                                        ; implicit-def: $vgpr7
	s_cbranch_execz .LBB2_4237
; %bb.4220:                             ;   in Loop: Header=BB2_3145 Depth=3
	v_mov_b32_e32 v7, 0
	v_mov_b32_e32 v0, 0
	s_and_saveexec_b64 s[68:69], s[30:31]
	s_cbranch_execz .LBB2_4228
; %bb.4221:                             ;   in Loop: Header=BB2_3145 Depth=3
	v_cmp_ne_u16_sdwa vcc, v14, s97 src0_sel:BYTE_0 src1_sel:DWORD
	v_bfrev_b32_e32 v0, 1
	s_and_saveexec_b64 s[30:31], vcc
	s_cbranch_execz .LBB2_4227
; %bb.4222:                             ;   in Loop: Header=BB2_3145 Depth=3
	v_and_b32_e32 v0, 0x7c0000, v27
	v_bfe_u32 v13, v27, 16, 2
	v_cmp_ne_u32_e32 vcc, s36, v0
                                        ; implicit-def: $vgpr0
	s_and_saveexec_b64 s[70:71], vcc
	s_xor_b64 s[70:71], exec, s[70:71]
	s_cbranch_execz .LBB2_4224
; %bb.4223:                             ;   in Loop: Header=BB2_3145 Depth=3
	v_ffbh_u32_e32 v15, v13
	v_min_u32_e32 v15, 32, v15
	v_bfe_u32 v0, v27, 18, 5
	v_subrev_u32_e32 v17, 29, v15
	v_lshlrev_b64 v[30:31], v17, v[14:15]
	v_sub_u32_e32 v15, 30, v15
	v_cmp_eq_u32_e32 vcc, 0, v0
	v_cndmask_b32_e32 v0, v0, v15, vcc
	v_bfrev_b32_e32 v15, 28
	v_and_b32_e32 v17, 3, v30
	v_lshlrev_b32_e32 v14, 24, v14
	v_lshl_add_u32 v0, v0, 23, v15
	v_cndmask_b32_e32 v13, v13, v17, vcc
	v_and_or_b32 v0, v14, s96, v0
	v_lshl_or_b32 v0, v13, 21, v0
                                        ; implicit-def: $vgpr13
                                        ; implicit-def: $vgpr14
.LBB2_4224:                             ;   in Loop: Header=BB2_3145 Depth=3
	s_andn2_saveexec_b64 s[70:71], s[70:71]
; %bb.4225:                             ;   in Loop: Header=BB2_3145 Depth=3
	v_mov_b32_e32 v0, -1
	v_cmp_gt_i16_sdwa vcc, sext(v14), v0 src0_sel:BYTE_0 src1_sel:DWORD
	v_mov_b32_e32 v0, 0xc7600000
	v_mov_b32_e32 v14, 0x47600000
	v_cndmask_b32_e32 v0, v0, v14, vcc
	v_cmp_eq_u32_e32 vcc, 0, v13
	v_mov_b32_e32 v13, 0x7f800001
	v_cndmask_b32_e32 v0, v13, v0, vcc
; %bb.4226:                             ;   in Loop: Header=BB2_3145 Depth=3
	s_or_b64 exec, exec, s[70:71]
.LBB2_4227:                             ;   in Loop: Header=BB2_3145 Depth=3
	s_or_b64 exec, exec, s[30:31]
.LBB2_4228:                             ;   in Loop: Header=BB2_3145 Depth=3
	s_or_b64 exec, exec, s[68:69]
	v_cmp_ne_u16_sdwa vcc, v12, v51 src0_sel:BYTE_0 src1_sel:DWORD
	s_and_saveexec_b64 s[30:31], vcc
	s_cbranch_execz .LBB2_4236
; %bb.4229:                             ;   in Loop: Header=BB2_3145 Depth=3
	v_cmp_ne_u16_sdwa vcc, v12, s97 src0_sel:BYTE_0 src1_sel:DWORD
	v_bfrev_b32_e32 v7, 1
	s_and_saveexec_b64 s[68:69], vcc
	s_cbranch_execz .LBB2_4235
; %bb.4230:                             ;   in Loop: Header=BB2_3145 Depth=3
	v_and_b32_e32 v7, 0x7c0000, v9
	v_bfe_u32 v13, v9, 16, 2
	v_cmp_ne_u32_e32 vcc, s36, v7
                                        ; implicit-def: $vgpr7
	s_and_saveexec_b64 s[70:71], vcc
	s_xor_b64 s[70:71], exec, s[70:71]
	s_cbranch_execz .LBB2_4232
; %bb.4231:                             ;   in Loop: Header=BB2_3145 Depth=3
	v_ffbh_u32_e32 v14, v13
	v_min_u32_e32 v17, 32, v14
	v_subrev_u32_e32 v14, 29, v17
	v_bfe_u32 v7, v9, 18, 5
	v_lshlrev_b64 v[14:15], v14, v[12:13]
	v_sub_u32_e32 v15, 30, v17
	v_and_b32_e32 v14, 3, v14
	v_cmp_eq_u32_e32 vcc, 0, v7
	v_cndmask_b32_e32 v7, v7, v15, vcc
	v_cndmask_b32_e32 v13, v13, v14, vcc
	v_bfrev_b32_e32 v14, 28
	v_lshlrev_b32_e32 v12, 24, v12
	v_lshl_add_u32 v7, v7, 23, v14
	v_and_or_b32 v7, v12, s96, v7
	v_lshl_or_b32 v7, v13, 21, v7
                                        ; implicit-def: $vgpr13
                                        ; implicit-def: $vgpr12
.LBB2_4232:                             ;   in Loop: Header=BB2_3145 Depth=3
	s_andn2_saveexec_b64 s[70:71], s[70:71]
; %bb.4233:                             ;   in Loop: Header=BB2_3145 Depth=3
	v_mov_b32_e32 v7, -1
	v_cmp_gt_i16_sdwa vcc, sext(v12), v7 src0_sel:BYTE_0 src1_sel:DWORD
	v_mov_b32_e32 v7, 0xc7600000
	v_mov_b32_e32 v12, 0x47600000
	v_cndmask_b32_e32 v7, v7, v12, vcc
	v_cmp_eq_u32_e32 vcc, 0, v13
	v_mov_b32_e32 v12, 0x7f800001
	v_cndmask_b32_e32 v7, v12, v7, vcc
; %bb.4234:                             ;   in Loop: Header=BB2_3145 Depth=3
	s_or_b64 exec, exec, s[70:71]
.LBB2_4235:                             ;   in Loop: Header=BB2_3145 Depth=3
	s_or_b64 exec, exec, s[68:69]
.LBB2_4236:                             ;   in Loop: Header=BB2_3145 Depth=3
	s_or_b64 exec, exec, s[30:31]
	v_max_f32_e32 v7, v7, v7
	v_max_f32_e32 v0, v0, v0
	v_min_f32_e32 v7, v0, v7
.LBB2_4237:                             ;   in Loop: Header=BB2_3145 Depth=3
	v_and_b32_sdwa v0, v7, s97 dst_sel:DWORD dst_unused:UNUSED_PAD src0_sel:BYTE_3 src1_sel:DWORD
	v_and_b32_e32 v12, 0x7f800000, v7
	v_mov_b32_e32 v13, v51
	v_and_b32_e32 v50, 0x7fffff, v7
	v_or_b32_e32 v17, 0x7b, v0
	v_cmp_ne_u64_e32 vcc, s[52:53], v[12:13]
	s_and_saveexec_b64 s[30:31], vcc
	s_xor_b64 s[68:69], exec, s[30:31]
	s_cbranch_execz .LBB2_4247
; %bb.4238:                             ;   in Loop: Header=BB2_3145 Depth=3
	v_and_b32_e32 v12, 0x7fffffff, v7
	v_mov_b32_e32 v13, v51
	v_cmp_gt_u64_e32 vcc, s[54:55], v[12:13]
	s_and_saveexec_b64 s[70:71], vcc
	s_cbranch_execz .LBB2_4246
; %bb.4239:                             ;   in Loop: Header=BB2_3145 Depth=3
	v_cmp_ne_u32_e32 vcc, 0, v7
	v_mov_b32_e32 v17, 0
	s_and_saveexec_b64 s[72:73], vcc
	s_cbranch_execz .LBB2_4245
; %bb.4240:                             ;   in Loop: Header=BB2_3145 Depth=3
	v_bfe_u32 v7, v7, 23, 8
	v_cmp_eq_u32_e32 vcc, 0, v7
	v_add_u32_e32 v12, 0xffffff81, v7
	v_cmp_gt_u32_e64 s[30:31], s38, v7
	v_sub_u32_e32 v7, 0x71, v7
	v_mov_b32_e32 v14, 0xffffff82
	v_cndmask_b32_e64 v7, 0, v7, s[30:31]
	v_cndmask_b32_e32 v17, v12, v14, vcc
	v_mov_b32_e32 v12, 0x70
	v_cndmask_b32_e32 v7, v7, v12, vcc
	v_or_b32_e32 v13, 0x800000, v50
	v_add_u32_e32 v12, 21, v7
	v_cndmask_b32_e32 v50, v13, v50, vcc
	v_lshlrev_b64 v[12:13], v12, -1
	v_not_b32_e32 v13, v13
	v_not_b32_e32 v12, v12
	v_add_u32_e32 v14, 20, v7
	v_and_b32_e32 v13, 0, v13
	v_and_b32_e32 v12, v50, v12
	v_lshlrev_b64 v[14:15], v14, 1
	v_cmp_eq_u64_e32 vcc, v[12:13], v[14:15]
	v_lshrrev_b64 v[12:13], v7, v[50:51]
	v_lshrrev_b32_e32 v14, 23, v12
	v_add3_u32 v15, v7, v17, v14
	v_bfe_u32 v7, v12, 21, 1
	v_add_u32_e32 v7, -1, v7
	v_cndmask_b32_e32 v7, 0, v7, vcc
	v_add_u32_e32 v7, v7, v12
	v_and_b32_e32 v7, 0x1fffff, v7
	v_add_co_u32_e32 v12, vcc, v7, v12
	v_add_u32_e32 v14, 14, v15
	v_addc_co_u32_e32 v13, vcc, 0, v13, vcc
	v_cmp_ne_u32_e32 vcc, 0, v14
                                        ; implicit-def: $vgpr7
	s_and_saveexec_b64 s[30:31], vcc
	s_xor_b64 s[30:31], exec, s[30:31]
; %bb.4241:                             ;   in Loop: Header=BB2_3145 Depth=3
	v_add_u32_e32 v7, 15, v15
	v_cmp_lt_u64_e32 vcc, s[56:57], v[12:13]
	v_cndmask_b32_e32 v7, v14, v7, vcc
	v_cndmask_b32_e64 v14, 0, 1, vcc
	v_lshrrev_b64 v[12:13], v14, v[12:13]
; %bb.4242:                             ;   in Loop: Header=BB2_3145 Depth=3
	s_andn2_saveexec_b64 vcc, s[30:31]
; %bb.4243:                             ;   in Loop: Header=BB2_3145 Depth=3
	v_bfe_u32 v7, v12, 23, 1
; %bb.4244:                             ;   in Loop: Header=BB2_3145 Depth=3
	s_or_b64 exec, exec, vcc
	v_lshrrev_b64 v[12:13], 21, v[12:13]
	v_cmp_gt_i32_e32 vcc, 32, v7
	v_cndmask_b32_e32 v13, 0, v13, vcc
	v_cndmask_b32_e32 v12, 3, v12, vcc
	v_cmp_eq_u32_e32 vcc, 0, v7
	v_min_i32_e32 v7, 31, v7
	v_cmp_eq_u64_e64 s[30:31], 0, v[12:13]
	v_lshlrev_b32_e32 v7, 2, v7
	v_and_or_b32 v7, v12, 3, v7
	s_and_b64 vcc, vcc, s[30:31]
	v_cndmask_b32_e64 v7, v7, 0, vcc
	v_or_b32_e32 v17, v7, v0
.LBB2_4245:                             ;   in Loop: Header=BB2_3145 Depth=3
	s_or_b64 exec, exec, s[72:73]
.LBB2_4246:                             ;   in Loop: Header=BB2_3145 Depth=3
	s_or_b64 exec, exec, s[70:71]
                                        ; implicit-def: $vgpr7
.LBB2_4247:                             ;   in Loop: Header=BB2_3145 Depth=3
	s_andn2_saveexec_b64 s[30:31], s[68:69]
; %bb.4248:                             ;   in Loop: Header=BB2_3145 Depth=3
	v_or_b32_sdwa v0, v7, s39 dst_sel:DWORD dst_unused:UNUSED_PAD src0_sel:BYTE_3 src1_sel:DWORD
	v_cmp_eq_u64_e32 vcc, 0, v[50:51]
	v_cndmask_b32_e32 v17, v0, v17, vcc
; %bb.4249:                             ;   in Loop: Header=BB2_3145 Depth=3
	s_or_b64 exec, exec, s[30:31]
	v_lshrrev_b32_e32 v14, 24, v27
	v_lshrrev_b32_e32 v12, 24, v9
	s_and_b64 vcc, exec, s[28:29]
	v_cmp_lt_u64_e64 s[30:31], s[42:43], v[26:27]
	s_cbranch_vccnz .LBB2_4267
; %bb.4250:                             ;   in Loop: Header=BB2_3145 Depth=3
	v_mov_b32_e32 v7, 0
	v_mov_b32_e32 v0, 0
	s_and_saveexec_b64 s[68:69], s[30:31]
	s_cbranch_execz .LBB2_4258
; %bb.4251:                             ;   in Loop: Header=BB2_3145 Depth=3
	v_cmp_ne_u32_e32 vcc, s97, v14
	v_bfrev_b32_e32 v0, 1
	s_and_saveexec_b64 s[70:71], vcc
	s_cbranch_execz .LBB2_4257
; %bb.4252:                             ;   in Loop: Header=BB2_3145 Depth=3
	v_and_b32_e32 v0, 0x7c000000, v27
	v_bfe_u32 v13, v27, 24, 2
	v_cmp_ne_u32_e32 vcc, s37, v0
                                        ; implicit-def: $vgpr0
	s_and_saveexec_b64 s[72:73], vcc
	s_xor_b64 s[72:73], exec, s[72:73]
	s_cbranch_execz .LBB2_4254
; %bb.4253:                             ;   in Loop: Header=BB2_3145 Depth=3
	v_ffbh_u32_e32 v15, v13
	v_min_u32_e32 v15, 32, v15
	v_bfe_u32 v0, v27, 26, 5
	v_subrev_u32_e32 v24, 29, v15
	v_lshlrev_b64 v[30:31], v24, v[14:15]
	v_sub_u32_e32 v15, 30, v15
	v_cmp_eq_u32_e32 vcc, 0, v0
	v_cndmask_b32_e32 v0, v0, v15, vcc
	v_bfrev_b32_e32 v15, 28
	v_and_b32_e32 v24, 3, v30
	v_lshl_add_u32 v0, v0, 23, v15
	v_cndmask_b32_e32 v13, v13, v24, vcc
	v_and_or_b32 v0, v27, s96, v0
	v_lshl_or_b32 v0, v13, 21, v0
                                        ; implicit-def: $vgpr13
.LBB2_4254:                             ;   in Loop: Header=BB2_3145 Depth=3
	s_andn2_saveexec_b64 s[72:73], s[72:73]
; %bb.4255:                             ;   in Loop: Header=BB2_3145 Depth=3
	v_cmp_lt_i64_e32 vcc, -1, v[26:27]
	v_mov_b32_e32 v0, 0xc7600000
	v_mov_b32_e32 v15, 0x47600000
	v_cndmask_b32_e32 v0, v0, v15, vcc
	v_cmp_eq_u32_e32 vcc, 0, v13
	v_mov_b32_e32 v13, 0x7f800001
	v_cndmask_b32_e32 v0, v13, v0, vcc
; %bb.4256:                             ;   in Loop: Header=BB2_3145 Depth=3
	s_or_b64 exec, exec, s[72:73]
.LBB2_4257:                             ;   in Loop: Header=BB2_3145 Depth=3
	s_or_b64 exec, exec, s[70:71]
.LBB2_4258:                             ;   in Loop: Header=BB2_3145 Depth=3
	s_or_b64 exec, exec, s[68:69]
	v_cmp_lt_u64_e32 vcc, s[42:43], v[8:9]
	s_and_saveexec_b64 s[68:69], vcc
	s_cbranch_execz .LBB2_4266
; %bb.4259:                             ;   in Loop: Header=BB2_3145 Depth=3
	v_cmp_ne_u32_e32 vcc, s97, v12
	v_bfrev_b32_e32 v7, 1
	s_and_saveexec_b64 s[70:71], vcc
	s_cbranch_execz .LBB2_4265
; %bb.4260:                             ;   in Loop: Header=BB2_3145 Depth=3
	v_and_b32_e32 v7, 0x7c000000, v9
	v_bfe_u32 v13, v9, 24, 2
	v_cmp_ne_u32_e32 vcc, s37, v7
                                        ; implicit-def: $vgpr7
	s_and_saveexec_b64 s[72:73], vcc
	s_xor_b64 s[72:73], exec, s[72:73]
	s_cbranch_execz .LBB2_4262
; %bb.4261:                             ;   in Loop: Header=BB2_3145 Depth=3
	v_ffbh_u32_e32 v15, v13
	v_bfe_u32 v7, v9, 26, 5
	v_min_u32_e32 v15, 32, v15
	v_subrev_u32_e32 v24, 29, v15
	v_sub_u32_e32 v15, 30, v15
	v_cmp_eq_u32_e32 vcc, 0, v7
	v_lshlrev_b64 v[30:31], v24, v[12:13]
	v_cndmask_b32_e32 v7, v7, v15, vcc
	v_bfrev_b32_e32 v15, 28
	v_and_b32_e32 v24, 3, v30
	v_lshl_add_u32 v7, v7, 23, v15
	v_cndmask_b32_e32 v13, v13, v24, vcc
	v_and_or_b32 v7, v9, s96, v7
	v_lshl_or_b32 v7, v13, 21, v7
                                        ; implicit-def: $vgpr13
.LBB2_4262:                             ;   in Loop: Header=BB2_3145 Depth=3
	s_andn2_saveexec_b64 s[72:73], s[72:73]
; %bb.4263:                             ;   in Loop: Header=BB2_3145 Depth=3
	v_cmp_lt_i64_e32 vcc, -1, v[8:9]
	v_mov_b32_e32 v7, 0xc7600000
	v_mov_b32_e32 v15, 0x47600000
	v_cndmask_b32_e32 v7, v7, v15, vcc
	v_cmp_eq_u32_e32 vcc, 0, v13
	v_mov_b32_e32 v13, 0x7f800001
	v_cndmask_b32_e32 v7, v13, v7, vcc
; %bb.4264:                             ;   in Loop: Header=BB2_3145 Depth=3
	s_or_b64 exec, exec, s[72:73]
.LBB2_4265:                             ;   in Loop: Header=BB2_3145 Depth=3
	s_or_b64 exec, exec, s[70:71]
.LBB2_4266:                             ;   in Loop: Header=BB2_3145 Depth=3
	s_or_b64 exec, exec, s[68:69]
	v_max_f32_e32 v7, v7, v7
	v_max_f32_e32 v0, v0, v0
	;; [unrolled: 1-line block ×3, first 2 shown]
	s_branch .LBB2_4285
.LBB2_4267:                             ;   in Loop: Header=BB2_3145 Depth=3
                                        ; implicit-def: $vgpr7
	s_cbranch_execz .LBB2_4285
; %bb.4268:                             ;   in Loop: Header=BB2_3145 Depth=3
	v_mov_b32_e32 v7, 0
	v_mov_b32_e32 v0, 0
	s_and_saveexec_b64 s[68:69], s[30:31]
	s_cbranch_execz .LBB2_4276
; %bb.4269:                             ;   in Loop: Header=BB2_3145 Depth=3
	v_cmp_ne_u32_e32 vcc, s97, v14
	v_bfrev_b32_e32 v0, 1
	s_and_saveexec_b64 s[30:31], vcc
	s_cbranch_execz .LBB2_4275
; %bb.4270:                             ;   in Loop: Header=BB2_3145 Depth=3
	v_and_b32_e32 v0, 0x7c000000, v27
	v_bfe_u32 v13, v27, 24, 2
	v_cmp_ne_u32_e32 vcc, s37, v0
                                        ; implicit-def: $vgpr0
	s_and_saveexec_b64 s[70:71], vcc
	s_xor_b64 s[70:71], exec, s[70:71]
	s_cbranch_execz .LBB2_4272
; %bb.4271:                             ;   in Loop: Header=BB2_3145 Depth=3
	v_ffbh_u32_e32 v15, v13
	v_min_u32_e32 v24, 32, v15
	v_subrev_u32_e32 v15, 29, v24
	v_bfe_u32 v0, v27, 26, 5
	v_lshlrev_b64 v[14:15], v15, v[14:15]
	v_sub_u32_e32 v15, 30, v24
	v_and_b32_e32 v14, 3, v14
	v_cmp_eq_u32_e32 vcc, 0, v0
	v_cndmask_b32_e32 v0, v0, v15, vcc
	v_cndmask_b32_e32 v13, v13, v14, vcc
	v_bfrev_b32_e32 v14, 28
	v_lshl_add_u32 v0, v0, 23, v14
	v_and_or_b32 v0, v27, s96, v0
	v_lshl_or_b32 v0, v13, 21, v0
                                        ; implicit-def: $vgpr13
.LBB2_4272:                             ;   in Loop: Header=BB2_3145 Depth=3
	s_andn2_saveexec_b64 s[70:71], s[70:71]
; %bb.4273:                             ;   in Loop: Header=BB2_3145 Depth=3
	v_cmp_lt_i64_e32 vcc, -1, v[26:27]
	v_mov_b32_e32 v0, 0xc7600000
	v_mov_b32_e32 v14, 0x47600000
	v_cndmask_b32_e32 v0, v0, v14, vcc
	v_cmp_eq_u32_e32 vcc, 0, v13
	v_mov_b32_e32 v13, 0x7f800001
	v_cndmask_b32_e32 v0, v13, v0, vcc
; %bb.4274:                             ;   in Loop: Header=BB2_3145 Depth=3
	s_or_b64 exec, exec, s[70:71]
.LBB2_4275:                             ;   in Loop: Header=BB2_3145 Depth=3
	s_or_b64 exec, exec, s[30:31]
.LBB2_4276:                             ;   in Loop: Header=BB2_3145 Depth=3
	s_or_b64 exec, exec, s[68:69]
	v_cmp_lt_u64_e32 vcc, s[42:43], v[8:9]
	s_and_saveexec_b64 s[30:31], vcc
	s_cbranch_execz .LBB2_4284
; %bb.4277:                             ;   in Loop: Header=BB2_3145 Depth=3
	v_cmp_ne_u32_e32 vcc, s97, v12
	v_bfrev_b32_e32 v7, 1
	s_and_saveexec_b64 s[68:69], vcc
	s_cbranch_execz .LBB2_4283
; %bb.4278:                             ;   in Loop: Header=BB2_3145 Depth=3
	v_and_b32_e32 v7, 0x7c000000, v9
	v_bfe_u32 v13, v9, 24, 2
	v_cmp_ne_u32_e32 vcc, s37, v7
                                        ; implicit-def: $vgpr7
	s_and_saveexec_b64 s[70:71], vcc
	s_xor_b64 s[70:71], exec, s[70:71]
	s_cbranch_execz .LBB2_4280
; %bb.4279:                             ;   in Loop: Header=BB2_3145 Depth=3
	v_ffbh_u32_e32 v8, v13
	v_min_u32_e32 v8, 32, v8
	v_subrev_u32_e32 v14, 29, v8
	v_bfe_u32 v7, v9, 26, 5
	v_lshlrev_b64 v[14:15], v14, v[12:13]
	v_sub_u32_e32 v8, 30, v8
	v_and_b32_e32 v12, 3, v14
	v_cmp_eq_u32_e32 vcc, 0, v7
	v_cndmask_b32_e32 v7, v7, v8, vcc
	v_cndmask_b32_e32 v8, v13, v12, vcc
	v_bfrev_b32_e32 v12, 28
	v_lshl_add_u32 v7, v7, 23, v12
	v_and_or_b32 v7, v9, s96, v7
	v_lshl_or_b32 v7, v8, 21, v7
                                        ; implicit-def: $vgpr13
.LBB2_4280:                             ;   in Loop: Header=BB2_3145 Depth=3
	s_andn2_saveexec_b64 s[70:71], s[70:71]
; %bb.4281:                             ;   in Loop: Header=BB2_3145 Depth=3
	v_cmp_lt_i64_e32 vcc, -1, v[8:9]
	v_mov_b32_e32 v7, 0xc7600000
	v_mov_b32_e32 v8, 0x47600000
	v_cndmask_b32_e32 v7, v7, v8, vcc
	v_cmp_eq_u32_e32 vcc, 0, v13
	v_mov_b32_e32 v8, 0x7f800001
	v_cndmask_b32_e32 v7, v8, v7, vcc
; %bb.4282:                             ;   in Loop: Header=BB2_3145 Depth=3
	s_or_b64 exec, exec, s[70:71]
.LBB2_4283:                             ;   in Loop: Header=BB2_3145 Depth=3
	s_or_b64 exec, exec, s[68:69]
.LBB2_4284:                             ;   in Loop: Header=BB2_3145 Depth=3
	s_or_b64 exec, exec, s[30:31]
	v_max_f32_e32 v7, v7, v7
	v_max_f32_e32 v0, v0, v0
	v_min_f32_e32 v7, v0, v7
.LBB2_4285:                             ;   in Loop: Header=BB2_3145 Depth=3
	v_and_b32_sdwa v0, v7, s97 dst_sel:DWORD dst_unused:UNUSED_PAD src0_sel:BYTE_3 src1_sel:DWORD
	v_and_b32_e32 v8, 0x7f800000, v7
	v_mov_b32_e32 v9, v51
	v_and_b32_e32 v50, 0x7fffff, v7
	v_or_b32_e32 v26, 0x7b, v0
	v_cmp_ne_u64_e32 vcc, s[52:53], v[8:9]
	s_and_saveexec_b64 s[30:31], vcc
	s_xor_b64 s[68:69], exec, s[30:31]
	s_cbranch_execz .LBB2_4313
; %bb.4286:                             ;   in Loop: Header=BB2_3145 Depth=3
	v_and_b32_e32 v8, 0x7fffffff, v7
	v_mov_b32_e32 v9, v51
	v_cmp_gt_u64_e32 vcc, s[54:55], v[8:9]
	s_and_saveexec_b64 s[70:71], vcc
	s_cbranch_execz .LBB2_4294
; %bb.4287:                             ;   in Loop: Header=BB2_3145 Depth=3
	v_cmp_ne_u32_e32 vcc, 0, v7
	v_mov_b32_e32 v26, 0
	s_and_saveexec_b64 s[72:73], vcc
	s_cbranch_execz .LBB2_4293
; %bb.4288:                             ;   in Loop: Header=BB2_3145 Depth=3
	v_bfe_u32 v7, v7, 23, 8
	v_sub_u32_e32 v9, 0x71, v7
	v_cmp_gt_u32_e32 vcc, s38, v7
	v_add_u32_e32 v8, 0xffffff81, v7
	v_cndmask_b32_e32 v9, 0, v9, vcc
	v_cmp_eq_u32_e32 vcc, 0, v7
	v_mov_b32_e32 v7, 0xffffff82
	v_cndmask_b32_e32 v7, v8, v7, vcc
	v_mov_b32_e32 v8, 0x70
	v_or_b32_e32 v12, 0x800000, v50
	v_cndmask_b32_e32 v13, v9, v8, vcc
	v_cndmask_b32_e32 v50, v12, v50, vcc
	v_add_u32_e32 v8, 21, v13
	v_lshlrev_b64 v[8:9], v8, -1
	v_add_u32_e32 v12, 20, v13
	v_lshrrev_b64 v[26:27], v13, v[50:51]
	v_not_b32_e32 v9, v9
	v_not_b32_e32 v8, v8
	v_lshlrev_b64 v[14:15], v12, 1
	v_lshrrev_b32_e32 v12, 23, v26
	v_and_b32_e32 v9, 0, v9
	v_and_b32_e32 v8, v50, v8
	v_add3_u32 v13, v13, v7, v12
	v_bfe_u32 v7, v26, 21, 1
	v_add_u32_e32 v7, -1, v7
	v_cmp_eq_u64_e32 vcc, v[8:9], v[14:15]
	v_cndmask_b32_e32 v7, 0, v7, vcc
	v_add_u32_e32 v7, v7, v26
	v_and_b32_e32 v7, 0x1fffff, v7
	v_add_co_u32_e32 v8, vcc, v7, v26
	v_add_u32_e32 v12, 14, v13
	v_addc_co_u32_e32 v9, vcc, 0, v27, vcc
	v_cmp_ne_u32_e32 vcc, 0, v12
                                        ; implicit-def: $vgpr7
	s_and_saveexec_b64 s[30:31], vcc
	s_xor_b64 s[30:31], exec, s[30:31]
; %bb.4289:                             ;   in Loop: Header=BB2_3145 Depth=3
	v_add_u32_e32 v7, 15, v13
	v_cmp_lt_u64_e32 vcc, s[56:57], v[8:9]
	v_cndmask_b32_e32 v7, v12, v7, vcc
	v_cndmask_b32_e64 v12, 0, 1, vcc
	v_lshrrev_b64 v[8:9], v12, v[8:9]
; %bb.4290:                             ;   in Loop: Header=BB2_3145 Depth=3
	s_andn2_saveexec_b64 vcc, s[30:31]
; %bb.4291:                             ;   in Loop: Header=BB2_3145 Depth=3
	v_bfe_u32 v7, v8, 23, 1
; %bb.4292:                             ;   in Loop: Header=BB2_3145 Depth=3
	s_or_b64 exec, exec, vcc
	v_lshrrev_b64 v[8:9], 21, v[8:9]
	v_cmp_gt_i32_e32 vcc, 32, v7
	v_cndmask_b32_e32 v9, 0, v9, vcc
	v_cndmask_b32_e32 v8, 3, v8, vcc
	v_cmp_eq_u32_e32 vcc, 0, v7
	v_min_i32_e32 v7, 31, v7
	v_lshlrev_b32_e32 v7, 2, v7
	v_cmp_eq_u64_e64 s[30:31], 0, v[8:9]
	v_and_b32_e32 v7, 0xfc, v7
	v_and_or_b32 v7, v8, 3, v7
	s_and_b64 vcc, vcc, s[30:31]
	v_cndmask_b32_e64 v7, v7, 0, vcc
	v_or_b32_e32 v26, v7, v0
.LBB2_4293:                             ;   in Loop: Header=BB2_3145 Depth=3
	s_or_b64 exec, exec, s[72:73]
.LBB2_4294:                             ;   in Loop: Header=BB2_3145 Depth=3
	s_or_b64 exec, exec, s[70:71]
                                        ; implicit-def: $vgpr7
	s_andn2_saveexec_b64 s[30:31], s[68:69]
	s_cbranch_execnz .LBB2_4314
.LBB2_4295:                             ;   in Loop: Header=BB2_3145 Depth=3
	s_or_b64 exec, exec, s[30:31]
	s_and_b64 vcc, exec, s[28:29]
	v_cmp_ne_u16_sdwa s[30:31], v28, v51 src0_sel:BYTE_0 src1_sel:DWORD
	s_cbranch_vccnz .LBB2_4315
.LBB2_4296:                             ;   in Loop: Header=BB2_3145 Depth=3
	v_mov_b32_e32 v7, 0
	v_mov_b32_e32 v0, 0
	s_and_saveexec_b64 s[68:69], s[30:31]
	s_cbranch_execz .LBB2_4304
; %bb.4297:                             ;   in Loop: Header=BB2_3145 Depth=3
	v_cmp_ne_u16_sdwa vcc, sext(v28), s94 src0_sel:BYTE_0 src1_sel:DWORD
	v_bfrev_b32_e32 v0, 1
	s_and_saveexec_b64 s[70:71], vcc
	s_cbranch_execz .LBB2_4303
; %bb.4298:                             ;   in Loop: Header=BB2_3145 Depth=3
	v_and_b32_e32 v0, 0x7c, v28
	v_and_b32_e32 v8, 3, v28
	v_cmp_ne_u32_e32 vcc, s95, v0
                                        ; implicit-def: $vgpr0
	s_and_saveexec_b64 s[72:73], vcc
	s_xor_b64 s[72:73], exec, s[72:73]
	s_cbranch_execz .LBB2_4300
; %bb.4299:                             ;   in Loop: Header=BB2_3145 Depth=3
	v_ffbh_u32_e32 v9, v8
	v_min_u32_e32 v9, 32, v9
	v_subrev_u32_e32 v12, 29, v9
	v_bfe_u32 v0, v28, 2, 5
	v_lshlrev_b64 v[12:13], v12, v[28:29]
	v_sub_u32_e32 v9, 30, v9
	v_and_b32_e32 v12, 3, v12
	v_cmp_eq_u32_e32 vcc, 0, v0
	v_cndmask_b32_e32 v0, v0, v9, vcc
	v_cndmask_b32_e32 v8, v8, v12, vcc
	v_bfrev_b32_e32 v12, 28
	v_lshlrev_b32_e32 v9, 24, v28
	v_lshl_add_u32 v0, v0, 23, v12
	v_and_or_b32 v0, v9, s96, v0
	v_lshl_or_b32 v0, v8, 21, v0
                                        ; implicit-def: $vgpr8
.LBB2_4300:                             ;   in Loop: Header=BB2_3145 Depth=3
	s_andn2_saveexec_b64 s[72:73], s[72:73]
; %bb.4301:                             ;   in Loop: Header=BB2_3145 Depth=3
	v_mov_b32_e32 v0, -1
	v_cmp_gt_i16_sdwa vcc, sext(v28), v0 src0_sel:BYTE_0 src1_sel:DWORD
	v_mov_b32_e32 v0, 0xc7600000
	v_mov_b32_e32 v9, 0x47600000
	v_cndmask_b32_e32 v0, v0, v9, vcc
	v_cmp_eq_u32_e32 vcc, 0, v8
	v_mov_b32_e32 v8, 0x7f800001
	v_cndmask_b32_e32 v0, v8, v0, vcc
; %bb.4302:                             ;   in Loop: Header=BB2_3145 Depth=3
	s_or_b64 exec, exec, s[72:73]
.LBB2_4303:                             ;   in Loop: Header=BB2_3145 Depth=3
	s_or_b64 exec, exec, s[70:71]
.LBB2_4304:                             ;   in Loop: Header=BB2_3145 Depth=3
	s_or_b64 exec, exec, s[68:69]
	v_cmp_ne_u16_sdwa vcc, sext(v10), v51 src0_sel:BYTE_0 src1_sel:DWORD
	s_and_saveexec_b64 s[68:69], vcc
	s_cbranch_execz .LBB2_4312
; %bb.4305:                             ;   in Loop: Header=BB2_3145 Depth=3
	v_cmp_ne_u16_sdwa vcc, sext(v10), s94 src0_sel:BYTE_0 src1_sel:DWORD
	v_bfrev_b32_e32 v7, 1
	s_and_saveexec_b64 s[70:71], vcc
	s_cbranch_execz .LBB2_4311
; %bb.4306:                             ;   in Loop: Header=BB2_3145 Depth=3
	v_and_b32_e32 v7, 0x7c, v10
	v_and_b32_e32 v8, 3, v10
	v_cmp_ne_u32_e32 vcc, s95, v7
                                        ; implicit-def: $vgpr7
	s_and_saveexec_b64 s[72:73], vcc
	s_xor_b64 s[72:73], exec, s[72:73]
	s_cbranch_execz .LBB2_4308
; %bb.4307:                             ;   in Loop: Header=BB2_3145 Depth=3
	v_ffbh_u32_e32 v9, v8
	v_min_u32_e32 v9, 32, v9
	v_subrev_u32_e32 v12, 29, v9
	v_bfe_u32 v7, v10, 2, 5
	v_lshlrev_b64 v[12:13], v12, v[10:11]
	v_sub_u32_e32 v9, 30, v9
	v_and_b32_e32 v12, 3, v12
	v_cmp_eq_u32_e32 vcc, 0, v7
	v_cndmask_b32_e32 v7, v7, v9, vcc
	v_cndmask_b32_e32 v8, v8, v12, vcc
	v_bfrev_b32_e32 v12, 28
	v_lshlrev_b32_e32 v9, 24, v10
	v_lshl_add_u32 v7, v7, 23, v12
	v_and_or_b32 v7, v9, s96, v7
	v_lshl_or_b32 v7, v8, 21, v7
                                        ; implicit-def: $vgpr8
.LBB2_4308:                             ;   in Loop: Header=BB2_3145 Depth=3
	s_andn2_saveexec_b64 s[72:73], s[72:73]
; %bb.4309:                             ;   in Loop: Header=BB2_3145 Depth=3
	v_mov_b32_e32 v7, -1
	v_cmp_gt_i16_sdwa vcc, sext(v10), v7 src0_sel:BYTE_0 src1_sel:DWORD
	v_mov_b32_e32 v7, 0xc7600000
	v_mov_b32_e32 v9, 0x47600000
	v_cndmask_b32_e32 v7, v7, v9, vcc
	v_cmp_eq_u32_e32 vcc, 0, v8
	v_mov_b32_e32 v8, 0x7f800001
	v_cndmask_b32_e32 v7, v8, v7, vcc
; %bb.4310:                             ;   in Loop: Header=BB2_3145 Depth=3
	s_or_b64 exec, exec, s[72:73]
.LBB2_4311:                             ;   in Loop: Header=BB2_3145 Depth=3
	s_or_b64 exec, exec, s[70:71]
.LBB2_4312:                             ;   in Loop: Header=BB2_3145 Depth=3
	s_or_b64 exec, exec, s[68:69]
	v_max_f32_e32 v7, v7, v7
	v_max_f32_e32 v0, v0, v0
	;; [unrolled: 1-line block ×3, first 2 shown]
	s_branch .LBB2_4333
.LBB2_4313:                             ;   in Loop: Header=BB2_3145 Depth=3
	s_andn2_saveexec_b64 s[30:31], s[68:69]
	s_cbranch_execz .LBB2_4295
.LBB2_4314:                             ;   in Loop: Header=BB2_3145 Depth=3
	v_or_b32_sdwa v0, v7, s39 dst_sel:DWORD dst_unused:UNUSED_PAD src0_sel:BYTE_3 src1_sel:DWORD
	v_cmp_eq_u64_e32 vcc, 0, v[50:51]
	v_cndmask_b32_e32 v26, v0, v26, vcc
	s_or_b64 exec, exec, s[30:31]
	s_and_b64 vcc, exec, s[28:29]
	v_cmp_ne_u16_sdwa s[30:31], v28, v51 src0_sel:BYTE_0 src1_sel:DWORD
	s_cbranch_vccz .LBB2_4296
.LBB2_4315:                             ;   in Loop: Header=BB2_3145 Depth=3
                                        ; implicit-def: $vgpr7
	s_cbranch_execz .LBB2_4333
; %bb.4316:                             ;   in Loop: Header=BB2_3145 Depth=3
	v_mov_b32_e32 v7, 0
	v_mov_b32_e32 v0, 0
	s_and_saveexec_b64 s[68:69], s[30:31]
	s_cbranch_execz .LBB2_4324
; %bb.4317:                             ;   in Loop: Header=BB2_3145 Depth=3
	v_cmp_ne_u16_sdwa vcc, sext(v28), s94 src0_sel:BYTE_0 src1_sel:DWORD
	v_bfrev_b32_e32 v0, 1
	s_and_saveexec_b64 s[30:31], vcc
	s_cbranch_execz .LBB2_4323
; %bb.4318:                             ;   in Loop: Header=BB2_3145 Depth=3
	v_and_b32_e32 v0, 0x7c, v28
	v_and_b32_e32 v8, 3, v28
	v_cmp_ne_u32_e32 vcc, s95, v0
                                        ; implicit-def: $vgpr0
	s_and_saveexec_b64 s[70:71], vcc
	s_xor_b64 s[70:71], exec, s[70:71]
	s_cbranch_execz .LBB2_4320
; %bb.4319:                             ;   in Loop: Header=BB2_3145 Depth=3
	v_ffbh_u32_e32 v9, v8
	v_min_u32_e32 v9, 32, v9
	v_subrev_u32_e32 v12, 29, v9
	v_bfe_u32 v0, v28, 2, 5
	v_lshlrev_b64 v[12:13], v12, v[28:29]
	v_sub_u32_e32 v9, 30, v9
	v_and_b32_e32 v12, 3, v12
	v_cmp_eq_u32_e32 vcc, 0, v0
	v_cndmask_b32_e32 v0, v0, v9, vcc
	v_cndmask_b32_e32 v8, v8, v12, vcc
	v_bfrev_b32_e32 v12, 28
	v_lshlrev_b32_e32 v9, 24, v28
	v_lshl_add_u32 v0, v0, 23, v12
	v_and_or_b32 v0, v9, s96, v0
	v_lshl_or_b32 v0, v8, 21, v0
                                        ; implicit-def: $vgpr8
.LBB2_4320:                             ;   in Loop: Header=BB2_3145 Depth=3
	s_andn2_saveexec_b64 s[70:71], s[70:71]
; %bb.4321:                             ;   in Loop: Header=BB2_3145 Depth=3
	v_mov_b32_e32 v0, -1
	v_cmp_gt_i16_sdwa vcc, sext(v28), v0 src0_sel:BYTE_0 src1_sel:DWORD
	v_mov_b32_e32 v0, 0xc7600000
	v_mov_b32_e32 v9, 0x47600000
	v_cndmask_b32_e32 v0, v0, v9, vcc
	v_cmp_eq_u32_e32 vcc, 0, v8
	v_mov_b32_e32 v8, 0x7f800001
	v_cndmask_b32_e32 v0, v8, v0, vcc
; %bb.4322:                             ;   in Loop: Header=BB2_3145 Depth=3
	s_or_b64 exec, exec, s[70:71]
.LBB2_4323:                             ;   in Loop: Header=BB2_3145 Depth=3
	s_or_b64 exec, exec, s[30:31]
.LBB2_4324:                             ;   in Loop: Header=BB2_3145 Depth=3
	s_or_b64 exec, exec, s[68:69]
	v_cmp_ne_u16_sdwa vcc, sext(v10), v51 src0_sel:BYTE_0 src1_sel:DWORD
	s_and_saveexec_b64 s[30:31], vcc
	s_cbranch_execz .LBB2_4332
; %bb.4325:                             ;   in Loop: Header=BB2_3145 Depth=3
	v_cmp_ne_u16_sdwa vcc, sext(v10), s94 src0_sel:BYTE_0 src1_sel:DWORD
	v_bfrev_b32_e32 v7, 1
	s_and_saveexec_b64 s[68:69], vcc
	s_cbranch_execz .LBB2_4331
; %bb.4326:                             ;   in Loop: Header=BB2_3145 Depth=3
	v_and_b32_e32 v7, 0x7c, v10
	v_and_b32_e32 v8, 3, v10
	v_cmp_ne_u32_e32 vcc, s95, v7
                                        ; implicit-def: $vgpr7
	s_and_saveexec_b64 s[70:71], vcc
	s_xor_b64 s[70:71], exec, s[70:71]
	s_cbranch_execz .LBB2_4328
; %bb.4327:                             ;   in Loop: Header=BB2_3145 Depth=3
	v_ffbh_u32_e32 v9, v8
	v_min_u32_e32 v9, 32, v9
	v_subrev_u32_e32 v12, 29, v9
	v_bfe_u32 v7, v10, 2, 5
	v_lshlrev_b64 v[12:13], v12, v[10:11]
	v_sub_u32_e32 v9, 30, v9
	v_and_b32_e32 v12, 3, v12
	v_cmp_eq_u32_e32 vcc, 0, v7
	v_cndmask_b32_e32 v7, v7, v9, vcc
	v_cndmask_b32_e32 v8, v8, v12, vcc
	v_bfrev_b32_e32 v12, 28
	v_lshlrev_b32_e32 v9, 24, v10
	v_lshl_add_u32 v7, v7, 23, v12
	v_and_or_b32 v7, v9, s96, v7
	v_lshl_or_b32 v7, v8, 21, v7
                                        ; implicit-def: $vgpr8
.LBB2_4328:                             ;   in Loop: Header=BB2_3145 Depth=3
	s_andn2_saveexec_b64 s[70:71], s[70:71]
; %bb.4329:                             ;   in Loop: Header=BB2_3145 Depth=3
	v_mov_b32_e32 v7, -1
	v_cmp_gt_i16_sdwa vcc, sext(v10), v7 src0_sel:BYTE_0 src1_sel:DWORD
	v_mov_b32_e32 v7, 0xc7600000
	v_mov_b32_e32 v9, 0x47600000
	v_cndmask_b32_e32 v7, v7, v9, vcc
	v_cmp_eq_u32_e32 vcc, 0, v8
	v_mov_b32_e32 v8, 0x7f800001
	v_cndmask_b32_e32 v7, v8, v7, vcc
; %bb.4330:                             ;   in Loop: Header=BB2_3145 Depth=3
	s_or_b64 exec, exec, s[70:71]
.LBB2_4331:                             ;   in Loop: Header=BB2_3145 Depth=3
	s_or_b64 exec, exec, s[68:69]
.LBB2_4332:                             ;   in Loop: Header=BB2_3145 Depth=3
	s_or_b64 exec, exec, s[30:31]
	v_max_f32_e32 v7, v7, v7
	v_max_f32_e32 v0, v0, v0
	v_min_f32_e32 v7, v0, v7
.LBB2_4333:                             ;   in Loop: Header=BB2_3145 Depth=3
	v_and_b32_sdwa v0, v7, s97 dst_sel:DWORD dst_unused:UNUSED_PAD src0_sel:BYTE_3 src1_sel:DWORD
	v_and_b32_e32 v8, 0x7f800000, v7
	v_mov_b32_e32 v9, v51
	v_and_b32_e32 v50, 0x7fffff, v7
	v_or_b32_e32 v27, 0x7b, v0
	v_cmp_ne_u64_e32 vcc, s[52:53], v[8:9]
	s_and_saveexec_b64 s[30:31], vcc
	s_xor_b64 s[68:69], exec, s[30:31]
	s_cbranch_execz .LBB2_4343
; %bb.4334:                             ;   in Loop: Header=BB2_3145 Depth=3
	v_and_b32_e32 v8, 0x7fffffff, v7
	v_mov_b32_e32 v9, v51
	v_cmp_gt_u64_e32 vcc, s[54:55], v[8:9]
	s_and_saveexec_b64 s[70:71], vcc
	s_cbranch_execz .LBB2_4342
; %bb.4335:                             ;   in Loop: Header=BB2_3145 Depth=3
	v_cmp_ne_u32_e32 vcc, 0, v7
	v_mov_b32_e32 v27, 0
	s_and_saveexec_b64 s[72:73], vcc
	s_cbranch_execz .LBB2_4341
; %bb.4336:                             ;   in Loop: Header=BB2_3145 Depth=3
	v_bfe_u32 v7, v7, 23, 8
	v_sub_u32_e32 v9, 0x71, v7
	v_cmp_gt_u32_e32 vcc, s38, v7
	v_add_u32_e32 v8, 0xffffff81, v7
	v_cndmask_b32_e32 v9, 0, v9, vcc
	v_cmp_eq_u32_e32 vcc, 0, v7
	v_mov_b32_e32 v7, 0xffffff82
	v_cndmask_b32_e32 v7, v8, v7, vcc
	v_mov_b32_e32 v8, 0x70
	v_or_b32_e32 v12, 0x800000, v50
	v_cndmask_b32_e32 v13, v9, v8, vcc
	v_cndmask_b32_e32 v50, v12, v50, vcc
	v_add_u32_e32 v8, 21, v13
	v_lshlrev_b64 v[8:9], v8, -1
	v_add_u32_e32 v12, 20, v13
	v_lshrrev_b64 v[30:31], v13, v[50:51]
	v_not_b32_e32 v9, v9
	v_not_b32_e32 v8, v8
	v_lshlrev_b64 v[14:15], v12, 1
	v_lshrrev_b32_e32 v12, 23, v30
	v_and_b32_e32 v9, 0, v9
	v_and_b32_e32 v8, v50, v8
	v_add3_u32 v13, v13, v7, v12
	v_bfe_u32 v7, v30, 21, 1
	v_add_u32_e32 v7, -1, v7
	v_cmp_eq_u64_e32 vcc, v[8:9], v[14:15]
	v_cndmask_b32_e32 v7, 0, v7, vcc
	v_add_u32_e32 v7, v7, v30
	v_and_b32_e32 v7, 0x1fffff, v7
	v_add_co_u32_e32 v8, vcc, v7, v30
	v_add_u32_e32 v12, 14, v13
	v_addc_co_u32_e32 v9, vcc, 0, v31, vcc
	v_cmp_ne_u32_e32 vcc, 0, v12
                                        ; implicit-def: $vgpr7
	s_and_saveexec_b64 s[30:31], vcc
	s_xor_b64 s[30:31], exec, s[30:31]
; %bb.4337:                             ;   in Loop: Header=BB2_3145 Depth=3
	v_add_u32_e32 v7, 15, v13
	v_cmp_lt_u64_e32 vcc, s[56:57], v[8:9]
	v_cndmask_b32_e32 v7, v12, v7, vcc
	v_cndmask_b32_e64 v12, 0, 1, vcc
	v_lshrrev_b64 v[8:9], v12, v[8:9]
; %bb.4338:                             ;   in Loop: Header=BB2_3145 Depth=3
	s_andn2_saveexec_b64 vcc, s[30:31]
; %bb.4339:                             ;   in Loop: Header=BB2_3145 Depth=3
	v_bfe_u32 v7, v8, 23, 1
; %bb.4340:                             ;   in Loop: Header=BB2_3145 Depth=3
	s_or_b64 exec, exec, vcc
	v_lshrrev_b64 v[8:9], 21, v[8:9]
	v_cmp_gt_i32_e32 vcc, 32, v7
	v_cndmask_b32_e32 v9, 0, v9, vcc
	v_cndmask_b32_e32 v8, 3, v8, vcc
	v_cmp_eq_u32_e32 vcc, 0, v7
	v_min_i32_e32 v7, 31, v7
	v_cmp_eq_u64_e64 s[30:31], 0, v[8:9]
	v_lshlrev_b32_e32 v7, 2, v7
	v_and_or_b32 v7, v8, 3, v7
	s_and_b64 vcc, vcc, s[30:31]
	v_cndmask_b32_e64 v7, v7, 0, vcc
	v_or_b32_e32 v27, v7, v0
.LBB2_4341:                             ;   in Loop: Header=BB2_3145 Depth=3
	s_or_b64 exec, exec, s[72:73]
.LBB2_4342:                             ;   in Loop: Header=BB2_3145 Depth=3
	s_or_b64 exec, exec, s[70:71]
                                        ; implicit-def: $vgpr7
.LBB2_4343:                             ;   in Loop: Header=BB2_3145 Depth=3
	s_andn2_saveexec_b64 s[30:31], s[68:69]
; %bb.4344:                             ;   in Loop: Header=BB2_3145 Depth=3
	v_or_b32_sdwa v0, v7, s39 dst_sel:DWORD dst_unused:UNUSED_PAD src0_sel:BYTE_3 src1_sel:DWORD
	v_cmp_eq_u64_e32 vcc, 0, v[50:51]
	v_cndmask_b32_e32 v27, v0, v27, vcc
; %bb.4345:                             ;   in Loop: Header=BB2_3145 Depth=3
	s_or_b64 exec, exec, s[30:31]
	v_lshrrev_b16_e32 v50, 8, v28
	v_lshrrev_b16_e32 v8, 8, v10
	s_and_b64 vcc, exec, s[28:29]
	v_cmp_ne_u16_e64 s[30:31], 0, v50
	s_cbranch_vccnz .LBB2_4363
; %bb.4346:                             ;   in Loop: Header=BB2_3145 Depth=3
	v_mov_b32_e32 v7, 0
	v_mov_b32_e32 v0, 0
	s_and_saveexec_b64 s[68:69], s[30:31]
	s_cbranch_execz .LBB2_4354
; %bb.4347:                             ;   in Loop: Header=BB2_3145 Depth=3
	v_cmp_ne_u16_e32 vcc, s97, v50
	v_bfrev_b32_e32 v0, 1
	s_and_saveexec_b64 s[70:71], vcc
	s_cbranch_execz .LBB2_4353
; %bb.4348:                             ;   in Loop: Header=BB2_3145 Depth=3
	v_and_b32_e32 v0, 0x7c, v50
	v_and_b32_e32 v9, 3, v50
	v_cmp_ne_u32_e32 vcc, s95, v0
                                        ; implicit-def: $vgpr0
	s_and_saveexec_b64 s[72:73], vcc
	s_xor_b64 s[72:73], exec, s[72:73]
	s_cbranch_execz .LBB2_4350
; %bb.4349:                             ;   in Loop: Header=BB2_3145 Depth=3
	v_ffbh_u32_e32 v12, v9
	v_min_u32_e32 v14, 32, v12
	v_subrev_u32_e32 v12, 29, v14
	v_bfe_u32 v0, v50, 2, 5
	v_lshlrev_b64 v[12:13], v12, v[50:51]
	v_sub_u32_e32 v13, 30, v14
	v_cmp_eq_u32_e32 vcc, 0, v0
	v_and_b32_e32 v12, 3, v12
	v_cndmask_b32_e32 v0, v0, v13, vcc
	v_bfrev_b32_e32 v13, 28
	v_cndmask_b32_e32 v9, v9, v12, vcc
	v_lshlrev_b32_e32 v12, 16, v28
	v_lshl_add_u32 v0, v0, 23, v13
	v_and_or_b32 v0, v12, s96, v0
	v_lshl_or_b32 v0, v9, 21, v0
                                        ; implicit-def: $vgpr9
.LBB2_4350:                             ;   in Loop: Header=BB2_3145 Depth=3
	s_andn2_saveexec_b64 s[72:73], s[72:73]
; %bb.4351:                             ;   in Loop: Header=BB2_3145 Depth=3
	v_cmp_lt_i16_e32 vcc, -1, v28
	v_mov_b32_e32 v0, 0xc7600000
	v_mov_b32_e32 v12, 0x47600000
	v_cndmask_b32_e32 v0, v0, v12, vcc
	v_cmp_eq_u32_e32 vcc, 0, v9
	v_mov_b32_e32 v9, 0x7f800001
	v_cndmask_b32_e32 v0, v9, v0, vcc
; %bb.4352:                             ;   in Loop: Header=BB2_3145 Depth=3
	s_or_b64 exec, exec, s[72:73]
.LBB2_4353:                             ;   in Loop: Header=BB2_3145 Depth=3
	s_or_b64 exec, exec, s[70:71]
.LBB2_4354:                             ;   in Loop: Header=BB2_3145 Depth=3
	s_or_b64 exec, exec, s[68:69]
	v_cmp_ne_u16_e32 vcc, 0, v8
	s_and_saveexec_b64 s[68:69], vcc
	s_cbranch_execz .LBB2_4362
; %bb.4355:                             ;   in Loop: Header=BB2_3145 Depth=3
	v_cmp_ne_u16_e32 vcc, s97, v8
	v_bfrev_b32_e32 v7, 1
	s_and_saveexec_b64 s[70:71], vcc
	s_cbranch_execz .LBB2_4361
; %bb.4356:                             ;   in Loop: Header=BB2_3145 Depth=3
	v_and_b32_e32 v7, 0x7c, v8
	v_and_b32_e32 v12, 3, v8
	v_cmp_ne_u32_e32 vcc, s95, v7
                                        ; implicit-def: $vgpr7
	s_and_saveexec_b64 s[72:73], vcc
	s_xor_b64 s[72:73], exec, s[72:73]
	s_cbranch_execz .LBB2_4358
; %bb.4357:                             ;   in Loop: Header=BB2_3145 Depth=3
	v_ffbh_u32_e32 v13, v12
	v_min_u32_e32 v13, 32, v13
	v_mov_b32_e32 v9, v51
	v_subrev_u32_e32 v14, 29, v13
	v_bfe_u32 v7, v8, 2, 5
	v_lshlrev_b64 v[14:15], v14, v[8:9]
	v_sub_u32_e32 v9, 30, v13
	v_and_b32_e32 v13, 3, v14
	v_cmp_eq_u32_e32 vcc, 0, v7
	v_cndmask_b32_e32 v7, v7, v9, vcc
	v_cndmask_b32_e32 v9, v12, v13, vcc
	v_bfrev_b32_e32 v13, 28
	v_lshlrev_b32_e32 v12, 16, v10
	v_lshl_add_u32 v7, v7, 23, v13
	v_and_or_b32 v7, v12, s96, v7
	v_lshl_or_b32 v7, v9, 21, v7
                                        ; implicit-def: $vgpr12
.LBB2_4358:                             ;   in Loop: Header=BB2_3145 Depth=3
	s_andn2_saveexec_b64 s[72:73], s[72:73]
; %bb.4359:                             ;   in Loop: Header=BB2_3145 Depth=3
	v_cmp_lt_i16_e32 vcc, -1, v10
	v_mov_b32_e32 v7, 0xc7600000
	v_mov_b32_e32 v9, 0x47600000
	v_cndmask_b32_e32 v7, v7, v9, vcc
	v_cmp_eq_u32_e32 vcc, 0, v12
	v_mov_b32_e32 v9, 0x7f800001
	v_cndmask_b32_e32 v7, v9, v7, vcc
; %bb.4360:                             ;   in Loop: Header=BB2_3145 Depth=3
	s_or_b64 exec, exec, s[72:73]
.LBB2_4361:                             ;   in Loop: Header=BB2_3145 Depth=3
	s_or_b64 exec, exec, s[70:71]
.LBB2_4362:                             ;   in Loop: Header=BB2_3145 Depth=3
	s_or_b64 exec, exec, s[68:69]
	v_max_f32_e32 v7, v7, v7
	v_max_f32_e32 v0, v0, v0
	;; [unrolled: 1-line block ×3, first 2 shown]
	s_branch .LBB2_4381
.LBB2_4363:                             ;   in Loop: Header=BB2_3145 Depth=3
                                        ; implicit-def: $vgpr7
	s_cbranch_execz .LBB2_4381
; %bb.4364:                             ;   in Loop: Header=BB2_3145 Depth=3
	v_mov_b32_e32 v7, 0
	v_mov_b32_e32 v0, 0
	s_and_saveexec_b64 s[68:69], s[30:31]
	s_cbranch_execz .LBB2_4372
; %bb.4365:                             ;   in Loop: Header=BB2_3145 Depth=3
	v_cmp_ne_u16_e32 vcc, s97, v50
	v_bfrev_b32_e32 v0, 1
	s_and_saveexec_b64 s[30:31], vcc
	s_cbranch_execz .LBB2_4371
; %bb.4366:                             ;   in Loop: Header=BB2_3145 Depth=3
	v_and_b32_e32 v0, 0x7c, v50
	v_and_b32_e32 v9, 3, v50
	v_cmp_ne_u32_e32 vcc, s95, v0
                                        ; implicit-def: $vgpr0
	s_and_saveexec_b64 s[70:71], vcc
	s_xor_b64 s[70:71], exec, s[70:71]
	s_cbranch_execz .LBB2_4368
; %bb.4367:                             ;   in Loop: Header=BB2_3145 Depth=3
	v_ffbh_u32_e32 v12, v9
	v_min_u32_e32 v14, 32, v12
	v_subrev_u32_e32 v12, 29, v14
	v_bfe_u32 v0, v50, 2, 5
	v_lshlrev_b64 v[12:13], v12, v[50:51]
	v_sub_u32_e32 v13, 30, v14
	v_cmp_eq_u32_e32 vcc, 0, v0
	v_and_b32_e32 v12, 3, v12
	v_cndmask_b32_e32 v0, v0, v13, vcc
	v_bfrev_b32_e32 v13, 28
	v_cndmask_b32_e32 v9, v9, v12, vcc
	v_lshlrev_b32_e32 v12, 16, v28
	v_lshl_add_u32 v0, v0, 23, v13
	v_and_or_b32 v0, v12, s96, v0
	v_lshl_or_b32 v0, v9, 21, v0
                                        ; implicit-def: $vgpr9
.LBB2_4368:                             ;   in Loop: Header=BB2_3145 Depth=3
	s_andn2_saveexec_b64 s[70:71], s[70:71]
; %bb.4369:                             ;   in Loop: Header=BB2_3145 Depth=3
	v_cmp_lt_i16_e32 vcc, -1, v28
	v_mov_b32_e32 v0, 0xc7600000
	v_mov_b32_e32 v12, 0x47600000
	v_cndmask_b32_e32 v0, v0, v12, vcc
	v_cmp_eq_u32_e32 vcc, 0, v9
	v_mov_b32_e32 v9, 0x7f800001
	v_cndmask_b32_e32 v0, v9, v0, vcc
; %bb.4370:                             ;   in Loop: Header=BB2_3145 Depth=3
	s_or_b64 exec, exec, s[70:71]
.LBB2_4371:                             ;   in Loop: Header=BB2_3145 Depth=3
	s_or_b64 exec, exec, s[30:31]
.LBB2_4372:                             ;   in Loop: Header=BB2_3145 Depth=3
	s_or_b64 exec, exec, s[68:69]
	v_cmp_ne_u16_e32 vcc, 0, v8
	s_and_saveexec_b64 s[30:31], vcc
	s_cbranch_execz .LBB2_4380
; %bb.4373:                             ;   in Loop: Header=BB2_3145 Depth=3
	v_cmp_ne_u16_e32 vcc, s97, v8
	v_bfrev_b32_e32 v7, 1
	s_and_saveexec_b64 s[68:69], vcc
	s_cbranch_execz .LBB2_4379
; %bb.4374:                             ;   in Loop: Header=BB2_3145 Depth=3
	v_and_b32_e32 v7, 0x7c, v8
	v_and_b32_e32 v12, 3, v8
	v_cmp_ne_u32_e32 vcc, s95, v7
                                        ; implicit-def: $vgpr7
	s_and_saveexec_b64 s[70:71], vcc
	s_xor_b64 s[70:71], exec, s[70:71]
	s_cbranch_execz .LBB2_4376
; %bb.4375:                             ;   in Loop: Header=BB2_3145 Depth=3
	v_ffbh_u32_e32 v13, v12
	v_min_u32_e32 v13, 32, v13
	v_mov_b32_e32 v9, v51
	v_subrev_u32_e32 v14, 29, v13
	v_bfe_u32 v7, v8, 2, 5
	v_lshlrev_b64 v[8:9], v14, v[8:9]
	v_sub_u32_e32 v9, 30, v13
	v_and_b32_e32 v8, 3, v8
	v_cmp_eq_u32_e32 vcc, 0, v7
	v_cndmask_b32_e32 v7, v7, v9, vcc
	v_cndmask_b32_e32 v8, v12, v8, vcc
	v_bfrev_b32_e32 v12, 28
	v_lshlrev_b32_e32 v9, 16, v10
	v_lshl_add_u32 v7, v7, 23, v12
	v_and_or_b32 v7, v9, s96, v7
	v_lshl_or_b32 v7, v8, 21, v7
                                        ; implicit-def: $vgpr12
.LBB2_4376:                             ;   in Loop: Header=BB2_3145 Depth=3
	s_andn2_saveexec_b64 s[70:71], s[70:71]
; %bb.4377:                             ;   in Loop: Header=BB2_3145 Depth=3
	v_cmp_lt_i16_e32 vcc, -1, v10
	v_mov_b32_e32 v7, 0xc7600000
	v_mov_b32_e32 v8, 0x47600000
	v_cndmask_b32_e32 v7, v7, v8, vcc
	v_cmp_eq_u32_e32 vcc, 0, v12
	v_mov_b32_e32 v8, 0x7f800001
	v_cndmask_b32_e32 v7, v8, v7, vcc
; %bb.4378:                             ;   in Loop: Header=BB2_3145 Depth=3
	s_or_b64 exec, exec, s[70:71]
.LBB2_4379:                             ;   in Loop: Header=BB2_3145 Depth=3
	s_or_b64 exec, exec, s[68:69]
.LBB2_4380:                             ;   in Loop: Header=BB2_3145 Depth=3
	s_or_b64 exec, exec, s[30:31]
	v_max_f32_e32 v7, v7, v7
	v_max_f32_e32 v0, v0, v0
	v_min_f32_e32 v7, v0, v7
.LBB2_4381:                             ;   in Loop: Header=BB2_3145 Depth=3
	v_and_b32_sdwa v0, v7, s97 dst_sel:DWORD dst_unused:UNUSED_PAD src0_sel:BYTE_3 src1_sel:DWORD
	v_and_b32_e32 v8, 0x7f800000, v7
	v_mov_b32_e32 v9, v51
	v_and_b32_e32 v50, 0x7fffff, v7
	v_or_b32_e32 v31, 0x7b, v0
	v_cmp_ne_u64_e32 vcc, s[52:53], v[8:9]
	s_and_saveexec_b64 s[30:31], vcc
	s_xor_b64 s[68:69], exec, s[30:31]
	s_cbranch_execz .LBB2_4391
; %bb.4382:                             ;   in Loop: Header=BB2_3145 Depth=3
	v_and_b32_e32 v8, 0x7fffffff, v7
	v_mov_b32_e32 v9, v51
	v_cmp_gt_u64_e32 vcc, s[54:55], v[8:9]
	s_and_saveexec_b64 s[70:71], vcc
	s_cbranch_execz .LBB2_4390
; %bb.4383:                             ;   in Loop: Header=BB2_3145 Depth=3
	v_cmp_ne_u32_e32 vcc, 0, v7
	v_mov_b32_e32 v31, 0
	s_and_saveexec_b64 s[72:73], vcc
	s_cbranch_execz .LBB2_4389
; %bb.4384:                             ;   in Loop: Header=BB2_3145 Depth=3
	v_bfe_u32 v7, v7, 23, 8
	v_cmp_eq_u32_e32 vcc, 0, v7
	v_add_u32_e32 v8, 0xffffff81, v7
	v_cmp_gt_u32_e64 s[30:31], s38, v7
	v_sub_u32_e32 v7, 0x71, v7
	v_mov_b32_e32 v12, 0xffffff82
	v_cndmask_b32_e64 v7, 0, v7, s[30:31]
	v_cndmask_b32_e32 v14, v8, v12, vcc
	v_mov_b32_e32 v8, 0x70
	v_cndmask_b32_e32 v7, v7, v8, vcc
	v_or_b32_e32 v9, 0x800000, v50
	v_add_u32_e32 v8, 21, v7
	v_cndmask_b32_e32 v50, v9, v50, vcc
	v_lshlrev_b64 v[8:9], v8, -1
	v_not_b32_e32 v9, v9
	v_not_b32_e32 v8, v8
	v_add_u32_e32 v12, 20, v7
	v_and_b32_e32 v9, 0, v9
	v_and_b32_e32 v8, v50, v8
	v_lshlrev_b64 v[12:13], v12, 1
	v_cmp_eq_u64_e32 vcc, v[8:9], v[12:13]
	v_lshrrev_b64 v[8:9], v7, v[50:51]
	v_lshrrev_b32_e32 v12, 23, v8
	v_add3_u32 v13, v7, v14, v12
	v_bfe_u32 v7, v8, 21, 1
	v_add_u32_e32 v7, -1, v7
	v_cndmask_b32_e32 v7, 0, v7, vcc
	v_add_u32_e32 v7, v7, v8
	v_and_b32_e32 v7, 0x1fffff, v7
	v_add_co_u32_e32 v8, vcc, v7, v8
	v_add_u32_e32 v12, 14, v13
	v_addc_co_u32_e32 v9, vcc, 0, v9, vcc
	v_cmp_ne_u32_e32 vcc, 0, v12
                                        ; implicit-def: $vgpr7
	s_and_saveexec_b64 s[30:31], vcc
	s_xor_b64 s[30:31], exec, s[30:31]
; %bb.4385:                             ;   in Loop: Header=BB2_3145 Depth=3
	v_add_u32_e32 v7, 15, v13
	v_cmp_lt_u64_e32 vcc, s[56:57], v[8:9]
	v_cndmask_b32_e32 v7, v12, v7, vcc
	v_cndmask_b32_e64 v12, 0, 1, vcc
	v_lshrrev_b64 v[8:9], v12, v[8:9]
; %bb.4386:                             ;   in Loop: Header=BB2_3145 Depth=3
	s_andn2_saveexec_b64 vcc, s[30:31]
; %bb.4387:                             ;   in Loop: Header=BB2_3145 Depth=3
	v_bfe_u32 v7, v8, 23, 1
; %bb.4388:                             ;   in Loop: Header=BB2_3145 Depth=3
	s_or_b64 exec, exec, vcc
	v_lshrrev_b64 v[8:9], 21, v[8:9]
	v_cmp_gt_i32_e32 vcc, 32, v7
	v_cndmask_b32_e32 v9, 0, v9, vcc
	v_cndmask_b32_e32 v8, 3, v8, vcc
	v_cmp_eq_u32_e32 vcc, 0, v7
	v_min_i32_e32 v7, 31, v7
	v_cmp_eq_u64_e64 s[30:31], 0, v[8:9]
	v_lshlrev_b32_e32 v7, 2, v7
	v_and_or_b32 v7, v8, 3, v7
	s_and_b64 vcc, vcc, s[30:31]
	v_cndmask_b32_e64 v7, v7, 0, vcc
	v_or_b32_e32 v31, v7, v0
.LBB2_4389:                             ;   in Loop: Header=BB2_3145 Depth=3
	s_or_b64 exec, exec, s[72:73]
.LBB2_4390:                             ;   in Loop: Header=BB2_3145 Depth=3
	s_or_b64 exec, exec, s[70:71]
                                        ; implicit-def: $vgpr7
.LBB2_4391:                             ;   in Loop: Header=BB2_3145 Depth=3
	s_andn2_saveexec_b64 s[30:31], s[68:69]
; %bb.4392:                             ;   in Loop: Header=BB2_3145 Depth=3
	v_or_b32_sdwa v0, v7, s39 dst_sel:DWORD dst_unused:UNUSED_PAD src0_sel:BYTE_3 src1_sel:DWORD
	v_cmp_eq_u64_e32 vcc, 0, v[50:51]
	v_cndmask_b32_e32 v31, v0, v31, vcc
; %bb.4393:                             ;   in Loop: Header=BB2_3145 Depth=3
	s_or_b64 exec, exec, s[30:31]
	v_lshrrev_b32_e32 v12, 16, v28
	v_lshrrev_b32_e32 v8, 16, v10
	s_and_b64 vcc, exec, s[28:29]
	v_cmp_ne_u16_sdwa s[30:31], v12, v51 src0_sel:BYTE_0 src1_sel:DWORD
	s_cbranch_vccnz .LBB2_4411
; %bb.4394:                             ;   in Loop: Header=BB2_3145 Depth=3
	v_mov_b32_e32 v7, 0
	v_mov_b32_e32 v0, 0
	s_and_saveexec_b64 s[68:69], s[30:31]
	s_cbranch_execz .LBB2_4402
; %bb.4395:                             ;   in Loop: Header=BB2_3145 Depth=3
	v_cmp_ne_u16_sdwa vcc, v12, s97 src0_sel:BYTE_0 src1_sel:DWORD
	v_bfrev_b32_e32 v0, 1
	s_and_saveexec_b64 s[70:71], vcc
	s_cbranch_execz .LBB2_4401
; %bb.4396:                             ;   in Loop: Header=BB2_3145 Depth=3
	v_and_b32_e32 v0, 0x7c0000, v28
	v_bfe_u32 v9, v28, 16, 2
	v_cmp_ne_u32_e32 vcc, s36, v0
                                        ; implicit-def: $vgpr0
	s_and_saveexec_b64 s[72:73], vcc
	s_xor_b64 s[72:73], exec, s[72:73]
	s_cbranch_execz .LBB2_4398
; %bb.4397:                             ;   in Loop: Header=BB2_3145 Depth=3
	v_ffbh_u32_e32 v13, v9
	v_min_u32_e32 v13, 32, v13
	v_subrev_u32_e32 v14, 29, v13
	v_bfe_u32 v0, v28, 18, 5
	v_lshlrev_b64 v[14:15], v14, v[12:13]
	v_sub_u32_e32 v13, 30, v13
	v_and_b32_e32 v14, 3, v14
	v_cmp_eq_u32_e32 vcc, 0, v0
	v_cndmask_b32_e32 v0, v0, v13, vcc
	v_cndmask_b32_e32 v9, v9, v14, vcc
	v_bfrev_b32_e32 v14, 28
	v_lshlrev_b32_e32 v13, 24, v12
	v_lshl_add_u32 v0, v0, 23, v14
	v_and_or_b32 v0, v13, s96, v0
	v_lshl_or_b32 v0, v9, 21, v0
                                        ; implicit-def: $vgpr9
.LBB2_4398:                             ;   in Loop: Header=BB2_3145 Depth=3
	s_andn2_saveexec_b64 s[72:73], s[72:73]
; %bb.4399:                             ;   in Loop: Header=BB2_3145 Depth=3
	v_mov_b32_e32 v0, -1
	v_cmp_gt_i16_sdwa vcc, sext(v12), v0 src0_sel:BYTE_0 src1_sel:DWORD
	v_mov_b32_e32 v0, 0xc7600000
	v_mov_b32_e32 v13, 0x47600000
	v_cndmask_b32_e32 v0, v0, v13, vcc
	v_cmp_eq_u32_e32 vcc, 0, v9
	v_mov_b32_e32 v9, 0x7f800001
	v_cndmask_b32_e32 v0, v9, v0, vcc
; %bb.4400:                             ;   in Loop: Header=BB2_3145 Depth=3
	s_or_b64 exec, exec, s[72:73]
.LBB2_4401:                             ;   in Loop: Header=BB2_3145 Depth=3
	s_or_b64 exec, exec, s[70:71]
.LBB2_4402:                             ;   in Loop: Header=BB2_3145 Depth=3
	s_or_b64 exec, exec, s[68:69]
	v_cmp_ne_u16_sdwa vcc, v8, v51 src0_sel:BYTE_0 src1_sel:DWORD
	s_and_saveexec_b64 s[68:69], vcc
	s_cbranch_execz .LBB2_4410
; %bb.4403:                             ;   in Loop: Header=BB2_3145 Depth=3
	v_cmp_ne_u16_sdwa vcc, v8, s97 src0_sel:BYTE_0 src1_sel:DWORD
	v_bfrev_b32_e32 v7, 1
	s_and_saveexec_b64 s[70:71], vcc
	s_cbranch_execz .LBB2_4409
; %bb.4404:                             ;   in Loop: Header=BB2_3145 Depth=3
	v_and_b32_e32 v7, 0x7c0000, v10
	v_bfe_u32 v9, v10, 16, 2
	v_cmp_ne_u32_e32 vcc, s36, v7
                                        ; implicit-def: $vgpr7
	s_and_saveexec_b64 s[72:73], vcc
	s_xor_b64 s[72:73], exec, s[72:73]
	s_cbranch_execz .LBB2_4406
; %bb.4405:                             ;   in Loop: Header=BB2_3145 Depth=3
	v_ffbh_u32_e32 v13, v9
	v_min_u32_e32 v13, 32, v13
	v_subrev_u32_e32 v14, 29, v13
	v_bfe_u32 v7, v10, 18, 5
	v_lshlrev_b64 v[14:15], v14, v[8:9]
	v_sub_u32_e32 v13, 30, v13
	v_and_b32_e32 v14, 3, v14
	v_cmp_eq_u32_e32 vcc, 0, v7
	v_cndmask_b32_e32 v7, v7, v13, vcc
	v_cndmask_b32_e32 v9, v9, v14, vcc
	v_bfrev_b32_e32 v14, 28
	v_lshlrev_b32_e32 v13, 24, v8
	v_lshl_add_u32 v7, v7, 23, v14
	v_and_or_b32 v7, v13, s96, v7
	v_lshl_or_b32 v7, v9, 21, v7
                                        ; implicit-def: $vgpr9
.LBB2_4406:                             ;   in Loop: Header=BB2_3145 Depth=3
	s_andn2_saveexec_b64 s[72:73], s[72:73]
; %bb.4407:                             ;   in Loop: Header=BB2_3145 Depth=3
	v_mov_b32_e32 v7, -1
	v_cmp_gt_i16_sdwa vcc, sext(v8), v7 src0_sel:BYTE_0 src1_sel:DWORD
	v_mov_b32_e32 v7, 0xc7600000
	v_mov_b32_e32 v13, 0x47600000
	v_cndmask_b32_e32 v7, v7, v13, vcc
	v_cmp_eq_u32_e32 vcc, 0, v9
	v_mov_b32_e32 v9, 0x7f800001
	v_cndmask_b32_e32 v7, v9, v7, vcc
; %bb.4408:                             ;   in Loop: Header=BB2_3145 Depth=3
	s_or_b64 exec, exec, s[72:73]
.LBB2_4409:                             ;   in Loop: Header=BB2_3145 Depth=3
	s_or_b64 exec, exec, s[70:71]
.LBB2_4410:                             ;   in Loop: Header=BB2_3145 Depth=3
	s_or_b64 exec, exec, s[68:69]
	v_max_f32_e32 v7, v7, v7
	v_max_f32_e32 v0, v0, v0
	;; [unrolled: 1-line block ×3, first 2 shown]
	s_branch .LBB2_4429
.LBB2_4411:                             ;   in Loop: Header=BB2_3145 Depth=3
                                        ; implicit-def: $vgpr9
	s_cbranch_execz .LBB2_4429
; %bb.4412:                             ;   in Loop: Header=BB2_3145 Depth=3
	v_mov_b32_e32 v7, 0
	v_mov_b32_e32 v0, 0
	s_and_saveexec_b64 s[68:69], s[30:31]
	s_cbranch_execz .LBB2_4420
; %bb.4413:                             ;   in Loop: Header=BB2_3145 Depth=3
	v_cmp_ne_u16_sdwa vcc, v12, s97 src0_sel:BYTE_0 src1_sel:DWORD
	v_bfrev_b32_e32 v0, 1
	s_and_saveexec_b64 s[30:31], vcc
	s_cbranch_execz .LBB2_4419
; %bb.4414:                             ;   in Loop: Header=BB2_3145 Depth=3
	v_and_b32_e32 v0, 0x7c0000, v28
	v_bfe_u32 v9, v28, 16, 2
	v_cmp_ne_u32_e32 vcc, s36, v0
                                        ; implicit-def: $vgpr0
	s_and_saveexec_b64 s[70:71], vcc
	s_xor_b64 s[70:71], exec, s[70:71]
	s_cbranch_execz .LBB2_4416
; %bb.4415:                             ;   in Loop: Header=BB2_3145 Depth=3
	v_ffbh_u32_e32 v13, v9
	v_min_u32_e32 v13, 32, v13
	v_bfe_u32 v0, v28, 18, 5
	v_subrev_u32_e32 v14, 29, v13
	v_lshlrev_b64 v[14:15], v14, v[12:13]
	v_sub_u32_e32 v13, 30, v13
	v_cmp_eq_u32_e32 vcc, 0, v0
	v_cndmask_b32_e32 v0, v0, v13, vcc
	v_bfrev_b32_e32 v13, 28
	v_and_b32_e32 v14, 3, v14
	v_lshlrev_b32_e32 v12, 24, v12
	v_lshl_add_u32 v0, v0, 23, v13
	v_cndmask_b32_e32 v9, v9, v14, vcc
	v_and_or_b32 v0, v12, s96, v0
	v_lshl_or_b32 v0, v9, 21, v0
                                        ; implicit-def: $vgpr9
                                        ; implicit-def: $vgpr12
.LBB2_4416:                             ;   in Loop: Header=BB2_3145 Depth=3
	s_andn2_saveexec_b64 s[70:71], s[70:71]
; %bb.4417:                             ;   in Loop: Header=BB2_3145 Depth=3
	v_mov_b32_e32 v0, -1
	v_cmp_gt_i16_sdwa vcc, sext(v12), v0 src0_sel:BYTE_0 src1_sel:DWORD
	v_mov_b32_e32 v0, 0xc7600000
	v_mov_b32_e32 v12, 0x47600000
	v_cndmask_b32_e32 v0, v0, v12, vcc
	v_cmp_eq_u32_e32 vcc, 0, v9
	v_mov_b32_e32 v9, 0x7f800001
	v_cndmask_b32_e32 v0, v9, v0, vcc
; %bb.4418:                             ;   in Loop: Header=BB2_3145 Depth=3
	s_or_b64 exec, exec, s[70:71]
.LBB2_4419:                             ;   in Loop: Header=BB2_3145 Depth=3
	s_or_b64 exec, exec, s[30:31]
.LBB2_4420:                             ;   in Loop: Header=BB2_3145 Depth=3
	s_or_b64 exec, exec, s[68:69]
	v_cmp_ne_u16_sdwa vcc, v8, v51 src0_sel:BYTE_0 src1_sel:DWORD
	s_and_saveexec_b64 s[30:31], vcc
	s_cbranch_execz .LBB2_4428
; %bb.4421:                             ;   in Loop: Header=BB2_3145 Depth=3
	v_cmp_ne_u16_sdwa vcc, v8, s97 src0_sel:BYTE_0 src1_sel:DWORD
	v_bfrev_b32_e32 v7, 1
	s_and_saveexec_b64 s[68:69], vcc
	s_cbranch_execz .LBB2_4427
; %bb.4422:                             ;   in Loop: Header=BB2_3145 Depth=3
	v_and_b32_e32 v7, 0x7c0000, v10
	v_bfe_u32 v9, v10, 16, 2
	v_cmp_ne_u32_e32 vcc, s36, v7
                                        ; implicit-def: $vgpr7
	s_and_saveexec_b64 s[70:71], vcc
	s_xor_b64 s[70:71], exec, s[70:71]
	s_cbranch_execz .LBB2_4424
; %bb.4423:                             ;   in Loop: Header=BB2_3145 Depth=3
	v_ffbh_u32_e32 v12, v9
	v_min_u32_e32 v14, 32, v12
	v_subrev_u32_e32 v12, 29, v14
	v_bfe_u32 v7, v10, 18, 5
	v_lshlrev_b64 v[12:13], v12, v[8:9]
	v_sub_u32_e32 v13, 30, v14
	v_and_b32_e32 v12, 3, v12
	v_cmp_eq_u32_e32 vcc, 0, v7
	v_cndmask_b32_e32 v7, v7, v13, vcc
	v_cndmask_b32_e32 v9, v9, v12, vcc
	v_bfrev_b32_e32 v12, 28
	v_lshlrev_b32_e32 v8, 24, v8
	v_lshl_add_u32 v7, v7, 23, v12
	v_and_or_b32 v7, v8, s96, v7
	v_lshl_or_b32 v7, v9, 21, v7
                                        ; implicit-def: $vgpr9
                                        ; implicit-def: $vgpr8
.LBB2_4424:                             ;   in Loop: Header=BB2_3145 Depth=3
	s_andn2_saveexec_b64 s[70:71], s[70:71]
; %bb.4425:                             ;   in Loop: Header=BB2_3145 Depth=3
	v_mov_b32_e32 v7, -1
	v_cmp_gt_i16_sdwa vcc, sext(v8), v7 src0_sel:BYTE_0 src1_sel:DWORD
	v_mov_b32_e32 v7, 0xc7600000
	v_mov_b32_e32 v8, 0x47600000
	v_cndmask_b32_e32 v7, v7, v8, vcc
	v_cmp_eq_u32_e32 vcc, 0, v9
	v_mov_b32_e32 v8, 0x7f800001
	v_cndmask_b32_e32 v7, v8, v7, vcc
; %bb.4426:                             ;   in Loop: Header=BB2_3145 Depth=3
	s_or_b64 exec, exec, s[70:71]
.LBB2_4427:                             ;   in Loop: Header=BB2_3145 Depth=3
	s_or_b64 exec, exec, s[68:69]
.LBB2_4428:                             ;   in Loop: Header=BB2_3145 Depth=3
	s_or_b64 exec, exec, s[30:31]
	v_max_f32_e32 v7, v7, v7
	v_max_f32_e32 v0, v0, v0
	v_min_f32_e32 v9, v0, v7
.LBB2_4429:                             ;   in Loop: Header=BB2_3145 Depth=3
	v_and_b32_sdwa v0, v9, s97 dst_sel:DWORD dst_unused:UNUSED_PAD src0_sel:BYTE_3 src1_sel:DWORD
	v_and_b32_e32 v12, 0x7f800000, v9
	v_mov_b32_e32 v13, v51
	v_and_b32_e32 v50, 0x7fffff, v9
	v_or_b32_e32 v7, 0x7b, v0
	v_cmp_ne_u64_e32 vcc, s[52:53], v[12:13]
	s_and_saveexec_b64 s[30:31], vcc
	s_xor_b64 s[68:69], exec, s[30:31]
	s_cbranch_execz .LBB2_4439
; %bb.4430:                             ;   in Loop: Header=BB2_3145 Depth=3
	v_and_b32_e32 v12, 0x7fffffff, v9
	v_mov_b32_e32 v13, v51
	v_cmp_gt_u64_e32 vcc, s[54:55], v[12:13]
	s_and_saveexec_b64 s[70:71], vcc
	s_cbranch_execz .LBB2_4438
; %bb.4431:                             ;   in Loop: Header=BB2_3145 Depth=3
	v_cmp_ne_u32_e32 vcc, 0, v9
	v_mov_b32_e32 v7, 0
	s_and_saveexec_b64 s[72:73], vcc
	s_cbranch_execz .LBB2_4437
; %bb.4432:                             ;   in Loop: Header=BB2_3145 Depth=3
	v_bfe_u32 v7, v9, 23, 8
	v_cmp_eq_u32_e32 vcc, 0, v7
	v_add_u32_e32 v8, 0xffffff81, v7
	v_cmp_gt_u32_e64 s[30:31], s38, v7
	v_sub_u32_e32 v7, 0x71, v7
	v_mov_b32_e32 v12, 0xffffff82
	v_cndmask_b32_e64 v7, 0, v7, s[30:31]
	v_cndmask_b32_e32 v14, v8, v12, vcc
	v_mov_b32_e32 v8, 0x70
	v_cndmask_b32_e32 v7, v7, v8, vcc
	v_or_b32_e32 v9, 0x800000, v50
	v_add_u32_e32 v8, 21, v7
	v_cndmask_b32_e32 v50, v9, v50, vcc
	v_lshlrev_b64 v[8:9], v8, -1
	v_not_b32_e32 v9, v9
	v_not_b32_e32 v8, v8
	v_add_u32_e32 v12, 20, v7
	v_and_b32_e32 v9, 0, v9
	v_and_b32_e32 v8, v50, v8
	v_lshlrev_b64 v[12:13], v12, 1
	v_cmp_eq_u64_e32 vcc, v[8:9], v[12:13]
	v_lshrrev_b64 v[8:9], v7, v[50:51]
	v_lshrrev_b32_e32 v12, 23, v8
	v_add3_u32 v13, v7, v14, v12
	v_bfe_u32 v7, v8, 21, 1
	v_add_u32_e32 v7, -1, v7
	v_cndmask_b32_e32 v7, 0, v7, vcc
	v_add_u32_e32 v7, v7, v8
	v_and_b32_e32 v7, 0x1fffff, v7
	v_add_co_u32_e32 v8, vcc, v7, v8
	v_add_u32_e32 v12, 14, v13
	v_addc_co_u32_e32 v9, vcc, 0, v9, vcc
	v_cmp_ne_u32_e32 vcc, 0, v12
                                        ; implicit-def: $vgpr7
	s_and_saveexec_b64 s[30:31], vcc
	s_xor_b64 s[30:31], exec, s[30:31]
; %bb.4433:                             ;   in Loop: Header=BB2_3145 Depth=3
	v_add_u32_e32 v7, 15, v13
	v_cmp_lt_u64_e32 vcc, s[56:57], v[8:9]
	v_cndmask_b32_e32 v7, v12, v7, vcc
	v_cndmask_b32_e64 v12, 0, 1, vcc
	v_lshrrev_b64 v[8:9], v12, v[8:9]
; %bb.4434:                             ;   in Loop: Header=BB2_3145 Depth=3
	s_andn2_saveexec_b64 vcc, s[30:31]
; %bb.4435:                             ;   in Loop: Header=BB2_3145 Depth=3
	v_bfe_u32 v7, v8, 23, 1
; %bb.4436:                             ;   in Loop: Header=BB2_3145 Depth=3
	s_or_b64 exec, exec, vcc
	v_lshrrev_b64 v[8:9], 21, v[8:9]
	v_cmp_gt_i32_e32 vcc, 32, v7
	v_cndmask_b32_e32 v9, 0, v9, vcc
	v_cndmask_b32_e32 v8, 3, v8, vcc
	v_cmp_eq_u32_e32 vcc, 0, v7
	v_min_i32_e32 v7, 31, v7
	v_cmp_eq_u64_e64 s[30:31], 0, v[8:9]
	v_lshlrev_b32_e32 v7, 2, v7
	v_and_or_b32 v7, v8, 3, v7
	s_and_b64 vcc, vcc, s[30:31]
	v_cndmask_b32_e64 v7, v7, 0, vcc
	v_or_b32_e32 v7, v7, v0
.LBB2_4437:                             ;   in Loop: Header=BB2_3145 Depth=3
	s_or_b64 exec, exec, s[72:73]
.LBB2_4438:                             ;   in Loop: Header=BB2_3145 Depth=3
	s_or_b64 exec, exec, s[70:71]
                                        ; implicit-def: $vgpr9
.LBB2_4439:                             ;   in Loop: Header=BB2_3145 Depth=3
	s_andn2_saveexec_b64 s[30:31], s[68:69]
; %bb.4440:                             ;   in Loop: Header=BB2_3145 Depth=3
	v_or_b32_sdwa v0, v9, s39 dst_sel:DWORD dst_unused:UNUSED_PAD src0_sel:BYTE_3 src1_sel:DWORD
	v_cmp_eq_u64_e32 vcc, 0, v[50:51]
	v_cndmask_b32_e32 v7, v0, v7, vcc
; %bb.4441:                             ;   in Loop: Header=BB2_3145 Depth=3
	s_or_b64 exec, exec, s[30:31]
	v_lshrrev_b32_e32 v12, 24, v28
	v_lshrrev_b32_e32 v8, 24, v10
	s_and_b64 vcc, exec, s[28:29]
	v_cmp_lt_u32_e64 s[30:31], s43, v28
	s_cbranch_vccnz .LBB2_4459
; %bb.4442:                             ;   in Loop: Header=BB2_3145 Depth=3
	v_mov_b32_e32 v9, 0
	v_mov_b32_e32 v0, 0
	s_and_saveexec_b64 s[68:69], s[30:31]
	s_cbranch_execz .LBB2_4450
; %bb.4443:                             ;   in Loop: Header=BB2_3145 Depth=3
	v_cmp_ne_u32_e32 vcc, s97, v12
	v_bfrev_b32_e32 v0, 1
	s_and_saveexec_b64 s[70:71], vcc
	s_cbranch_execz .LBB2_4449
; %bb.4444:                             ;   in Loop: Header=BB2_3145 Depth=3
	v_and_b32_e32 v0, 0x7c000000, v28
	v_bfe_u32 v13, v28, 24, 2
	v_cmp_ne_u32_e32 vcc, s37, v0
                                        ; implicit-def: $vgpr0
	s_and_saveexec_b64 s[72:73], vcc
	s_xor_b64 s[72:73], exec, s[72:73]
	s_cbranch_execz .LBB2_4446
; %bb.4445:                             ;   in Loop: Header=BB2_3145 Depth=3
	v_ffbh_u32_e32 v14, v13
	v_min_u32_e32 v24, 32, v14
	v_subrev_u32_e32 v14, 29, v24
	v_bfe_u32 v0, v28, 26, 5
	v_lshlrev_b64 v[14:15], v14, v[12:13]
	v_sub_u32_e32 v15, 30, v24
	v_and_b32_e32 v14, 3, v14
	v_cmp_eq_u32_e32 vcc, 0, v0
	v_cndmask_b32_e32 v0, v0, v15, vcc
	v_cndmask_b32_e32 v13, v13, v14, vcc
	v_bfrev_b32_e32 v14, 28
	v_lshl_add_u32 v0, v0, 23, v14
	v_and_or_b32 v0, v28, s96, v0
	v_lshl_or_b32 v0, v13, 21, v0
                                        ; implicit-def: $vgpr13
.LBB2_4446:                             ;   in Loop: Header=BB2_3145 Depth=3
	s_andn2_saveexec_b64 s[72:73], s[72:73]
; %bb.4447:                             ;   in Loop: Header=BB2_3145 Depth=3
	v_cmp_lt_i32_e32 vcc, -1, v28
	v_mov_b32_e32 v0, 0xc7600000
	v_mov_b32_e32 v14, 0x47600000
	v_cndmask_b32_e32 v0, v0, v14, vcc
	v_cmp_eq_u32_e32 vcc, 0, v13
	v_mov_b32_e32 v13, 0x7f800001
	v_cndmask_b32_e32 v0, v13, v0, vcc
; %bb.4448:                             ;   in Loop: Header=BB2_3145 Depth=3
	s_or_b64 exec, exec, s[72:73]
.LBB2_4449:                             ;   in Loop: Header=BB2_3145 Depth=3
	s_or_b64 exec, exec, s[70:71]
.LBB2_4450:                             ;   in Loop: Header=BB2_3145 Depth=3
	s_or_b64 exec, exec, s[68:69]
	v_cmp_lt_u32_e32 vcc, s43, v10
	s_and_saveexec_b64 s[68:69], vcc
	s_cbranch_execz .LBB2_4458
; %bb.4451:                             ;   in Loop: Header=BB2_3145 Depth=3
	v_cmp_ne_u32_e32 vcc, s97, v8
	v_bfrev_b32_e32 v9, 1
	s_and_saveexec_b64 s[70:71], vcc
	s_cbranch_execz .LBB2_4457
; %bb.4452:                             ;   in Loop: Header=BB2_3145 Depth=3
	v_and_b32_e32 v9, 0x7c000000, v10
	v_bfe_u32 v13, v10, 24, 2
	v_cmp_ne_u32_e32 vcc, s37, v9
                                        ; implicit-def: $vgpr9
	s_and_saveexec_b64 s[72:73], vcc
	s_xor_b64 s[72:73], exec, s[72:73]
	s_cbranch_execz .LBB2_4454
; %bb.4453:                             ;   in Loop: Header=BB2_3145 Depth=3
	v_ffbh_u32_e32 v14, v13
	v_min_u32_e32 v24, 32, v14
	v_bfe_u32 v9, v10, 26, 5
	v_subrev_u32_e32 v14, 29, v24
	v_lshlrev_b64 v[14:15], v14, v[8:9]
	v_sub_u32_e32 v15, 30, v24
	v_and_b32_e32 v14, 3, v14
	v_cmp_eq_u32_e32 vcc, 0, v9
	v_cndmask_b32_e32 v9, v9, v15, vcc
	v_cndmask_b32_e32 v13, v13, v14, vcc
	v_bfrev_b32_e32 v14, 28
	v_lshl_add_u32 v9, v9, 23, v14
	v_and_or_b32 v9, v10, s96, v9
	v_lshl_or_b32 v9, v13, 21, v9
                                        ; implicit-def: $vgpr13
.LBB2_4454:                             ;   in Loop: Header=BB2_3145 Depth=3
	s_andn2_saveexec_b64 s[72:73], s[72:73]
; %bb.4455:                             ;   in Loop: Header=BB2_3145 Depth=3
	v_cmp_lt_i32_e32 vcc, -1, v10
	v_mov_b32_e32 v9, 0xc7600000
	v_mov_b32_e32 v14, 0x47600000
	v_cndmask_b32_e32 v9, v9, v14, vcc
	v_cmp_eq_u32_e32 vcc, 0, v13
	v_mov_b32_e32 v13, 0x7f800001
	v_cndmask_b32_e32 v9, v13, v9, vcc
; %bb.4456:                             ;   in Loop: Header=BB2_3145 Depth=3
	s_or_b64 exec, exec, s[72:73]
.LBB2_4457:                             ;   in Loop: Header=BB2_3145 Depth=3
	s_or_b64 exec, exec, s[70:71]
.LBB2_4458:                             ;   in Loop: Header=BB2_3145 Depth=3
	s_or_b64 exec, exec, s[68:69]
	v_max_f32_e32 v9, v9, v9
	v_max_f32_e32 v0, v0, v0
	;; [unrolled: 1-line block ×3, first 2 shown]
	s_branch .LBB2_4477
.LBB2_4459:                             ;   in Loop: Header=BB2_3145 Depth=3
                                        ; implicit-def: $vgpr9
	s_cbranch_execz .LBB2_4477
; %bb.4460:                             ;   in Loop: Header=BB2_3145 Depth=3
	v_mov_b32_e32 v9, 0
	v_mov_b32_e32 v0, 0
	s_and_saveexec_b64 s[68:69], s[30:31]
	s_cbranch_execz .LBB2_4468
; %bb.4461:                             ;   in Loop: Header=BB2_3145 Depth=3
	v_cmp_ne_u32_e32 vcc, s97, v12
	v_bfrev_b32_e32 v0, 1
	s_and_saveexec_b64 s[30:31], vcc
	s_cbranch_execz .LBB2_4467
; %bb.4462:                             ;   in Loop: Header=BB2_3145 Depth=3
	v_and_b32_e32 v0, 0x7c000000, v28
	v_bfe_u32 v13, v28, 24, 2
	v_cmp_ne_u32_e32 vcc, s37, v0
                                        ; implicit-def: $vgpr0
	s_and_saveexec_b64 s[70:71], vcc
	s_xor_b64 s[70:71], exec, s[70:71]
	s_cbranch_execz .LBB2_4464
; %bb.4463:                             ;   in Loop: Header=BB2_3145 Depth=3
	v_ffbh_u32_e32 v14, v13
	v_min_u32_e32 v24, 32, v14
	v_subrev_u32_e32 v14, 29, v24
	v_bfe_u32 v0, v28, 26, 5
	v_lshlrev_b64 v[14:15], v14, v[12:13]
	v_sub_u32_e32 v12, 30, v24
	v_and_b32_e32 v14, 3, v14
	v_cmp_eq_u32_e32 vcc, 0, v0
	v_cndmask_b32_e32 v0, v0, v12, vcc
	v_cndmask_b32_e32 v12, v13, v14, vcc
	v_bfrev_b32_e32 v13, 28
	v_lshl_add_u32 v0, v0, 23, v13
	v_and_or_b32 v0, v28, s96, v0
	v_lshl_or_b32 v0, v12, 21, v0
                                        ; implicit-def: $vgpr13
.LBB2_4464:                             ;   in Loop: Header=BB2_3145 Depth=3
	s_andn2_saveexec_b64 s[70:71], s[70:71]
; %bb.4465:                             ;   in Loop: Header=BB2_3145 Depth=3
	v_cmp_lt_i32_e32 vcc, -1, v28
	v_mov_b32_e32 v0, 0xc7600000
	v_mov_b32_e32 v12, 0x47600000
	v_cndmask_b32_e32 v0, v0, v12, vcc
	v_cmp_eq_u32_e32 vcc, 0, v13
	v_mov_b32_e32 v12, 0x7f800001
	v_cndmask_b32_e32 v0, v12, v0, vcc
; %bb.4466:                             ;   in Loop: Header=BB2_3145 Depth=3
	s_or_b64 exec, exec, s[70:71]
.LBB2_4467:                             ;   in Loop: Header=BB2_3145 Depth=3
	s_or_b64 exec, exec, s[30:31]
.LBB2_4468:                             ;   in Loop: Header=BB2_3145 Depth=3
	s_or_b64 exec, exec, s[68:69]
	v_cmp_lt_u32_e32 vcc, s43, v10
	s_and_saveexec_b64 s[30:31], vcc
	s_cbranch_execz .LBB2_4476
; %bb.4469:                             ;   in Loop: Header=BB2_3145 Depth=3
	v_cmp_ne_u32_e32 vcc, s97, v8
	v_bfrev_b32_e32 v9, 1
	s_and_saveexec_b64 s[68:69], vcc
	s_cbranch_execz .LBB2_4475
; %bb.4470:                             ;   in Loop: Header=BB2_3145 Depth=3
	v_and_b32_e32 v9, 0x7c000000, v10
	v_bfe_u32 v12, v10, 24, 2
	v_cmp_ne_u32_e32 vcc, s37, v9
                                        ; implicit-def: $vgpr9
	s_and_saveexec_b64 s[70:71], vcc
	s_xor_b64 s[70:71], exec, s[70:71]
	s_cbranch_execz .LBB2_4472
; %bb.4471:                             ;   in Loop: Header=BB2_3145 Depth=3
	v_ffbh_u32_e32 v9, v12
	v_min_u32_e32 v14, 32, v9
	v_subrev_u32_e32 v9, 29, v14
	v_bfe_u32 v13, v10, 26, 5
	v_lshlrev_b64 v[8:9], v9, v[8:9]
	v_sub_u32_e32 v9, 30, v14
	v_and_b32_e32 v8, 3, v8
	v_cmp_eq_u32_e32 vcc, 0, v13
	v_cndmask_b32_e32 v9, v13, v9, vcc
	v_cndmask_b32_e32 v8, v12, v8, vcc
	v_bfrev_b32_e32 v12, 28
	v_lshl_add_u32 v9, v9, 23, v12
	v_and_or_b32 v9, v10, s96, v9
	v_lshl_or_b32 v9, v8, 21, v9
                                        ; implicit-def: $vgpr12
.LBB2_4472:                             ;   in Loop: Header=BB2_3145 Depth=3
	s_andn2_saveexec_b64 s[70:71], s[70:71]
; %bb.4473:                             ;   in Loop: Header=BB2_3145 Depth=3
	v_cmp_lt_i32_e32 vcc, -1, v10
	v_mov_b32_e32 v8, 0xc7600000
	v_mov_b32_e32 v9, 0x47600000
	v_cndmask_b32_e32 v8, v8, v9, vcc
	v_cmp_eq_u32_e32 vcc, 0, v12
	v_mov_b32_e32 v9, 0x7f800001
	v_cndmask_b32_e32 v9, v9, v8, vcc
; %bb.4474:                             ;   in Loop: Header=BB2_3145 Depth=3
	s_or_b64 exec, exec, s[70:71]
.LBB2_4475:                             ;   in Loop: Header=BB2_3145 Depth=3
	s_or_b64 exec, exec, s[68:69]
.LBB2_4476:                             ;   in Loop: Header=BB2_3145 Depth=3
	s_or_b64 exec, exec, s[30:31]
	v_max_f32_e32 v8, v9, v9
	v_max_f32_e32 v0, v0, v0
	v_min_f32_e32 v9, v0, v8
.LBB2_4477:                             ;   in Loop: Header=BB2_3145 Depth=3
	v_and_b32_sdwa v0, v9, s97 dst_sel:DWORD dst_unused:UNUSED_PAD src0_sel:BYTE_3 src1_sel:DWORD
	v_and_b32_e32 v12, 0x7f800000, v9
	v_mov_b32_e32 v13, v51
	v_and_b32_e32 v50, 0x7fffff, v9
	v_or_b32_e32 v30, 0x7b, v0
	v_cmp_ne_u64_e32 vcc, s[52:53], v[12:13]
	s_and_saveexec_b64 s[30:31], vcc
	s_xor_b64 s[68:69], exec, s[30:31]
	s_cbranch_execz .LBB2_4487
; %bb.4478:                             ;   in Loop: Header=BB2_3145 Depth=3
	v_and_b32_e32 v12, 0x7fffffff, v9
	v_mov_b32_e32 v13, v51
	v_cmp_gt_u64_e32 vcc, s[54:55], v[12:13]
	s_and_saveexec_b64 s[70:71], vcc
	s_cbranch_execz .LBB2_4486
; %bb.4479:                             ;   in Loop: Header=BB2_3145 Depth=3
	v_cmp_ne_u32_e32 vcc, 0, v9
	v_mov_b32_e32 v30, 0
	s_and_saveexec_b64 s[72:73], vcc
	s_cbranch_execz .LBB2_4485
; %bb.4480:                             ;   in Loop: Header=BB2_3145 Depth=3
	v_bfe_u32 v8, v9, 23, 8
	v_cmp_eq_u32_e32 vcc, 0, v8
	v_add_u32_e32 v9, 0xffffff81, v8
	v_cmp_gt_u32_e64 s[30:31], s38, v8
	v_sub_u32_e32 v8, 0x71, v8
	v_mov_b32_e32 v13, 0xffffff82
	v_cndmask_b32_e64 v8, 0, v8, s[30:31]
	v_cndmask_b32_e32 v14, v9, v13, vcc
	v_mov_b32_e32 v9, 0x70
	v_cndmask_b32_e32 v15, v8, v9, vcc
	v_add_u32_e32 v8, 21, v15
	v_or_b32_e32 v12, 0x800000, v50
	v_lshlrev_b64 v[8:9], v8, -1
	v_cndmask_b32_e32 v50, v12, v50, vcc
	v_not_b32_e32 v9, v9
	v_not_b32_e32 v8, v8
	v_add_u32_e32 v12, 20, v15
	v_and_b32_e32 v9, 0, v9
	v_and_b32_e32 v8, v50, v8
	v_lshlrev_b64 v[12:13], v12, 1
	v_cmp_eq_u64_e32 vcc, v[8:9], v[12:13]
	v_lshrrev_b64 v[8:9], v15, v[50:51]
	v_lshrrev_b32_e32 v12, 23, v8
	v_add3_u32 v14, v15, v14, v12
	v_bfe_u32 v12, v8, 21, 1
	v_add_u32_e32 v12, -1, v12
	v_cndmask_b32_e32 v12, 0, v12, vcc
	v_add_u32_e32 v12, v12, v8
	v_and_b32_e32 v12, 0x1fffff, v12
	v_add_co_u32_e32 v8, vcc, v12, v8
	v_add_u32_e32 v13, 14, v14
	v_addc_co_u32_e32 v9, vcc, 0, v9, vcc
	v_cmp_ne_u32_e32 vcc, 0, v13
                                        ; implicit-def: $vgpr12
	s_and_saveexec_b64 s[30:31], vcc
	s_xor_b64 s[30:31], exec, s[30:31]
; %bb.4481:                             ;   in Loop: Header=BB2_3145 Depth=3
	v_add_u32_e32 v12, 15, v14
	v_cmp_lt_u64_e32 vcc, s[56:57], v[8:9]
	v_cndmask_b32_e32 v12, v13, v12, vcc
	v_cndmask_b32_e64 v13, 0, 1, vcc
	v_lshrrev_b64 v[8:9], v13, v[8:9]
; %bb.4482:                             ;   in Loop: Header=BB2_3145 Depth=3
	s_andn2_saveexec_b64 vcc, s[30:31]
; %bb.4483:                             ;   in Loop: Header=BB2_3145 Depth=3
	v_bfe_u32 v12, v8, 23, 1
; %bb.4484:                             ;   in Loop: Header=BB2_3145 Depth=3
	s_or_b64 exec, exec, vcc
	v_lshrrev_b64 v[8:9], 21, v[8:9]
	v_cmp_gt_i32_e32 vcc, 32, v12
	v_cndmask_b32_e32 v9, 0, v9, vcc
	v_cndmask_b32_e32 v8, 3, v8, vcc
	v_cmp_eq_u64_e64 s[30:31], 0, v[8:9]
	v_min_i32_e32 v9, 31, v12
	v_cmp_eq_u32_e32 vcc, 0, v12
	v_lshlrev_b32_e32 v9, 2, v9
	v_and_or_b32 v8, v8, 3, v9
	s_and_b64 vcc, vcc, s[30:31]
	v_cndmask_b32_e64 v8, v8, 0, vcc
	v_or_b32_e32 v30, v8, v0
.LBB2_4485:                             ;   in Loop: Header=BB2_3145 Depth=3
	s_or_b64 exec, exec, s[72:73]
.LBB2_4486:                             ;   in Loop: Header=BB2_3145 Depth=3
	s_or_b64 exec, exec, s[70:71]
                                        ; implicit-def: $vgpr9
.LBB2_4487:                             ;   in Loop: Header=BB2_3145 Depth=3
	s_andn2_saveexec_b64 s[30:31], s[68:69]
; %bb.4488:                             ;   in Loop: Header=BB2_3145 Depth=3
	v_or_b32_sdwa v0, v9, s39 dst_sel:DWORD dst_unused:UNUSED_PAD src0_sel:BYTE_3 src1_sel:DWORD
	v_cmp_eq_u64_e32 vcc, 0, v[50:51]
	v_cndmask_b32_e32 v30, v0, v30, vcc
; %bb.4489:                             ;   in Loop: Header=BB2_3145 Depth=3
	s_or_b64 exec, exec, s[30:31]
	v_mov_b32_e32 v50, v29
	v_mov_b32_e32 v8, v11
	;; [unrolled: 1-line block ×3, first 2 shown]
	s_and_b64 vcc, exec, s[28:29]
	v_cmp_ne_u16_sdwa s[30:31], v29, v51 src0_sel:BYTE_0 src1_sel:DWORD
	s_cbranch_vccnz .LBB2_4507
; %bb.4490:                             ;   in Loop: Header=BB2_3145 Depth=3
	v_mov_b32_e32 v12, 0
	v_mov_b32_e32 v0, 0
	s_and_saveexec_b64 s[68:69], s[30:31]
	s_cbranch_execz .LBB2_4498
; %bb.4491:                             ;   in Loop: Header=BB2_3145 Depth=3
	v_cmp_ne_u16_sdwa vcc, v29, s97 src0_sel:BYTE_0 src1_sel:DWORD
	v_bfrev_b32_e32 v0, 1
	s_and_saveexec_b64 s[70:71], vcc
	s_cbranch_execz .LBB2_4497
; %bb.4492:                             ;   in Loop: Header=BB2_3145 Depth=3
	v_and_b32_e32 v0, 0x7c, v29
	v_and_b32_e32 v13, 3, v29
	v_cmp_ne_u32_e32 vcc, s95, v0
                                        ; implicit-def: $vgpr0
	s_and_saveexec_b64 s[72:73], vcc
	s_xor_b64 s[72:73], exec, s[72:73]
	s_cbranch_execz .LBB2_4494
; %bb.4493:                             ;   in Loop: Header=BB2_3145 Depth=3
	v_ffbh_u32_e32 v14, v13
	v_min_u32_e32 v24, 32, v14
	v_subrev_u32_e32 v14, 29, v24
	v_bfe_u32 v0, v29, 2, 5
	v_lshlrev_b64 v[14:15], v14, v[50:51]
	v_sub_u32_e32 v15, 30, v24
	v_cmp_eq_u32_e32 vcc, 0, v0
	v_and_b32_e32 v14, 3, v14
	v_cndmask_b32_e32 v0, v0, v15, vcc
	v_bfrev_b32_e32 v15, 28
	v_cndmask_b32_e32 v13, v13, v14, vcc
	v_lshlrev_b32_e32 v14, 24, v29
	v_lshl_add_u32 v0, v0, 23, v15
	v_and_or_b32 v0, v14, s96, v0
	v_lshl_or_b32 v0, v13, 21, v0
                                        ; implicit-def: $vgpr13
.LBB2_4494:                             ;   in Loop: Header=BB2_3145 Depth=3
	s_andn2_saveexec_b64 s[72:73], s[72:73]
; %bb.4495:                             ;   in Loop: Header=BB2_3145 Depth=3
	v_mov_b32_e32 v0, -1
	v_cmp_gt_i16_sdwa vcc, sext(v29), v0 src0_sel:BYTE_0 src1_sel:DWORD
	v_mov_b32_e32 v0, 0xc7600000
	v_mov_b32_e32 v14, 0x47600000
	v_cndmask_b32_e32 v0, v0, v14, vcc
	v_cmp_eq_u32_e32 vcc, 0, v13
	v_mov_b32_e32 v13, 0x7f800001
	v_cndmask_b32_e32 v0, v13, v0, vcc
; %bb.4496:                             ;   in Loop: Header=BB2_3145 Depth=3
	s_or_b64 exec, exec, s[72:73]
.LBB2_4497:                             ;   in Loop: Header=BB2_3145 Depth=3
	s_or_b64 exec, exec, s[70:71]
.LBB2_4498:                             ;   in Loop: Header=BB2_3145 Depth=3
	s_or_b64 exec, exec, s[68:69]
	v_cmp_ne_u16_sdwa vcc, v11, v51 src0_sel:BYTE_0 src1_sel:DWORD
	s_and_saveexec_b64 s[68:69], vcc
	s_cbranch_execz .LBB2_4506
; %bb.4499:                             ;   in Loop: Header=BB2_3145 Depth=3
	v_cmp_ne_u16_sdwa vcc, v11, s97 src0_sel:BYTE_0 src1_sel:DWORD
	v_bfrev_b32_e32 v12, 1
	s_and_saveexec_b64 s[70:71], vcc
	s_cbranch_execz .LBB2_4505
; %bb.4500:                             ;   in Loop: Header=BB2_3145 Depth=3
	v_and_b32_e32 v12, 0x7c, v11
	v_and_b32_e32 v13, 3, v11
	v_cmp_ne_u32_e32 vcc, s95, v12
                                        ; implicit-def: $vgpr12
	s_and_saveexec_b64 s[72:73], vcc
	s_xor_b64 s[72:73], exec, s[72:73]
	s_cbranch_execz .LBB2_4502
; %bb.4501:                             ;   in Loop: Header=BB2_3145 Depth=3
	v_ffbh_u32_e32 v14, v13
	v_min_u32_e32 v24, 32, v14
	v_subrev_u32_e32 v14, 29, v24
	v_bfe_u32 v12, v11, 2, 5
	v_lshlrev_b64 v[14:15], v14, v[8:9]
	v_sub_u32_e32 v15, 30, v24
	v_cmp_eq_u32_e32 vcc, 0, v12
	v_and_b32_e32 v14, 3, v14
	v_cndmask_b32_e32 v12, v12, v15, vcc
	v_bfrev_b32_e32 v15, 28
	v_cndmask_b32_e32 v13, v13, v14, vcc
	v_lshlrev_b32_e32 v14, 24, v11
	v_lshl_add_u32 v12, v12, 23, v15
	v_and_or_b32 v12, v14, s96, v12
	v_lshl_or_b32 v12, v13, 21, v12
                                        ; implicit-def: $vgpr13
.LBB2_4502:                             ;   in Loop: Header=BB2_3145 Depth=3
	s_andn2_saveexec_b64 s[72:73], s[72:73]
; %bb.4503:                             ;   in Loop: Header=BB2_3145 Depth=3
	v_mov_b32_e32 v12, -1
	v_cmp_gt_i16_sdwa vcc, sext(v11), v12 src0_sel:BYTE_0 src1_sel:DWORD
	v_mov_b32_e32 v12, 0xc7600000
	v_mov_b32_e32 v14, 0x47600000
	v_cndmask_b32_e32 v12, v12, v14, vcc
	v_cmp_eq_u32_e32 vcc, 0, v13
	v_mov_b32_e32 v13, 0x7f800001
	v_cndmask_b32_e32 v12, v13, v12, vcc
; %bb.4504:                             ;   in Loop: Header=BB2_3145 Depth=3
	s_or_b64 exec, exec, s[72:73]
.LBB2_4505:                             ;   in Loop: Header=BB2_3145 Depth=3
	s_or_b64 exec, exec, s[70:71]
.LBB2_4506:                             ;   in Loop: Header=BB2_3145 Depth=3
	s_or_b64 exec, exec, s[68:69]
	v_max_f32_e32 v12, v12, v12
	v_max_f32_e32 v0, v0, v0
	;; [unrolled: 1-line block ×3, first 2 shown]
	s_branch .LBB2_4525
.LBB2_4507:                             ;   in Loop: Header=BB2_3145 Depth=3
                                        ; implicit-def: $vgpr14
	s_cbranch_execz .LBB2_4525
; %bb.4508:                             ;   in Loop: Header=BB2_3145 Depth=3
	v_mov_b32_e32 v12, 0
	v_mov_b32_e32 v0, 0
	s_and_saveexec_b64 s[68:69], s[30:31]
	s_cbranch_execz .LBB2_4516
; %bb.4509:                             ;   in Loop: Header=BB2_3145 Depth=3
	v_cmp_ne_u16_sdwa vcc, v29, s97 src0_sel:BYTE_0 src1_sel:DWORD
	v_bfrev_b32_e32 v0, 1
	s_and_saveexec_b64 s[30:31], vcc
	s_cbranch_execz .LBB2_4515
; %bb.4510:                             ;   in Loop: Header=BB2_3145 Depth=3
	v_and_b32_e32 v0, 0x7c, v29
	v_and_b32_e32 v13, 3, v29
	v_cmp_ne_u32_e32 vcc, s95, v0
                                        ; implicit-def: $vgpr0
	s_and_saveexec_b64 s[70:71], vcc
	s_xor_b64 s[70:71], exec, s[70:71]
	s_cbranch_execz .LBB2_4512
; %bb.4511:                             ;   in Loop: Header=BB2_3145 Depth=3
	v_ffbh_u32_e32 v14, v13
	v_min_u32_e32 v24, 32, v14
	v_subrev_u32_e32 v14, 29, v24
	v_bfe_u32 v0, v29, 2, 5
	v_lshlrev_b64 v[14:15], v14, v[50:51]
	v_sub_u32_e32 v15, 30, v24
	v_cmp_eq_u32_e32 vcc, 0, v0
	v_and_b32_e32 v14, 3, v14
	v_cndmask_b32_e32 v0, v0, v15, vcc
	v_bfrev_b32_e32 v15, 28
	v_cndmask_b32_e32 v13, v13, v14, vcc
	v_lshlrev_b32_e32 v14, 24, v29
	v_lshl_add_u32 v0, v0, 23, v15
	v_and_or_b32 v0, v14, s96, v0
	v_lshl_or_b32 v0, v13, 21, v0
                                        ; implicit-def: $vgpr13
.LBB2_4512:                             ;   in Loop: Header=BB2_3145 Depth=3
	s_andn2_saveexec_b64 s[70:71], s[70:71]
; %bb.4513:                             ;   in Loop: Header=BB2_3145 Depth=3
	v_mov_b32_e32 v0, -1
	v_cmp_gt_i16_sdwa vcc, sext(v29), v0 src0_sel:BYTE_0 src1_sel:DWORD
	v_mov_b32_e32 v0, 0xc7600000
	v_mov_b32_e32 v14, 0x47600000
	v_cndmask_b32_e32 v0, v0, v14, vcc
	v_cmp_eq_u32_e32 vcc, 0, v13
	v_mov_b32_e32 v13, 0x7f800001
	v_cndmask_b32_e32 v0, v13, v0, vcc
; %bb.4514:                             ;   in Loop: Header=BB2_3145 Depth=3
	s_or_b64 exec, exec, s[70:71]
.LBB2_4515:                             ;   in Loop: Header=BB2_3145 Depth=3
	s_or_b64 exec, exec, s[30:31]
.LBB2_4516:                             ;   in Loop: Header=BB2_3145 Depth=3
	s_or_b64 exec, exec, s[68:69]
	v_cmp_ne_u16_sdwa vcc, v11, v51 src0_sel:BYTE_0 src1_sel:DWORD
	s_and_saveexec_b64 s[30:31], vcc
	s_cbranch_execz .LBB2_4524
; %bb.4517:                             ;   in Loop: Header=BB2_3145 Depth=3
	v_cmp_ne_u16_sdwa vcc, v11, s97 src0_sel:BYTE_0 src1_sel:DWORD
	v_bfrev_b32_e32 v12, 1
	s_and_saveexec_b64 s[68:69], vcc
	s_cbranch_execz .LBB2_4523
; %bb.4518:                             ;   in Loop: Header=BB2_3145 Depth=3
	v_and_b32_e32 v12, 0x7c, v11
	v_and_b32_e32 v13, 3, v11
	v_cmp_ne_u32_e32 vcc, s95, v12
                                        ; implicit-def: $vgpr12
	s_and_saveexec_b64 s[70:71], vcc
	s_xor_b64 s[70:71], exec, s[70:71]
	s_cbranch_execz .LBB2_4520
; %bb.4519:                             ;   in Loop: Header=BB2_3145 Depth=3
	v_ffbh_u32_e32 v14, v13
	v_min_u32_e32 v24, 32, v14
	v_subrev_u32_e32 v14, 29, v24
	v_bfe_u32 v12, v11, 2, 5
	v_lshlrev_b64 v[14:15], v14, v[8:9]
	v_sub_u32_e32 v9, 30, v24
	v_and_b32_e32 v14, 3, v14
	v_cmp_eq_u32_e32 vcc, 0, v12
	v_cndmask_b32_e32 v9, v12, v9, vcc
	v_cndmask_b32_e32 v12, v13, v14, vcc
	v_bfrev_b32_e32 v14, 28
	v_lshlrev_b32_e32 v13, 24, v11
	v_lshl_add_u32 v9, v9, 23, v14
	v_and_or_b32 v9, v13, s96, v9
	v_lshl_or_b32 v12, v12, 21, v9
                                        ; implicit-def: $vgpr13
.LBB2_4520:                             ;   in Loop: Header=BB2_3145 Depth=3
	s_andn2_saveexec_b64 s[70:71], s[70:71]
; %bb.4521:                             ;   in Loop: Header=BB2_3145 Depth=3
	v_mov_b32_e32 v9, -1
	v_cmp_gt_i16_sdwa vcc, sext(v11), v9 src0_sel:BYTE_0 src1_sel:DWORD
	v_mov_b32_e32 v9, 0xc7600000
	v_mov_b32_e32 v12, 0x47600000
	v_cndmask_b32_e32 v9, v9, v12, vcc
	v_cmp_eq_u32_e32 vcc, 0, v13
	v_mov_b32_e32 v12, 0x7f800001
	v_cndmask_b32_e32 v12, v12, v9, vcc
; %bb.4522:                             ;   in Loop: Header=BB2_3145 Depth=3
	s_or_b64 exec, exec, s[70:71]
.LBB2_4523:                             ;   in Loop: Header=BB2_3145 Depth=3
	s_or_b64 exec, exec, s[68:69]
.LBB2_4524:                             ;   in Loop: Header=BB2_3145 Depth=3
	s_or_b64 exec, exec, s[30:31]
	v_max_f32_e32 v9, v12, v12
	v_max_f32_e32 v0, v0, v0
	v_min_f32_e32 v14, v0, v9
.LBB2_4525:                             ;   in Loop: Header=BB2_3145 Depth=3
	v_accvgpr_write_b32 a61, v25
	v_and_b32_sdwa v9, v14, s97 dst_sel:DWORD dst_unused:UNUSED_PAD src0_sel:BYTE_3 src1_sel:DWORD
	v_and_b32_e32 v24, 0x7f800000, v14
	v_mov_b32_e32 v25, v51
	v_and_b32_e32 v12, 0x7fffff, v14
	v_mov_b32_e32 v13, v51
	v_or_b32_e32 v0, 0x7b, v9
	v_cmp_ne_u64_e32 vcc, s[52:53], v[24:25]
	s_and_saveexec_b64 s[30:31], vcc
	s_xor_b64 s[68:69], exec, s[30:31]
	s_cbranch_execz .LBB2_4535
; %bb.4526:                             ;   in Loop: Header=BB2_3145 Depth=3
	v_and_b32_e32 v24, 0x7fffffff, v14
	v_mov_b32_e32 v25, v51
	v_cmp_gt_u64_e32 vcc, s[54:55], v[24:25]
	s_and_saveexec_b64 s[70:71], vcc
	s_cbranch_execz .LBB2_4534
; %bb.4527:                             ;   in Loop: Header=BB2_3145 Depth=3
	v_cmp_ne_u32_e32 vcc, 0, v14
	v_mov_b32_e32 v0, 0
	s_and_saveexec_b64 s[72:73], vcc
	s_cbranch_execz .LBB2_4533
; %bb.4528:                             ;   in Loop: Header=BB2_3145 Depth=3
	v_bfe_u32 v0, v14, 23, 8
	v_cmp_eq_u32_e32 vcc, 0, v0
	v_add_u32_e32 v14, 0xffffff81, v0
	v_cmp_gt_u32_e64 s[30:31], s38, v0
	v_sub_u32_e32 v0, 0x71, v0
	v_mov_b32_e32 v24, 0xffffff82
	v_mov_b32_e32 v37, v36
	v_cndmask_b32_e64 v0, 0, v0, s[30:31]
	v_cndmask_b32_e32 v36, v14, v24, vcc
	v_mov_b32_e32 v14, 0x70
	v_cndmask_b32_e32 v0, v0, v14, vcc
	v_or_b32_e32 v15, 0x800000, v12
	v_add_u32_e32 v14, 21, v0
	v_cndmask_b32_e32 v12, v15, v12, vcc
	v_lshlrev_b64 v[14:15], v14, -1
	v_not_b32_e32 v15, v15
	v_not_b32_e32 v14, v14
	v_add_u32_e32 v24, 20, v0
	v_and_b32_e32 v15, 0, v15
	v_and_b32_e32 v14, v12, v14
	v_lshlrev_b64 v[24:25], v24, 1
	v_lshrrev_b64 v[12:13], v0, v[12:13]
	v_cmp_eq_u64_e32 vcc, v[14:15], v[24:25]
	v_lshrrev_b32_e32 v14, 23, v12
	v_add3_u32 v15, v0, v36, v14
	v_bfe_u32 v0, v12, 21, 1
	v_add_u32_e32 v0, -1, v0
	v_cndmask_b32_e32 v0, 0, v0, vcc
	v_add_u32_e32 v0, v0, v12
	v_and_b32_e32 v0, 0x1fffff, v0
	v_add_co_u32_e32 v12, vcc, v0, v12
	v_add_u32_e32 v14, 14, v15
	v_addc_co_u32_e32 v13, vcc, 0, v13, vcc
	v_cmp_ne_u32_e32 vcc, 0, v14
                                        ; implicit-def: $vgpr0
	s_and_saveexec_b64 s[30:31], vcc
	s_xor_b64 s[30:31], exec, s[30:31]
; %bb.4529:                             ;   in Loop: Header=BB2_3145 Depth=3
	v_add_u32_e32 v0, 15, v15
	v_cmp_lt_u64_e32 vcc, s[56:57], v[12:13]
	v_cndmask_b32_e32 v0, v14, v0, vcc
	v_cndmask_b32_e64 v14, 0, 1, vcc
	v_lshrrev_b64 v[12:13], v14, v[12:13]
; %bb.4530:                             ;   in Loop: Header=BB2_3145 Depth=3
	s_andn2_saveexec_b64 vcc, s[30:31]
; %bb.4531:                             ;   in Loop: Header=BB2_3145 Depth=3
	v_bfe_u32 v0, v12, 23, 1
; %bb.4532:                             ;   in Loop: Header=BB2_3145 Depth=3
	s_or_b64 exec, exec, vcc
	v_lshrrev_b64 v[12:13], 21, v[12:13]
	v_cmp_gt_i32_e32 vcc, 32, v0
	v_cndmask_b32_e32 v13, 0, v13, vcc
	v_cndmask_b32_e32 v12, 3, v12, vcc
	v_cmp_eq_u32_e32 vcc, 0, v0
	v_min_i32_e32 v0, 31, v0
	v_cmp_eq_u64_e64 s[30:31], 0, v[12:13]
	v_lshlrev_b32_e32 v0, 2, v0
	v_and_or_b32 v0, v12, 3, v0
	s_and_b64 vcc, vcc, s[30:31]
	v_cndmask_b32_e64 v0, v0, 0, vcc
	v_or_b32_e32 v0, v0, v9
	v_mov_b32_e32 v36, v37
.LBB2_4533:                             ;   in Loop: Header=BB2_3145 Depth=3
	s_or_b64 exec, exec, s[72:73]
.LBB2_4534:                             ;   in Loop: Header=BB2_3145 Depth=3
	s_or_b64 exec, exec, s[70:71]
                                        ; implicit-def: $vgpr14
                                        ; implicit-def: $vgpr12_vgpr13
.LBB2_4535:                             ;   in Loop: Header=BB2_3145 Depth=3
	s_andn2_saveexec_b64 s[30:31], s[68:69]
; %bb.4536:                             ;   in Loop: Header=BB2_3145 Depth=3
	v_or_b32_sdwa v9, v14, s39 dst_sel:DWORD dst_unused:UNUSED_PAD src0_sel:BYTE_3 src1_sel:DWORD
	v_cmp_eq_u64_e32 vcc, 0, v[12:13]
	v_cndmask_b32_e32 v0, v9, v0, vcc
; %bb.4537:                             ;   in Loop: Header=BB2_3145 Depth=3
	s_or_b64 exec, exec, s[30:31]
	v_lshrrev_b16_e32 v14, 8, v50
	v_lshrrev_b16_e32 v12, 8, v8
	s_and_b64 vcc, exec, s[28:29]
	v_cmp_ne_u16_e64 s[30:31], 0, v14
	s_cbranch_vccnz .LBB2_4555
; %bb.4538:                             ;   in Loop: Header=BB2_3145 Depth=3
	v_mov_b32_e32 v13, 0
	v_mov_b32_e32 v9, 0
	s_and_saveexec_b64 s[68:69], s[30:31]
	s_cbranch_execz .LBB2_4546
; %bb.4539:                             ;   in Loop: Header=BB2_3145 Depth=3
	v_cmp_ne_u16_e32 vcc, s97, v14
	v_bfrev_b32_e32 v9, 1
	s_and_saveexec_b64 s[70:71], vcc
	s_cbranch_execz .LBB2_4545
; %bb.4540:                             ;   in Loop: Header=BB2_3145 Depth=3
	v_and_b32_e32 v9, 0x7c, v14
	v_and_b32_e32 v56, 3, v14
	v_cmp_ne_u32_e32 vcc, s95, v9
                                        ; implicit-def: $vgpr9
	s_and_saveexec_b64 s[72:73], vcc
	s_xor_b64 s[72:73], exec, s[72:73]
	s_cbranch_execz .LBB2_4542
; %bb.4541:                             ;   in Loop: Header=BB2_3145 Depth=3
	v_ffbh_u32_e32 v24, v56
	v_mov_b32_e32 v37, v36
	v_min_u32_e32 v36, 32, v24
	v_mov_b32_e32 v15, v51
	v_bfe_u32 v9, v14, 2, 5
	v_subrev_u32_e32 v24, 29, v36
	v_lshlrev_b64 v[24:25], v24, v[14:15]
	v_sub_u32_e32 v15, 30, v36
	v_cmp_eq_u32_e32 vcc, 0, v9
	v_and_b32_e32 v24, 3, v24
	v_cndmask_b32_e32 v9, v9, v15, vcc
	v_bfrev_b32_e32 v25, 28
	v_cndmask_b32_e32 v15, v56, v24, vcc
	v_lshlrev_b32_e32 v24, 16, v50
	v_lshl_add_u32 v9, v9, 23, v25
	v_and_or_b32 v9, v24, s96, v9
	v_mov_b32_e32 v36, v37
	v_lshl_or_b32 v9, v15, 21, v9
                                        ; implicit-def: $vgpr56
.LBB2_4542:                             ;   in Loop: Header=BB2_3145 Depth=3
	s_andn2_saveexec_b64 s[72:73], s[72:73]
; %bb.4543:                             ;   in Loop: Header=BB2_3145 Depth=3
	v_cmp_lt_i16_e32 vcc, -1, v50
	v_mov_b32_e32 v9, 0xc7600000
	v_mov_b32_e32 v15, 0x47600000
	v_cndmask_b32_e32 v9, v9, v15, vcc
	v_cmp_eq_u32_e32 vcc, 0, v56
	v_mov_b32_e32 v15, 0x7f800001
	v_cndmask_b32_e32 v9, v15, v9, vcc
; %bb.4544:                             ;   in Loop: Header=BB2_3145 Depth=3
	s_or_b64 exec, exec, s[72:73]
.LBB2_4545:                             ;   in Loop: Header=BB2_3145 Depth=3
	s_or_b64 exec, exec, s[70:71]
.LBB2_4546:                             ;   in Loop: Header=BB2_3145 Depth=3
	s_or_b64 exec, exec, s[68:69]
	v_cmp_ne_u16_e32 vcc, 0, v12
	s_and_saveexec_b64 s[68:69], vcc
	s_cbranch_execz .LBB2_4554
; %bb.4547:                             ;   in Loop: Header=BB2_3145 Depth=3
	v_cmp_ne_u16_e32 vcc, s97, v12
	v_bfrev_b32_e32 v13, 1
	s_and_saveexec_b64 s[70:71], vcc
	s_cbranch_execz .LBB2_4553
; %bb.4548:                             ;   in Loop: Header=BB2_3145 Depth=3
	v_and_b32_e32 v13, 0x7c, v12
	v_and_b32_e32 v15, 3, v12
	v_cmp_ne_u32_e32 vcc, s95, v13
                                        ; implicit-def: $vgpr13
	s_and_saveexec_b64 s[72:73], vcc
	s_xor_b64 s[72:73], exec, s[72:73]
	s_cbranch_execz .LBB2_4550
; %bb.4549:                             ;   in Loop: Header=BB2_3145 Depth=3
	v_ffbh_u32_e32 v24, v15
	v_min_u32_e32 v37, 32, v24
	v_mov_b32_e32 v13, v51
	v_mov_b32_e32 v56, v36
	v_bfe_u32 v36, v12, 2, 5
	v_subrev_u32_e32 v24, 29, v37
	v_lshlrev_b64 v[24:25], v24, v[12:13]
	v_sub_u32_e32 v13, 30, v37
	v_cmp_eq_u32_e32 vcc, 0, v36
	v_and_b32_e32 v24, 3, v24
	v_cndmask_b32_e32 v13, v36, v13, vcc
	v_bfrev_b32_e32 v25, 28
	v_cndmask_b32_e32 v15, v15, v24, vcc
	v_lshlrev_b32_e32 v24, 16, v8
	v_lshl_add_u32 v13, v13, 23, v25
	v_and_or_b32 v13, v24, s96, v13
	v_mov_b32_e32 v36, v56
	v_lshl_or_b32 v13, v15, 21, v13
                                        ; implicit-def: $vgpr15
.LBB2_4550:                             ;   in Loop: Header=BB2_3145 Depth=3
	s_andn2_saveexec_b64 s[72:73], s[72:73]
; %bb.4551:                             ;   in Loop: Header=BB2_3145 Depth=3
	v_cmp_lt_i16_e32 vcc, -1, v8
	v_mov_b32_e32 v13, 0xc7600000
	v_mov_b32_e32 v24, 0x47600000
	v_cndmask_b32_e32 v13, v13, v24, vcc
	v_cmp_eq_u32_e32 vcc, 0, v15
	v_mov_b32_e32 v15, 0x7f800001
	v_cndmask_b32_e32 v13, v15, v13, vcc
; %bb.4552:                             ;   in Loop: Header=BB2_3145 Depth=3
	s_or_b64 exec, exec, s[72:73]
.LBB2_4553:                             ;   in Loop: Header=BB2_3145 Depth=3
	s_or_b64 exec, exec, s[70:71]
.LBB2_4554:                             ;   in Loop: Header=BB2_3145 Depth=3
	s_or_b64 exec, exec, s[68:69]
	v_max_f32_e32 v13, v13, v13
	v_max_f32_e32 v9, v9, v9
	;; [unrolled: 1-line block ×3, first 2 shown]
	s_branch .LBB2_4573
.LBB2_4555:                             ;   in Loop: Header=BB2_3145 Depth=3
                                        ; implicit-def: $vgpr9
	s_cbranch_execz .LBB2_4573
; %bb.4556:                             ;   in Loop: Header=BB2_3145 Depth=3
	v_mov_b32_e32 v13, 0
	v_mov_b32_e32 v15, 0
	s_and_saveexec_b64 s[68:69], s[30:31]
	s_cbranch_execz .LBB2_4564
; %bb.4557:                             ;   in Loop: Header=BB2_3145 Depth=3
	v_cmp_ne_u16_e32 vcc, s97, v14
	v_bfrev_b32_e32 v15, 1
	s_and_saveexec_b64 s[30:31], vcc
	s_cbranch_execz .LBB2_4563
; %bb.4558:                             ;   in Loop: Header=BB2_3145 Depth=3
	v_and_b32_e32 v15, 0x7c, v14
	v_and_b32_e32 v9, 3, v14
	v_cmp_ne_u32_e32 vcc, s95, v15
                                        ; implicit-def: $vgpr15
	s_and_saveexec_b64 s[70:71], vcc
	s_xor_b64 s[70:71], exec, s[70:71]
	s_cbranch_execz .LBB2_4560
; %bb.4559:                             ;   in Loop: Header=BB2_3145 Depth=3
	v_ffbh_u32_e32 v25, v9
	v_min_u32_e32 v25, 32, v25
	v_mov_b32_e32 v15, v51
	v_mov_b32_e32 v37, v36
	v_subrev_u32_e32 v36, 29, v25
	v_bfe_u32 v24, v14, 2, 5
	v_lshlrev_b64 v[14:15], v36, v[14:15]
	v_sub_u32_e32 v15, 30, v25
	v_cmp_eq_u32_e32 vcc, 0, v24
	v_and_b32_e32 v14, 3, v14
	v_cndmask_b32_e32 v15, v24, v15, vcc
	v_bfrev_b32_e32 v24, 28
	v_cndmask_b32_e32 v9, v9, v14, vcc
	v_lshlrev_b32_e32 v14, 16, v50
	v_lshl_add_u32 v15, v15, 23, v24
	v_and_or_b32 v14, v14, s96, v15
	v_mov_b32_e32 v36, v37
	v_lshl_or_b32 v15, v9, 21, v14
                                        ; implicit-def: $vgpr9
.LBB2_4560:                             ;   in Loop: Header=BB2_3145 Depth=3
	s_andn2_saveexec_b64 s[70:71], s[70:71]
; %bb.4561:                             ;   in Loop: Header=BB2_3145 Depth=3
	v_cmp_lt_i16_e32 vcc, -1, v50
	v_mov_b32_e32 v14, 0xc7600000
	v_mov_b32_e32 v15, 0x47600000
	v_cndmask_b32_e32 v14, v14, v15, vcc
	v_cmp_eq_u32_e32 vcc, 0, v9
	v_mov_b32_e32 v9, 0x7f800001
	v_cndmask_b32_e32 v15, v9, v14, vcc
; %bb.4562:                             ;   in Loop: Header=BB2_3145 Depth=3
	s_or_b64 exec, exec, s[70:71]
.LBB2_4563:                             ;   in Loop: Header=BB2_3145 Depth=3
	s_or_b64 exec, exec, s[30:31]
.LBB2_4564:                             ;   in Loop: Header=BB2_3145 Depth=3
	s_or_b64 exec, exec, s[68:69]
	v_cmp_ne_u16_e32 vcc, 0, v12
	s_and_saveexec_b64 s[30:31], vcc
	s_cbranch_execz .LBB2_4572
; %bb.4565:                             ;   in Loop: Header=BB2_3145 Depth=3
	v_cmp_ne_u16_e32 vcc, s97, v12
	v_bfrev_b32_e32 v13, 1
	s_and_saveexec_b64 s[68:69], vcc
	s_cbranch_execz .LBB2_4571
; %bb.4566:                             ;   in Loop: Header=BB2_3145 Depth=3
	v_and_b32_e32 v9, 0x7c, v12
	v_and_b32_e32 v14, 3, v12
	v_cmp_ne_u32_e32 vcc, s95, v9
                                        ; implicit-def: $vgpr13
	s_and_saveexec_b64 s[70:71], vcc
	s_xor_b64 s[70:71], exec, s[70:71]
	s_cbranch_execz .LBB2_4568
; %bb.4567:                             ;   in Loop: Header=BB2_3145 Depth=3
	v_ffbh_u32_e32 v24, v14
	v_min_u32_e32 v24, 32, v24
	v_mov_b32_e32 v13, v51
	v_subrev_u32_e32 v25, 29, v24
	v_bfe_u32 v9, v12, 2, 5
	v_lshlrev_b64 v[12:13], v25, v[12:13]
	v_sub_u32_e32 v13, 30, v24
	v_cmp_eq_u32_e32 vcc, 0, v9
	v_cndmask_b32_e32 v9, v9, v13, vcc
	v_bfrev_b32_e32 v13, 28
	v_and_b32_e32 v12, 3, v12
	v_lshlrev_b32_e32 v8, 16, v8
	v_lshl_add_u32 v9, v9, 23, v13
	v_cndmask_b32_e32 v12, v14, v12, vcc
	v_and_or_b32 v8, v8, s96, v9
	v_lshl_or_b32 v13, v12, 21, v8
                                        ; implicit-def: $vgpr14
                                        ; implicit-def: $vgpr8_vgpr9
.LBB2_4568:                             ;   in Loop: Header=BB2_3145 Depth=3
	s_andn2_saveexec_b64 s[70:71], s[70:71]
; %bb.4569:                             ;   in Loop: Header=BB2_3145 Depth=3
	v_cmp_lt_i16_e32 vcc, -1, v8
	v_mov_b32_e32 v8, 0xc7600000
	v_mov_b32_e32 v9, 0x47600000
	v_cndmask_b32_e32 v8, v8, v9, vcc
	v_cmp_eq_u32_e32 vcc, 0, v14
	v_mov_b32_e32 v9, 0x7f800001
	v_cndmask_b32_e32 v13, v9, v8, vcc
; %bb.4570:                             ;   in Loop: Header=BB2_3145 Depth=3
	s_or_b64 exec, exec, s[70:71]
.LBB2_4571:                             ;   in Loop: Header=BB2_3145 Depth=3
	s_or_b64 exec, exec, s[68:69]
.LBB2_4572:                             ;   in Loop: Header=BB2_3145 Depth=3
	s_or_b64 exec, exec, s[30:31]
	v_max_f32_e32 v8, v13, v13
	v_max_f32_e32 v9, v15, v15
	v_min_f32_e32 v9, v9, v8
.LBB2_4573:                             ;   in Loop: Header=BB2_3145 Depth=3
	v_and_b32_sdwa v12, v9, s97 dst_sel:DWORD dst_unused:UNUSED_PAD src0_sel:BYTE_3 src1_sel:DWORD
	v_and_b32_e32 v14, 0x7f800000, v9
	v_mov_b32_e32 v15, v51
	v_and_b32_e32 v50, 0x7fffff, v9
	v_or_b32_e32 v13, 0x7b, v12
	v_cmp_ne_u64_e32 vcc, s[52:53], v[14:15]
	s_and_saveexec_b64 s[30:31], vcc
	s_xor_b64 s[68:69], exec, s[30:31]
	s_cbranch_execz .LBB2_4583
; %bb.4574:                             ;   in Loop: Header=BB2_3145 Depth=3
	v_and_b32_e32 v14, 0x7fffffff, v9
	v_mov_b32_e32 v15, v51
	v_cmp_gt_u64_e32 vcc, s[54:55], v[14:15]
	s_and_saveexec_b64 s[70:71], vcc
	s_cbranch_execz .LBB2_4582
; %bb.4575:                             ;   in Loop: Header=BB2_3145 Depth=3
	v_cmp_ne_u32_e32 vcc, 0, v9
	v_mov_b32_e32 v13, 0
	s_and_saveexec_b64 s[72:73], vcc
	s_cbranch_execz .LBB2_4581
; %bb.4576:                             ;   in Loop: Header=BB2_3145 Depth=3
	v_bfe_u32 v8, v9, 23, 8
	v_cmp_eq_u32_e32 vcc, 0, v8
	v_add_u32_e32 v9, 0xffffff81, v8
	v_cmp_gt_u32_e64 s[30:31], s38, v8
	v_sub_u32_e32 v8, 0x71, v8
	v_mov_b32_e32 v14, 0xffffff82
	v_cndmask_b32_e64 v8, 0, v8, s[30:31]
	v_cndmask_b32_e32 v24, v9, v14, vcc
	v_mov_b32_e32 v9, 0x70
	v_cndmask_b32_e32 v25, v8, v9, vcc
	v_add_u32_e32 v8, 21, v25
	v_or_b32_e32 v13, 0x800000, v50
	v_lshlrev_b64 v[8:9], v8, -1
	v_cndmask_b32_e32 v50, v13, v50, vcc
	v_not_b32_e32 v9, v9
	v_not_b32_e32 v8, v8
	v_add_u32_e32 v13, 20, v25
	v_and_b32_e32 v9, 0, v9
	v_and_b32_e32 v8, v50, v8
	v_lshlrev_b64 v[14:15], v13, 1
	v_cmp_eq_u64_e32 vcc, v[8:9], v[14:15]
	v_lshrrev_b64 v[8:9], v25, v[50:51]
	v_lshrrev_b32_e32 v13, 23, v8
	v_add3_u32 v15, v25, v24, v13
	v_bfe_u32 v13, v8, 21, 1
	v_add_u32_e32 v13, -1, v13
	v_cndmask_b32_e32 v13, 0, v13, vcc
	v_add_u32_e32 v13, v13, v8
	v_and_b32_e32 v13, 0x1fffff, v13
	v_add_co_u32_e32 v8, vcc, v13, v8
	v_add_u32_e32 v14, 14, v15
	v_addc_co_u32_e32 v9, vcc, 0, v9, vcc
	v_cmp_ne_u32_e32 vcc, 0, v14
                                        ; implicit-def: $vgpr13
	s_and_saveexec_b64 s[30:31], vcc
	s_xor_b64 s[30:31], exec, s[30:31]
; %bb.4577:                             ;   in Loop: Header=BB2_3145 Depth=3
	v_add_u32_e32 v13, 15, v15
	v_cmp_lt_u64_e32 vcc, s[56:57], v[8:9]
	v_cndmask_b32_e32 v13, v14, v13, vcc
	v_cndmask_b32_e64 v14, 0, 1, vcc
	v_lshrrev_b64 v[8:9], v14, v[8:9]
; %bb.4578:                             ;   in Loop: Header=BB2_3145 Depth=3
	s_andn2_saveexec_b64 vcc, s[30:31]
; %bb.4579:                             ;   in Loop: Header=BB2_3145 Depth=3
	v_bfe_u32 v13, v8, 23, 1
; %bb.4580:                             ;   in Loop: Header=BB2_3145 Depth=3
	s_or_b64 exec, exec, vcc
	v_lshrrev_b64 v[8:9], 21, v[8:9]
	v_cmp_gt_i32_e32 vcc, 32, v13
	v_cndmask_b32_e32 v9, 0, v9, vcc
	v_cndmask_b32_e32 v8, 3, v8, vcc
	v_cmp_eq_u64_e64 s[30:31], 0, v[8:9]
	v_min_i32_e32 v9, 31, v13
	v_cmp_eq_u32_e32 vcc, 0, v13
	v_lshlrev_b32_e32 v9, 2, v9
	v_and_or_b32 v8, v8, 3, v9
	s_and_b64 vcc, vcc, s[30:31]
	v_cndmask_b32_e64 v8, v8, 0, vcc
	v_or_b32_e32 v13, v8, v12
.LBB2_4581:                             ;   in Loop: Header=BB2_3145 Depth=3
	s_or_b64 exec, exec, s[72:73]
.LBB2_4582:                             ;   in Loop: Header=BB2_3145 Depth=3
	s_or_b64 exec, exec, s[70:71]
                                        ; implicit-def: $vgpr9
.LBB2_4583:                             ;   in Loop: Header=BB2_3145 Depth=3
	s_andn2_saveexec_b64 s[30:31], s[68:69]
; %bb.4584:                             ;   in Loop: Header=BB2_3145 Depth=3
	v_or_b32_sdwa v8, v9, s39 dst_sel:DWORD dst_unused:UNUSED_PAD src0_sel:BYTE_3 src1_sel:DWORD
	v_cmp_eq_u64_e32 vcc, 0, v[50:51]
	v_cndmask_b32_e32 v13, v8, v13, vcc
; %bb.4585:                             ;   in Loop: Header=BB2_3145 Depth=3
	s_or_b64 exec, exec, s[30:31]
	v_lshrrev_b32_e32 v12, 16, v29
	v_lshrrev_b32_e32 v8, 16, v11
	s_and_b64 vcc, exec, s[28:29]
	v_cmp_ne_u16_sdwa s[30:31], v12, v51 src0_sel:BYTE_0 src1_sel:DWORD
	s_cbranch_vccnz .LBB2_4603
; %bb.4586:                             ;   in Loop: Header=BB2_3145 Depth=3
	v_mov_b32_e32 v14, 0
	v_mov_b32_e32 v9, 0
	s_and_saveexec_b64 s[68:69], s[30:31]
	s_cbranch_execz .LBB2_4594
; %bb.4587:                             ;   in Loop: Header=BB2_3145 Depth=3
	v_cmp_ne_u16_sdwa vcc, v12, s97 src0_sel:BYTE_0 src1_sel:DWORD
	v_bfrev_b32_e32 v9, 1
	s_and_saveexec_b64 s[70:71], vcc
	s_cbranch_execz .LBB2_4593
; %bb.4588:                             ;   in Loop: Header=BB2_3145 Depth=3
	v_and_b32_e32 v9, 0x7c0000, v29
	v_bfe_u32 v15, v29, 16, 2
	v_cmp_ne_u32_e32 vcc, s36, v9
                                        ; implicit-def: $vgpr9
	s_and_saveexec_b64 s[72:73], vcc
	s_xor_b64 s[72:73], exec, s[72:73]
	s_cbranch_execz .LBB2_4590
; %bb.4589:                             ;   in Loop: Header=BB2_3145 Depth=3
	v_ffbh_u32_e32 v24, v15
	v_mov_b32_e32 v37, v36
	v_min_u32_e32 v36, 32, v24
	v_subrev_u32_e32 v24, 29, v36
	v_bfe_u32 v9, v29, 18, 5
	v_lshlrev_b64 v[24:25], v24, v[12:13]
	v_sub_u32_e32 v25, 30, v36
	v_cmp_eq_u32_e32 vcc, 0, v9
	v_and_b32_e32 v24, 3, v24
	v_cndmask_b32_e32 v9, v9, v25, vcc
	v_bfrev_b32_e32 v25, 28
	v_cndmask_b32_e32 v15, v15, v24, vcc
	v_lshlrev_b32_e32 v24, 24, v12
	v_lshl_add_u32 v9, v9, 23, v25
	v_and_or_b32 v9, v24, s96, v9
	v_mov_b32_e32 v36, v37
	v_lshl_or_b32 v9, v15, 21, v9
                                        ; implicit-def: $vgpr15
.LBB2_4590:                             ;   in Loop: Header=BB2_3145 Depth=3
	s_andn2_saveexec_b64 s[72:73], s[72:73]
; %bb.4591:                             ;   in Loop: Header=BB2_3145 Depth=3
	v_mov_b32_e32 v9, -1
	v_cmp_gt_i16_sdwa vcc, sext(v12), v9 src0_sel:BYTE_0 src1_sel:DWORD
	v_mov_b32_e32 v9, 0xc7600000
	v_mov_b32_e32 v24, 0x47600000
	v_cndmask_b32_e32 v9, v9, v24, vcc
	v_cmp_eq_u32_e32 vcc, 0, v15
	v_mov_b32_e32 v15, 0x7f800001
	v_cndmask_b32_e32 v9, v15, v9, vcc
; %bb.4592:                             ;   in Loop: Header=BB2_3145 Depth=3
	s_or_b64 exec, exec, s[72:73]
.LBB2_4593:                             ;   in Loop: Header=BB2_3145 Depth=3
	s_or_b64 exec, exec, s[70:71]
.LBB2_4594:                             ;   in Loop: Header=BB2_3145 Depth=3
	s_or_b64 exec, exec, s[68:69]
	v_cmp_ne_u16_sdwa vcc, v8, v51 src0_sel:BYTE_0 src1_sel:DWORD
	s_and_saveexec_b64 s[68:69], vcc
	s_cbranch_execz .LBB2_4602
; %bb.4595:                             ;   in Loop: Header=BB2_3145 Depth=3
	v_cmp_ne_u16_sdwa vcc, v8, s97 src0_sel:BYTE_0 src1_sel:DWORD
	v_bfrev_b32_e32 v14, 1
	s_and_saveexec_b64 s[70:71], vcc
	s_cbranch_execz .LBB2_4601
; %bb.4596:                             ;   in Loop: Header=BB2_3145 Depth=3
	v_and_b32_e32 v14, 0x7c0000, v11
	v_bfe_u32 v15, v11, 16, 2
	v_cmp_ne_u32_e32 vcc, s36, v14
                                        ; implicit-def: $vgpr14
	s_and_saveexec_b64 s[72:73], vcc
	s_xor_b64 s[72:73], exec, s[72:73]
	s_cbranch_execz .LBB2_4598
; %bb.4597:                             ;   in Loop: Header=BB2_3145 Depth=3
	v_ffbh_u32_e32 v24, v15
	v_mov_b32_e32 v37, v36
	v_min_u32_e32 v36, 32, v24
	v_subrev_u32_e32 v24, 29, v36
	v_bfe_u32 v14, v11, 18, 5
	v_lshlrev_b64 v[24:25], v24, v[8:9]
	v_sub_u32_e32 v25, 30, v36
	v_cmp_eq_u32_e32 vcc, 0, v14
	v_and_b32_e32 v24, 3, v24
	v_cndmask_b32_e32 v14, v14, v25, vcc
	v_bfrev_b32_e32 v25, 28
	v_cndmask_b32_e32 v15, v15, v24, vcc
	v_lshlrev_b32_e32 v24, 24, v8
	v_lshl_add_u32 v14, v14, 23, v25
	v_and_or_b32 v14, v24, s96, v14
	v_mov_b32_e32 v36, v37
	v_lshl_or_b32 v14, v15, 21, v14
                                        ; implicit-def: $vgpr15
.LBB2_4598:                             ;   in Loop: Header=BB2_3145 Depth=3
	s_andn2_saveexec_b64 s[72:73], s[72:73]
; %bb.4599:                             ;   in Loop: Header=BB2_3145 Depth=3
	v_mov_b32_e32 v14, -1
	v_cmp_gt_i16_sdwa vcc, sext(v8), v14 src0_sel:BYTE_0 src1_sel:DWORD
	v_mov_b32_e32 v14, 0xc7600000
	v_mov_b32_e32 v24, 0x47600000
	v_cndmask_b32_e32 v14, v14, v24, vcc
	v_cmp_eq_u32_e32 vcc, 0, v15
	v_mov_b32_e32 v15, 0x7f800001
	v_cndmask_b32_e32 v14, v15, v14, vcc
; %bb.4600:                             ;   in Loop: Header=BB2_3145 Depth=3
	s_or_b64 exec, exec, s[72:73]
.LBB2_4601:                             ;   in Loop: Header=BB2_3145 Depth=3
	s_or_b64 exec, exec, s[70:71]
.LBB2_4602:                             ;   in Loop: Header=BB2_3145 Depth=3
	s_or_b64 exec, exec, s[68:69]
	v_max_f32_e32 v14, v14, v14
	v_max_f32_e32 v9, v9, v9
	;; [unrolled: 1-line block ×3, first 2 shown]
	s_branch .LBB2_4621
.LBB2_4603:                             ;   in Loop: Header=BB2_3145 Depth=3
                                        ; implicit-def: $vgpr9
	s_cbranch_execz .LBB2_4621
; %bb.4604:                             ;   in Loop: Header=BB2_3145 Depth=3
	v_mov_b32_e32 v14, 0
	v_mov_b32_e32 v9, 0
	s_and_saveexec_b64 s[68:69], s[30:31]
	s_cbranch_execz .LBB2_4612
; %bb.4605:                             ;   in Loop: Header=BB2_3145 Depth=3
	v_cmp_ne_u16_sdwa vcc, v12, s97 src0_sel:BYTE_0 src1_sel:DWORD
	v_bfrev_b32_e32 v9, 1
	s_and_saveexec_b64 s[30:31], vcc
	s_cbranch_execz .LBB2_4611
; %bb.4606:                             ;   in Loop: Header=BB2_3145 Depth=3
	v_and_b32_e32 v9, 0x7c0000, v29
	v_bfe_u32 v15, v29, 16, 2
	v_cmp_ne_u32_e32 vcc, s36, v9
                                        ; implicit-def: $vgpr9
	s_and_saveexec_b64 s[70:71], vcc
	s_xor_b64 s[70:71], exec, s[70:71]
	s_cbranch_execz .LBB2_4608
; %bb.4607:                             ;   in Loop: Header=BB2_3145 Depth=3
	v_ffbh_u32_e32 v24, v15
	v_mov_b32_e32 v37, v36
	v_min_u32_e32 v36, 32, v24
	v_subrev_u32_e32 v24, 29, v36
	v_bfe_u32 v9, v29, 18, 5
	v_lshlrev_b64 v[24:25], v24, v[12:13]
	v_sub_u32_e32 v25, 30, v36
	v_and_b32_e32 v24, 3, v24
	v_cmp_eq_u32_e32 vcc, 0, v9
	v_cndmask_b32_e32 v9, v9, v25, vcc
	v_cndmask_b32_e32 v15, v15, v24, vcc
	v_bfrev_b32_e32 v24, 28
	v_lshlrev_b32_e32 v12, 24, v12
	v_lshl_add_u32 v9, v9, 23, v24
	v_and_or_b32 v9, v12, s96, v9
	v_mov_b32_e32 v36, v37
	v_lshl_or_b32 v9, v15, 21, v9
                                        ; implicit-def: $vgpr15
                                        ; implicit-def: $vgpr12
.LBB2_4608:                             ;   in Loop: Header=BB2_3145 Depth=3
	s_andn2_saveexec_b64 s[70:71], s[70:71]
; %bb.4609:                             ;   in Loop: Header=BB2_3145 Depth=3
	v_mov_b32_e32 v9, -1
	v_cmp_gt_i16_sdwa vcc, sext(v12), v9 src0_sel:BYTE_0 src1_sel:DWORD
	v_mov_b32_e32 v9, 0xc7600000
	v_mov_b32_e32 v12, 0x47600000
	v_cndmask_b32_e32 v9, v9, v12, vcc
	v_cmp_eq_u32_e32 vcc, 0, v15
	v_mov_b32_e32 v12, 0x7f800001
	v_cndmask_b32_e32 v9, v12, v9, vcc
; %bb.4610:                             ;   in Loop: Header=BB2_3145 Depth=3
	s_or_b64 exec, exec, s[70:71]
.LBB2_4611:                             ;   in Loop: Header=BB2_3145 Depth=3
	s_or_b64 exec, exec, s[30:31]
.LBB2_4612:                             ;   in Loop: Header=BB2_3145 Depth=3
	s_or_b64 exec, exec, s[68:69]
	v_cmp_ne_u16_sdwa vcc, v8, v51 src0_sel:BYTE_0 src1_sel:DWORD
	s_and_saveexec_b64 s[30:31], vcc
	s_cbranch_execz .LBB2_4620
; %bb.4613:                             ;   in Loop: Header=BB2_3145 Depth=3
	v_cmp_ne_u16_sdwa vcc, v8, s97 src0_sel:BYTE_0 src1_sel:DWORD
	v_bfrev_b32_e32 v14, 1
	s_and_saveexec_b64 s[68:69], vcc
	s_cbranch_execz .LBB2_4619
; %bb.4614:                             ;   in Loop: Header=BB2_3145 Depth=3
	v_and_b32_e32 v14, 0x7c0000, v11
	v_bfe_u32 v12, v11, 16, 2
	v_cmp_ne_u32_e32 vcc, s36, v14
                                        ; implicit-def: $vgpr14
	s_and_saveexec_b64 s[70:71], vcc
	s_xor_b64 s[70:71], exec, s[70:71]
	s_cbranch_execz .LBB2_4616
; %bb.4615:                             ;   in Loop: Header=BB2_3145 Depth=3
	v_ffbh_u32_e32 v14, v12
	v_min_u32_e32 v25, 32, v14
	v_subrev_u32_e32 v14, 29, v25
	v_bfe_u32 v24, v11, 18, 5
	v_lshlrev_b64 v[14:15], v14, v[8:9]
	v_sub_u32_e32 v15, 30, v25
	v_and_b32_e32 v14, 3, v14
	v_cmp_eq_u32_e32 vcc, 0, v24
	v_cndmask_b32_e32 v15, v24, v15, vcc
	v_cndmask_b32_e32 v12, v12, v14, vcc
	v_bfrev_b32_e32 v14, 28
	v_lshlrev_b32_e32 v8, 24, v8
	v_lshl_add_u32 v14, v15, 23, v14
	v_and_or_b32 v8, v8, s96, v14
	v_lshl_or_b32 v14, v12, 21, v8
                                        ; implicit-def: $vgpr12
                                        ; implicit-def: $vgpr8
.LBB2_4616:                             ;   in Loop: Header=BB2_3145 Depth=3
	s_andn2_saveexec_b64 s[70:71], s[70:71]
; %bb.4617:                             ;   in Loop: Header=BB2_3145 Depth=3
	v_mov_b32_e32 v14, -1
	v_cmp_gt_i16_sdwa vcc, sext(v8), v14 src0_sel:BYTE_0 src1_sel:DWORD
	v_mov_b32_e32 v8, 0xc7600000
	v_mov_b32_e32 v14, 0x47600000
	v_cndmask_b32_e32 v8, v8, v14, vcc
	v_cmp_eq_u32_e32 vcc, 0, v12
	v_mov_b32_e32 v12, 0x7f800001
	v_cndmask_b32_e32 v14, v12, v8, vcc
; %bb.4618:                             ;   in Loop: Header=BB2_3145 Depth=3
	s_or_b64 exec, exec, s[70:71]
.LBB2_4619:                             ;   in Loop: Header=BB2_3145 Depth=3
	s_or_b64 exec, exec, s[68:69]
.LBB2_4620:                             ;   in Loop: Header=BB2_3145 Depth=3
	s_or_b64 exec, exec, s[30:31]
	v_max_f32_e32 v8, v14, v14
	v_max_f32_e32 v9, v9, v9
	v_min_f32_e32 v9, v9, v8
.LBB2_4621:                             ;   in Loop: Header=BB2_3145 Depth=3
	v_and_b32_sdwa v12, v9, s97 dst_sel:DWORD dst_unused:UNUSED_PAD src0_sel:BYTE_3 src1_sel:DWORD
	v_and_b32_e32 v24, 0x7f800000, v9
	v_mov_b32_e32 v25, v51
	v_and_b32_e32 v50, 0x7fffff, v9
	v_or_b32_e32 v14, 0x7b, v12
	v_cmp_ne_u64_e32 vcc, s[52:53], v[24:25]
	s_and_saveexec_b64 s[30:31], vcc
	s_xor_b64 s[68:69], exec, s[30:31]
	s_cbranch_execz .LBB2_4631
; %bb.4622:                             ;   in Loop: Header=BB2_3145 Depth=3
	v_and_b32_e32 v24, 0x7fffffff, v9
	v_mov_b32_e32 v25, v51
	v_cmp_gt_u64_e32 vcc, s[54:55], v[24:25]
	s_and_saveexec_b64 s[70:71], vcc
	s_cbranch_execz .LBB2_4630
; %bb.4623:                             ;   in Loop: Header=BB2_3145 Depth=3
	v_cmp_ne_u32_e32 vcc, 0, v9
	v_mov_b32_e32 v14, 0
	s_and_saveexec_b64 s[72:73], vcc
	s_cbranch_execz .LBB2_4629
; %bb.4624:                             ;   in Loop: Header=BB2_3145 Depth=3
	v_bfe_u32 v8, v9, 23, 8
	v_cmp_eq_u32_e32 vcc, 0, v8
	v_add_u32_e32 v9, 0xffffff81, v8
	v_cmp_gt_u32_e64 s[30:31], s38, v8
	v_sub_u32_e32 v8, 0x71, v8
	v_mov_b32_e32 v15, 0xffffff82
	v_cndmask_b32_e64 v8, 0, v8, s[30:31]
	v_cndmask_b32_e32 v24, v9, v15, vcc
	v_mov_b32_e32 v9, 0x70
	v_cndmask_b32_e32 v25, v8, v9, vcc
	v_add_u32_e32 v8, 21, v25
	v_or_b32_e32 v14, 0x800000, v50
	v_lshlrev_b64 v[8:9], v8, -1
	v_cndmask_b32_e32 v50, v14, v50, vcc
	v_not_b32_e32 v9, v9
	v_not_b32_e32 v8, v8
	v_add_u32_e32 v14, 20, v25
	v_and_b32_e32 v9, 0, v9
	v_and_b32_e32 v8, v50, v8
	v_lshlrev_b64 v[14:15], v14, 1
	v_cmp_eq_u64_e32 vcc, v[8:9], v[14:15]
	v_lshrrev_b64 v[8:9], v25, v[50:51]
	v_lshrrev_b32_e32 v14, 23, v8
	v_add3_u32 v24, v25, v24, v14
	v_bfe_u32 v14, v8, 21, 1
	v_add_u32_e32 v14, -1, v14
	v_cndmask_b32_e32 v14, 0, v14, vcc
	v_add_u32_e32 v14, v14, v8
	v_and_b32_e32 v14, 0x1fffff, v14
	v_add_co_u32_e32 v8, vcc, v14, v8
	v_add_u32_e32 v15, 14, v24
	v_addc_co_u32_e32 v9, vcc, 0, v9, vcc
	v_cmp_ne_u32_e32 vcc, 0, v15
                                        ; implicit-def: $vgpr14
	s_and_saveexec_b64 s[30:31], vcc
	s_xor_b64 s[30:31], exec, s[30:31]
; %bb.4625:                             ;   in Loop: Header=BB2_3145 Depth=3
	v_add_u32_e32 v14, 15, v24
	v_cmp_lt_u64_e32 vcc, s[56:57], v[8:9]
	v_cndmask_b32_e32 v14, v15, v14, vcc
	v_cndmask_b32_e64 v15, 0, 1, vcc
	v_lshrrev_b64 v[8:9], v15, v[8:9]
; %bb.4626:                             ;   in Loop: Header=BB2_3145 Depth=3
	s_andn2_saveexec_b64 vcc, s[30:31]
; %bb.4627:                             ;   in Loop: Header=BB2_3145 Depth=3
	v_bfe_u32 v14, v8, 23, 1
; %bb.4628:                             ;   in Loop: Header=BB2_3145 Depth=3
	s_or_b64 exec, exec, vcc
	v_lshrrev_b64 v[8:9], 21, v[8:9]
	v_cmp_gt_i32_e32 vcc, 32, v14
	v_cndmask_b32_e32 v9, 0, v9, vcc
	v_cndmask_b32_e32 v8, 3, v8, vcc
	v_cmp_eq_u64_e64 s[30:31], 0, v[8:9]
	v_min_i32_e32 v9, 31, v14
	v_cmp_eq_u32_e32 vcc, 0, v14
	v_lshlrev_b32_e32 v9, 2, v9
	v_and_or_b32 v8, v8, 3, v9
	s_and_b64 vcc, vcc, s[30:31]
	v_cndmask_b32_e64 v8, v8, 0, vcc
	v_or_b32_e32 v14, v8, v12
.LBB2_4629:                             ;   in Loop: Header=BB2_3145 Depth=3
	s_or_b64 exec, exec, s[72:73]
.LBB2_4630:                             ;   in Loop: Header=BB2_3145 Depth=3
	s_or_b64 exec, exec, s[70:71]
                                        ; implicit-def: $vgpr9
.LBB2_4631:                             ;   in Loop: Header=BB2_3145 Depth=3
	s_andn2_saveexec_b64 s[30:31], s[68:69]
; %bb.4632:                             ;   in Loop: Header=BB2_3145 Depth=3
	v_or_b32_sdwa v8, v9, s39 dst_sel:DWORD dst_unused:UNUSED_PAD src0_sel:BYTE_3 src1_sel:DWORD
	v_cmp_eq_u64_e32 vcc, 0, v[50:51]
	v_cndmask_b32_e32 v14, v8, v14, vcc
; %bb.4633:                             ;   in Loop: Header=BB2_3145 Depth=3
	s_or_b64 exec, exec, s[30:31]
	v_lshrrev_b32_e32 v12, 24, v29
	v_lshrrev_b32_e32 v8, 24, v11
	s_and_b64 vcc, exec, s[28:29]
	v_cmp_lt_u64_e64 s[28:29], s[42:43], v[28:29]
	s_cbranch_vccnz .LBB2_4651
; %bb.4634:                             ;   in Loop: Header=BB2_3145 Depth=3
	v_mov_b32_e32 v15, 0
	v_mov_b32_e32 v9, 0
	s_and_saveexec_b64 s[30:31], s[28:29]
	s_cbranch_execz .LBB2_4642
; %bb.4635:                             ;   in Loop: Header=BB2_3145 Depth=3
	v_cmp_ne_u32_e32 vcc, s97, v12
	v_bfrev_b32_e32 v9, 1
	s_and_saveexec_b64 s[68:69], vcc
	s_cbranch_execz .LBB2_4641
; %bb.4636:                             ;   in Loop: Header=BB2_3145 Depth=3
	v_and_b32_e32 v9, 0x7c000000, v29
	v_bfe_u32 v24, v29, 24, 2
	v_cmp_ne_u32_e32 vcc, s37, v9
                                        ; implicit-def: $vgpr9
	s_and_saveexec_b64 s[70:71], vcc
	s_xor_b64 s[70:71], exec, s[70:71]
	s_cbranch_execz .LBB2_4638
; %bb.4637:                             ;   in Loop: Header=BB2_3145 Depth=3
	v_ffbh_u32_e32 v25, v24
	v_bfe_u32 v9, v29, 26, 5
	v_min_u32_e32 v25, 32, v25
	v_mov_b32_e32 v50, v36
	v_subrev_u32_e32 v36, 29, v25
	v_sub_u32_e32 v25, 30, v25
	v_cmp_eq_u32_e32 vcc, 0, v9
	v_lshlrev_b64 v[36:37], v36, v[12:13]
	v_cndmask_b32_e32 v9, v9, v25, vcc
	v_bfrev_b32_e32 v25, 28
	v_and_b32_e32 v36, 3, v36
	v_lshl_add_u32 v9, v9, 23, v25
	v_cndmask_b32_e32 v24, v24, v36, vcc
	v_and_or_b32 v9, v29, s96, v9
	v_mov_b32_e32 v36, v50
	v_lshl_or_b32 v9, v24, 21, v9
                                        ; implicit-def: $vgpr24
.LBB2_4638:                             ;   in Loop: Header=BB2_3145 Depth=3
	s_andn2_saveexec_b64 s[70:71], s[70:71]
; %bb.4639:                             ;   in Loop: Header=BB2_3145 Depth=3
	v_cmp_lt_i64_e32 vcc, -1, v[28:29]
	v_mov_b32_e32 v9, 0xc7600000
	v_mov_b32_e32 v25, 0x47600000
	v_cndmask_b32_e32 v9, v9, v25, vcc
	v_cmp_eq_u32_e32 vcc, 0, v24
	v_mov_b32_e32 v24, 0x7f800001
	v_cndmask_b32_e32 v9, v24, v9, vcc
; %bb.4640:                             ;   in Loop: Header=BB2_3145 Depth=3
	s_or_b64 exec, exec, s[70:71]
.LBB2_4641:                             ;   in Loop: Header=BB2_3145 Depth=3
	s_or_b64 exec, exec, s[68:69]
.LBB2_4642:                             ;   in Loop: Header=BB2_3145 Depth=3
	s_or_b64 exec, exec, s[30:31]
	v_cmp_lt_u64_e32 vcc, s[42:43], v[10:11]
	s_and_saveexec_b64 s[30:31], vcc
	s_cbranch_execz .LBB2_4650
; %bb.4643:                             ;   in Loop: Header=BB2_3145 Depth=3
	v_cmp_ne_u32_e32 vcc, s97, v8
	v_bfrev_b32_e32 v15, 1
	s_and_saveexec_b64 s[68:69], vcc
	s_cbranch_execz .LBB2_4649
; %bb.4644:                             ;   in Loop: Header=BB2_3145 Depth=3
	v_and_b32_e32 v15, 0x7c000000, v11
	v_bfe_u32 v24, v11, 24, 2
	v_cmp_ne_u32_e32 vcc, s37, v15
                                        ; implicit-def: $vgpr15
	s_and_saveexec_b64 s[70:71], vcc
	s_xor_b64 s[70:71], exec, s[70:71]
	s_cbranch_execz .LBB2_4646
; %bb.4645:                             ;   in Loop: Header=BB2_3145 Depth=3
	v_ffbh_u32_e32 v25, v24
	v_bfe_u32 v15, v11, 26, 5
	v_min_u32_e32 v25, 32, v25
	v_mov_b32_e32 v50, v36
	v_subrev_u32_e32 v36, 29, v25
	v_sub_u32_e32 v25, 30, v25
	v_cmp_eq_u32_e32 vcc, 0, v15
	v_lshlrev_b64 v[36:37], v36, v[8:9]
	v_cndmask_b32_e32 v15, v15, v25, vcc
	v_bfrev_b32_e32 v25, 28
	v_and_b32_e32 v36, 3, v36
	v_lshl_add_u32 v15, v15, 23, v25
	v_cndmask_b32_e32 v24, v24, v36, vcc
	v_and_or_b32 v15, v11, s96, v15
	v_mov_b32_e32 v36, v50
	v_lshl_or_b32 v15, v24, 21, v15
                                        ; implicit-def: $vgpr24
.LBB2_4646:                             ;   in Loop: Header=BB2_3145 Depth=3
	s_andn2_saveexec_b64 s[70:71], s[70:71]
; %bb.4647:                             ;   in Loop: Header=BB2_3145 Depth=3
	v_cmp_lt_i64_e32 vcc, -1, v[10:11]
	v_mov_b32_e32 v15, 0xc7600000
	v_mov_b32_e32 v25, 0x47600000
	v_cndmask_b32_e32 v15, v15, v25, vcc
	v_cmp_eq_u32_e32 vcc, 0, v24
	v_mov_b32_e32 v24, 0x7f800001
	v_cndmask_b32_e32 v15, v24, v15, vcc
; %bb.4648:                             ;   in Loop: Header=BB2_3145 Depth=3
	s_or_b64 exec, exec, s[70:71]
.LBB2_4649:                             ;   in Loop: Header=BB2_3145 Depth=3
	s_or_b64 exec, exec, s[68:69]
.LBB2_4650:                             ;   in Loop: Header=BB2_3145 Depth=3
	s_or_b64 exec, exec, s[30:31]
	v_max_f32_e32 v15, v15, v15
	v_max_f32_e32 v9, v9, v9
	;; [unrolled: 1-line block ×3, first 2 shown]
	s_branch .LBB2_4669
.LBB2_4651:                             ;   in Loop: Header=BB2_3145 Depth=3
                                        ; implicit-def: $vgpr9
	s_cbranch_execz .LBB2_4669
; %bb.4652:                             ;   in Loop: Header=BB2_3145 Depth=3
	v_mov_b32_e32 v15, 0
	v_mov_b32_e32 v9, 0
	s_and_saveexec_b64 s[30:31], s[28:29]
	s_cbranch_execz .LBB2_4660
; %bb.4653:                             ;   in Loop: Header=BB2_3145 Depth=3
	v_cmp_ne_u32_e32 vcc, s97, v12
	v_bfrev_b32_e32 v9, 1
	s_and_saveexec_b64 s[28:29], vcc
	s_cbranch_execz .LBB2_4659
; %bb.4654:                             ;   in Loop: Header=BB2_3145 Depth=3
	v_and_b32_e32 v9, 0x7c000000, v29
	v_bfe_u32 v24, v29, 24, 2
	v_cmp_ne_u32_e32 vcc, s37, v9
                                        ; implicit-def: $vgpr9
	s_and_saveexec_b64 s[68:69], vcc
	s_xor_b64 s[68:69], exec, s[68:69]
	s_cbranch_execz .LBB2_4656
; %bb.4655:                             ;   in Loop: Header=BB2_3145 Depth=3
	v_ffbh_u32_e32 v25, v24
	v_min_u32_e32 v25, 32, v25
	v_subrev_u32_e32 v28, 29, v25
	v_bfe_u32 v9, v29, 26, 5
	v_mov_b32_e32 v50, v36
	v_lshlrev_b64 v[36:37], v28, v[12:13]
	v_sub_u32_e32 v12, 30, v25
	v_and_b32_e32 v25, 3, v36
	v_cmp_eq_u32_e32 vcc, 0, v9
	v_cndmask_b32_e32 v9, v9, v12, vcc
	v_cndmask_b32_e32 v12, v24, v25, vcc
	v_bfrev_b32_e32 v24, 28
	v_lshl_add_u32 v9, v9, 23, v24
	v_and_or_b32 v9, v29, s96, v9
	v_mov_b32_e32 v36, v50
	v_lshl_or_b32 v9, v12, 21, v9
                                        ; implicit-def: $vgpr24
                                        ; implicit-def: $vgpr28_vgpr29
.LBB2_4656:                             ;   in Loop: Header=BB2_3145 Depth=3
	s_andn2_saveexec_b64 s[68:69], s[68:69]
; %bb.4657:                             ;   in Loop: Header=BB2_3145 Depth=3
	v_cmp_lt_i64_e32 vcc, -1, v[28:29]
	v_mov_b32_e32 v9, 0xc7600000
	v_mov_b32_e32 v12, 0x47600000
	v_cndmask_b32_e32 v9, v9, v12, vcc
	v_cmp_eq_u32_e32 vcc, 0, v24
	v_mov_b32_e32 v12, 0x7f800001
	v_cndmask_b32_e32 v9, v12, v9, vcc
; %bb.4658:                             ;   in Loop: Header=BB2_3145 Depth=3
	s_or_b64 exec, exec, s[68:69]
.LBB2_4659:                             ;   in Loop: Header=BB2_3145 Depth=3
	s_or_b64 exec, exec, s[28:29]
.LBB2_4660:                             ;   in Loop: Header=BB2_3145 Depth=3
	s_or_b64 exec, exec, s[30:31]
	v_cmp_lt_u64_e32 vcc, s[42:43], v[10:11]
	s_and_saveexec_b64 s[28:29], vcc
	s_cbranch_execz .LBB2_4668
; %bb.4661:                             ;   in Loop: Header=BB2_3145 Depth=3
	v_cmp_ne_u32_e32 vcc, s97, v8
	v_bfrev_b32_e32 v15, 1
	s_and_saveexec_b64 s[30:31], vcc
	s_cbranch_execz .LBB2_4667
; %bb.4662:                             ;   in Loop: Header=BB2_3145 Depth=3
	v_and_b32_e32 v15, 0x7c000000, v11
	v_bfe_u32 v12, v11, 24, 2
	v_cmp_ne_u32_e32 vcc, s37, v15
                                        ; implicit-def: $vgpr15
	s_and_saveexec_b64 s[68:69], vcc
	s_xor_b64 s[68:69], exec, s[68:69]
	s_cbranch_execz .LBB2_4664
; %bb.4663:                             ;   in Loop: Header=BB2_3145 Depth=3
	v_ffbh_u32_e32 v15, v12
	v_min_u32_e32 v15, 32, v15
	v_subrev_u32_e32 v24, 29, v15
	v_bfe_u32 v10, v11, 26, 5
	v_lshlrev_b64 v[24:25], v24, v[8:9]
	v_sub_u32_e32 v8, 30, v15
	v_and_b32_e32 v15, 3, v24
	v_cmp_eq_u32_e32 vcc, 0, v10
	v_cndmask_b32_e32 v8, v10, v8, vcc
	v_cndmask_b32_e32 v10, v12, v15, vcc
	v_bfrev_b32_e32 v12, 28
	v_lshl_add_u32 v8, v8, 23, v12
	v_and_or_b32 v8, v11, s96, v8
	v_lshl_or_b32 v15, v10, 21, v8
                                        ; implicit-def: $vgpr12
                                        ; implicit-def: $vgpr10_vgpr11
.LBB2_4664:                             ;   in Loop: Header=BB2_3145 Depth=3
	s_andn2_saveexec_b64 s[68:69], s[68:69]
; %bb.4665:                             ;   in Loop: Header=BB2_3145 Depth=3
	v_cmp_lt_i64_e32 vcc, -1, v[10:11]
	v_mov_b32_e32 v8, 0xc7600000
	v_mov_b32_e32 v10, 0x47600000
	v_cndmask_b32_e32 v8, v8, v10, vcc
	v_cmp_eq_u32_e32 vcc, 0, v12
	v_mov_b32_e32 v10, 0x7f800001
	v_cndmask_b32_e32 v15, v10, v8, vcc
; %bb.4666:                             ;   in Loop: Header=BB2_3145 Depth=3
	s_or_b64 exec, exec, s[68:69]
.LBB2_4667:                             ;   in Loop: Header=BB2_3145 Depth=3
	s_or_b64 exec, exec, s[30:31]
.LBB2_4668:                             ;   in Loop: Header=BB2_3145 Depth=3
	s_or_b64 exec, exec, s[28:29]
	v_max_f32_e32 v8, v15, v15
	v_max_f32_e32 v9, v9, v9
	v_min_f32_e32 v9, v9, v8
.LBB2_4669:                             ;   in Loop: Header=BB2_3145 Depth=3
	v_and_b32_sdwa v10, v9, s97 dst_sel:DWORD dst_unused:UNUSED_PAD src0_sel:BYTE_3 src1_sel:DWORD
	v_and_b32_e32 v24, 0x7f800000, v9
	v_mov_b32_e32 v25, v51
	v_and_b32_e32 v50, 0x7fffff, v9
	v_or_b32_e32 v8, 0x7b, v10
	v_cmp_ne_u64_e32 vcc, s[52:53], v[24:25]
	s_and_saveexec_b64 s[28:29], vcc
	s_xor_b64 s[30:31], exec, s[28:29]
	s_cbranch_execz .LBB2_4679
; %bb.4670:                             ;   in Loop: Header=BB2_3145 Depth=3
	v_and_b32_e32 v24, 0x7fffffff, v9
	v_mov_b32_e32 v25, v51
	v_cmp_gt_u64_e32 vcc, s[54:55], v[24:25]
	s_and_saveexec_b64 s[68:69], vcc
	s_cbranch_execz .LBB2_4678
; %bb.4671:                             ;   in Loop: Header=BB2_3145 Depth=3
	v_cmp_ne_u32_e32 vcc, 0, v9
	v_mov_b32_e32 v8, 0
	s_and_saveexec_b64 s[70:71], vcc
	s_cbranch_execz .LBB2_4677
; %bb.4672:                             ;   in Loop: Header=BB2_3145 Depth=3
	v_bfe_u32 v8, v9, 23, 8
	v_cmp_eq_u32_e32 vcc, 0, v8
	v_add_u32_e32 v9, 0xffffff81, v8
	v_cmp_gt_u32_e64 s[28:29], s38, v8
	v_sub_u32_e32 v8, 0x71, v8
	v_mov_b32_e32 v12, 0xffffff82
	v_cndmask_b32_e64 v8, 0, v8, s[28:29]
	v_cndmask_b32_e32 v12, v9, v12, vcc
	v_mov_b32_e32 v9, 0x70
	v_cndmask_b32_e32 v15, v8, v9, vcc
	v_add_u32_e32 v8, 21, v15
	v_or_b32_e32 v11, 0x800000, v50
	v_lshlrev_b64 v[8:9], v8, -1
	v_cndmask_b32_e32 v50, v11, v50, vcc
	v_not_b32_e32 v9, v9
	v_not_b32_e32 v8, v8
	v_add_u32_e32 v11, 20, v15
	v_and_b32_e32 v9, 0, v9
	v_and_b32_e32 v8, v50, v8
	v_lshlrev_b64 v[24:25], v11, 1
	v_cmp_eq_u64_e32 vcc, v[8:9], v[24:25]
	v_lshrrev_b64 v[8:9], v15, v[50:51]
	v_lshrrev_b32_e32 v11, 23, v8
	v_add3_u32 v15, v15, v12, v11
	v_bfe_u32 v11, v8, 21, 1
	v_add_u32_e32 v11, -1, v11
	v_cndmask_b32_e32 v11, 0, v11, vcc
	v_add_u32_e32 v11, v11, v8
	v_and_b32_e32 v11, 0x1fffff, v11
	v_add_co_u32_e32 v8, vcc, v11, v8
	v_add_u32_e32 v12, 14, v15
	v_addc_co_u32_e32 v9, vcc, 0, v9, vcc
	v_cmp_ne_u32_e32 vcc, 0, v12
                                        ; implicit-def: $vgpr11
	s_and_saveexec_b64 s[28:29], vcc
	s_xor_b64 s[28:29], exec, s[28:29]
; %bb.4673:                             ;   in Loop: Header=BB2_3145 Depth=3
	v_add_u32_e32 v11, 15, v15
	v_cmp_lt_u64_e32 vcc, s[56:57], v[8:9]
	v_cndmask_b32_e32 v11, v12, v11, vcc
	v_cndmask_b32_e64 v12, 0, 1, vcc
	v_lshrrev_b64 v[8:9], v12, v[8:9]
; %bb.4674:                             ;   in Loop: Header=BB2_3145 Depth=3
	s_andn2_saveexec_b64 s[28:29], s[28:29]
; %bb.4675:                             ;   in Loop: Header=BB2_3145 Depth=3
	v_bfe_u32 v11, v8, 23, 1
; %bb.4676:                             ;   in Loop: Header=BB2_3145 Depth=3
	s_or_b64 exec, exec, s[28:29]
	v_lshrrev_b64 v[8:9], 21, v[8:9]
	v_cmp_gt_i32_e32 vcc, 32, v11
	v_cndmask_b32_e32 v9, 0, v9, vcc
	v_cndmask_b32_e32 v8, 3, v8, vcc
	v_cmp_eq_u64_e64 s[28:29], 0, v[8:9]
	v_min_i32_e32 v9, 31, v11
	v_lshlrev_b32_e32 v9, 2, v9
	v_cmp_eq_u32_e32 vcc, 0, v11
	v_and_b32_e32 v9, 0xfc, v9
	v_and_or_b32 v8, v8, 3, v9
	s_and_b64 s[28:29], vcc, s[28:29]
	v_cndmask_b32_e64 v8, v8, 0, s[28:29]
	v_or_b32_e32 v8, v8, v10
.LBB2_4677:                             ;   in Loop: Header=BB2_3145 Depth=3
	s_or_b64 exec, exec, s[70:71]
.LBB2_4678:                             ;   in Loop: Header=BB2_3145 Depth=3
	s_or_b64 exec, exec, s[68:69]
                                        ; implicit-def: $vgpr9
.LBB2_4679:                             ;   in Loop: Header=BB2_3145 Depth=3
	s_andn2_saveexec_b64 s[28:29], s[30:31]
	s_cbranch_execz .LBB2_3144
; %bb.4680:                             ;   in Loop: Header=BB2_3145 Depth=3
	v_or_b32_sdwa v9, v9, s39 dst_sel:DWORD dst_unused:UNUSED_PAD src0_sel:BYTE_3 src1_sel:DWORD
	v_cmp_eq_u64_e32 vcc, 0, v[50:51]
	v_cndmask_b32_e32 v8, v9, v8, vcc
	s_branch .LBB2_3144
.LBB2_4681:                             ;   in Loop: Header=BB2_3056 Depth=2
	s_or_b64 exec, exec, s[66:67]
	s_and_saveexec_b64 vcc, s[68:69]
	s_xor_b64 vcc, exec, vcc
	s_cbranch_execz .LBB2_4683
; %bb.4682:                             ;   in Loop: Header=BB2_3056 Depth=2
	v_mov_b32_e32 v0, 1
	ds_write_b32 v0, v0
	s_trap 2
.LBB2_4683:                             ;   in Loop: Header=BB2_3056 Depth=2
	s_or_b64 exec, exec, s[64:65]
	;;#ASMSTART
	s_wakeup
	;;#ASMEND
.LBB2_4684:                             ;   in Loop: Header=BB2_3056 Depth=2
	s_or_b64 exec, exec, s[34:35]
.LBB2_4685:                             ;   in Loop: Header=BB2_3056 Depth=2
	s_andn2_saveexec_b64 vcc, s[30:31]
	s_cbranch_execz .LBB2_4687
; %bb.4686:                             ;   in Loop: Header=BB2_3056 Depth=2
	s_waitcnt vmcnt(0) lgkmcnt(0)
	buffer_wbinvl1_vol
	s_barrier
.LBB2_4687:                             ;   in Loop: Header=BB2_3056 Depth=2
	s_or_b64 exec, exec, vcc
.LBB2_4688:                             ;   in Loop: Header=BB2_3056 Depth=2
	s_or_b64 exec, exec, s[28:29]
                                        ; implicit-def: $vgpr0
	s_and_saveexec_b64 s[28:29], s[24:25]
	s_xor_b64 s[30:31], exec, s[28:29]
	s_cbranch_execz .LBB2_4692
; %bb.4689:                             ;   in Loop: Header=BB2_3056 Depth=2
	buffer_load_dword v0, off, s[0:3], s33 offset:172 ; 4-byte Folded Reload
	v_and_b32_e32 v1, 16, v60
	v_cmp_ne_u32_e64 s[28:29], 0, v1
	s_waitcnt vmcnt(0)
	v_cmp_lt_i32_e32 vcc, 0, v0
	v_and_b32_e32 v0, 16, v60
	s_and_b64 vcc, s[28:29], vcc
	s_and_saveexec_b64 s[28:29], vcc
	s_cbranch_execz .LBB2_4691
; %bb.4690:                             ;   in Loop: Header=BB2_3056 Depth=2
	v_mov_b32_e32 v0, 1
	s_waitcnt lgkmcnt(0)
	buffer_wbinvl1_vol
.LBB2_4691:                             ;   in Loop: Header=BB2_3056 Depth=2
	s_or_b64 exec, exec, s[28:29]
	s_andn2_saveexec_b64 s[28:29], s[30:31]
	s_cbranch_execz .LBB2_4711
	s_branch .LBB2_4693
.LBB2_4692:                             ;   in Loop: Header=BB2_3056 Depth=2
	s_andn2_saveexec_b64 s[28:29], s[30:31]
	s_cbranch_execz .LBB2_4711
.LBB2_4693:                             ;   in Loop: Header=BB2_3056 Depth=2
	s_and_saveexec_b64 vcc, s[44:45]
	s_xor_b64 s[30:31], exec, vcc
	s_cbranch_execz .LBB2_4708
; %bb.4694:                             ;   in Loop: Header=BB2_3056 Depth=2
	s_and_saveexec_b64 s[34:35], s[16:17]
	s_cbranch_execz .LBB2_4707
; %bb.4695:                             ;   in Loop: Header=BB2_3056 Depth=2
	s_mov_b64 s[66:67], exec
	v_mbcnt_lo_u32_b32 v0, s66, 0
	v_mbcnt_hi_u32_b32 v0, s67, v0
	v_cmp_eq_u32_e32 vcc, 0, v0
	;;#ASMSTART
	s_waitcnt lgkmcnt(0) vmcnt(0)
	;;#ASMEND
	s_and_saveexec_b64 s[64:65], vcc
	s_cbranch_execz .LBB2_4697
; %bb.4696:                             ;   in Loop: Header=BB2_3056 Depth=2
	s_bcnt1_i32_b64 vcc_lo, s[66:67]
	v_mov_b32_e32 v50, vcc_lo
	ds_add_u64 v0, v[50:51]
	s_trap 2
.LBB2_4697:                             ;   in Loop: Header=BB2_3056 Depth=2
	s_or_b64 exec, exec, s[64:65]
	s_trap 2
	ds_read_b64 v[0:1], v0
	v_accvgpr_read_b32 v2, a14
	v_accvgpr_read_b32 v3, a15
	v_add_co_u32_e32 v2, vcc, v2, v44
	v_addc_co_u32_e32 v3, vcc, 0, v3, vcc
	v_accvgpr_write_b32 a15, v3
	v_accvgpr_write_b32 a14, v2
	s_waitcnt lgkmcnt(0)
	v_cmp_lt_u64_e32 vcc, v[0:1], v[2:3]
	s_and_saveexec_b64 s[64:65], vcc
	s_cbranch_execz .LBB2_4706
; %bb.4698:                             ;   in Loop: Header=BB2_3056 Depth=2
	s_mov_b32 s76, 0
	s_mov_b64 s[66:67], 0
                                        ; implicit-def: $sgpr68_sgpr69
                                        ; implicit-def: $sgpr70_sgpr71
	s_branch .LBB2_4700
.LBB2_4699:                             ;   in Loop: Header=BB2_4700 Depth=3
	s_or_b64 exec, exec, s[74:75]
	s_and_b64 vcc, exec, vcc
	s_or_b64 s[66:67], vcc, s[66:67]
	s_andn2_b64 vcc, s[68:69], exec
	s_and_b64 s[46:47], s[70:71], exec
	s_or_b64 s[68:69], vcc, s[46:47]
	s_andn2_b64 exec, exec, s[66:67]
	s_cbranch_execz .LBB2_4704
.LBB2_4700:                             ;   Parent Loop BB2_47 Depth=1
                                        ;     Parent Loop BB2_3056 Depth=2
                                        ; =>    This Inner Loop Header: Depth=3
	s_add_i32 s76, s76, 1
	s_cmpk_lg_i32 s76, 0x2710
	s_cselect_b64 s[72:73], -1, 0
	s_and_b64 vcc, exec, s[72:73]
                                        ; implicit-def: $sgpr74_sgpr75
	s_cbranch_vccnz .LBB2_4702
; %bb.4701:                             ;   in Loop: Header=BB2_4700 Depth=3
	s_trap 2
	ds_read_b64 v[0:1], v0
	s_andn2_b64 s[72:73], s[72:73], exec
	s_mov_b32 s76, 0
	s_mov_b64 s[74:75], -1
	s_waitcnt vmcnt(0) lgkmcnt(0)
	flat_load_dword v0, v[0:1] glc
	s_waitcnt vmcnt(0) lgkmcnt(0)
	buffer_invl2
	buffer_wbinvl1_vol
	v_cmp_eq_u32_e32 vcc, 0, v0
	s_and_b64 vcc, vcc, exec
	s_or_b64 s[72:73], s[72:73], vcc
.LBB2_4702:                             ;   in Loop: Header=BB2_4700 Depth=3
	s_andn2_b64 s[70:71], s[70:71], exec
	s_and_b64 s[74:75], s[74:75], exec
	s_mov_b64 vcc, -1
	s_or_b64 s[70:71], s[70:71], s[74:75]
	s_and_saveexec_b64 s[74:75], s[72:73]
	s_cbranch_execz .LBB2_4699
; %bb.4703:                             ;   in Loop: Header=BB2_4700 Depth=3
	s_sleep 1
	s_trap 2
	ds_read_b64 v[0:1], v0
	v_accvgpr_read_b32 v2, a14
	v_accvgpr_read_b32 v3, a15
	s_andn2_b64 s[70:71], s[70:71], exec
	s_waitcnt lgkmcnt(0)
	v_cmp_ge_u64_e32 vcc, v[0:1], v[2:3]
	s_orn2_b64 vcc, vcc, exec
	s_branch .LBB2_4699
.LBB2_4704:                             ;   in Loop: Header=BB2_3056 Depth=2
	s_or_b64 exec, exec, s[66:67]
	s_and_saveexec_b64 vcc, s[68:69]
	s_xor_b64 vcc, exec, vcc
	s_cbranch_execz .LBB2_4706
; %bb.4705:                             ;   in Loop: Header=BB2_3056 Depth=2
	v_mov_b32_e32 v0, 1
	ds_write_b32 v0, v0
	s_trap 2
.LBB2_4706:                             ;   in Loop: Header=BB2_3056 Depth=2
	s_or_b64 exec, exec, s[64:65]
	;;#ASMSTART
	s_wakeup
	;;#ASMEND
.LBB2_4707:                             ;   in Loop: Header=BB2_3056 Depth=2
	s_or_b64 exec, exec, s[34:35]
.LBB2_4708:                             ;   in Loop: Header=BB2_3056 Depth=2
	s_andn2_saveexec_b64 vcc, s[30:31]
	s_cbranch_execz .LBB2_4710
; %bb.4709:                             ;   in Loop: Header=BB2_3056 Depth=2
	;;#ASMSTART
	s_waitcnt lgkmcnt(0) vmcnt(0)
	;;#ASMEND
	s_barrier
.LBB2_4710:                             ;   in Loop: Header=BB2_3056 Depth=2
	s_or_b64 exec, exec, vcc
	v_and_b32_e32 v0, 16, v60
.LBB2_4711:                             ;   in Loop: Header=BB2_3056 Depth=2
	s_or_b64 exec, exec, s[28:29]
	v_cmp_ne_u32_e32 vcc, 0, v0
	s_xor_b64 s[28:29], s[12:13], -1
	s_and_b64 vcc, vcc, s[28:29]
	s_and_saveexec_b64 s[28:29], vcc
	s_cbranch_execz .LBB2_4713
; %bb.4712:                             ;   in Loop: Header=BB2_3056 Depth=2
	v_accvgpr_read_b32 v0, a20
	v_accvgpr_read_b32 v1, a21
	v_mov_b32_e32 v2, 1
	flat_store_dword v[0:1], v2
.LBB2_4713:                             ;   in Loop: Header=BB2_3056 Depth=2
	s_or_b64 exec, exec, s[28:29]
	v_and_b32_e32 v0, 48, v60
	v_cmp_ne_u32_e32 vcc, 0, v0
	s_and_saveexec_b64 s[28:29], vcc
	s_cbranch_execz .LBB2_3055
; %bb.4714:                             ;   in Loop: Header=BB2_3056 Depth=2
	v_add_co_u32_e32 v32, vcc, 2, v32
	v_addc_co_u32_e32 v33, vcc, 0, v33, vcc
	flat_store_dwordx2 v[34:35], v[32:33]
	s_branch .LBB2_3055
.LBB2_4715:                             ;   in Loop: Header=BB2_3056 Depth=2
	s_or_b64 exec, exec, s[64:65]
	v_accvgpr_read_b32 v43, a7
	v_accvgpr_read_b32 v40, a3
	;; [unrolled: 1-line block ×5, first 2 shown]
.LBB2_4716:                             ;   in Loop: Header=BB2_3056 Depth=2
	s_or_b64 exec, exec, s[34:35]
	buffer_load_dword v0, off, s[0:3], s33 offset:172 ; 4-byte Folded Reload
	v_lshlrev_b32_e32 v1, 11, v1
	s_mov_b64 s[28:29], 0
	v_mov_b32_e32 v7, 0
                                        ; implicit-def: $vgpr30
                                        ; implicit-def: $vgpr31
	s_waitcnt vmcnt(0)
	v_cmp_ne_u32_e32 vcc, v0, v1
                                        ; implicit-def: $vgpr0
	s_and_saveexec_b64 s[64:65], vcc
	s_cbranch_execz .LBB2_5494
; %bb.4717:                             ;   in Loop: Header=BB2_3056 Depth=2
	buffer_load_dword v0, off, s[0:3], s33 offset:172 ; 4-byte Folded Reload
	v_accvgpr_read_b32 v2, a40
	s_waitcnt vmcnt(0)
	v_sub_u32_e32 v4, v0, v1
	v_lshlrev_b32_e32 v0, 6, v3
	v_sub_u32_e32 v0, v2, v0
	v_ashrrev_i32_e32 v2, 31, v0
	v_lshrrev_b32_e32 v2, 26, v2
	v_ashrrev_i32_e32 v3, 31, v4
	v_add_u32_e32 v2, v0, v2
	v_lshrrev_b32_e32 v3, 22, v3
	v_ashrrev_i32_e32 v5, 6, v2
	v_and_b32_e32 v2, 0xffffffc0, v2
	v_add_u32_e32 v3, v4, v3
	v_sub_u32_e32 v2, v0, v2
	v_ashrrev_i32_e32 v6, 10, v3
	v_and_b32_e32 v3, 0xfffffc00, v3
	v_lshlrev_b32_e32 v0, 4, v2
	v_sub_u32_e32 v22, v4, v3
	v_lshl_add_u32 v0, v5, 10, v0
	v_cmp_lt_i32_e64 s[28:29], 15, v22
	v_sub_u32_e32 v23, v4, v0
	v_addc_co_u32_e64 v4, vcc, 0, v6, s[28:29]
	v_sub_u32_e32 v6, v4, v5
	v_cmp_lt_i32_e32 vcc, 15, v23
	s_and_saveexec_b64 s[66:67], vcc
	s_cbranch_execz .LBB2_5491
; %bb.4718:                             ;   in Loop: Header=BB2_3056 Depth=2
	s_trap 2
	ds_read_b128 v[8:11], v0
	v_add_u32_e32 v0, v0, v1
	v_ashrrev_i32_e32 v7, 31, v0
	s_bitcmp1_b32 s82, 0
	s_mov_b64 s[68:69], 0
	s_waitcnt lgkmcnt(0)
	v_add_co_u32_e32 v4, vcc, v8, v0
	v_addc_co_u32_e32 v5, vcc, v9, v7, vcc
	v_add_co_u32_e32 v16, vcc, v10, v0
	v_addc_co_u32_e32 v17, vcc, v11, v7, vcc
	s_cselect_b64 s[70:71], -1, 0
	v_pk_mov_b32 v[18:19], v[4:5], v[4:5] op_sel:[0,1]
	v_pk_mov_b32 v[20:21], v[16:17], v[16:17] op_sel:[0,1]
.LBB2_4719:                             ;   Parent Loop BB2_47 Depth=1
                                        ;     Parent Loop BB2_3056 Depth=2
                                        ; =>    This Loop Header: Depth=3
                                        ;         Child Loop BB2_5488 Depth 4
	global_load_dwordx4 v[40:43], v[18:19], off glc slc
	global_load_dwordx4 v[8:11], v[20:21], off glc slc
	s_and_b64 vcc, exec, s[70:71]
	s_waitcnt vmcnt(1)
	v_cmp_ne_u16_sdwa s[30:31], v40, v51 src0_sel:BYTE_0 src1_sel:DWORD
	s_cbranch_vccz .LBB2_4737
; %bb.4720:                             ;   in Loop: Header=BB2_4719 Depth=3
	v_mov_b32_e32 v7, 0
	v_mov_b32_e32 v0, 0
	s_and_saveexec_b64 s[34:35], s[30:31]
	s_cbranch_execz .LBB2_4728
; %bb.4721:                             ;   in Loop: Header=BB2_4719 Depth=3
	v_cmp_ne_u16_sdwa vcc, sext(v40), s94 src0_sel:BYTE_0 src1_sel:DWORD
	v_bfrev_b32_e32 v0, 1
	s_and_saveexec_b64 s[72:73], vcc
	s_cbranch_execz .LBB2_4727
; %bb.4722:                             ;   in Loop: Header=BB2_4719 Depth=3
	v_and_b32_e32 v0, 0x7c, v40
	v_and_b32_e32 v12, 3, v40
	v_cmp_ne_u32_e32 vcc, s95, v0
                                        ; implicit-def: $vgpr0
	s_and_saveexec_b64 s[74:75], vcc
	s_xor_b64 s[74:75], exec, s[74:75]
	s_cbranch_execz .LBB2_4724
; %bb.4723:                             ;   in Loop: Header=BB2_4719 Depth=3
	v_ffbh_u32_e32 v13, v12
	v_min_u32_e32 v13, 32, v13
	v_subrev_u32_e32 v14, 29, v13
	v_bfe_u32 v0, v40, 2, 5
	v_lshlrev_b64 v[14:15], v14, v[40:41]
	v_sub_u32_e32 v13, 30, v13
	v_and_b32_e32 v14, 3, v14
	v_cmp_eq_u32_e32 vcc, 0, v0
	v_cndmask_b32_e32 v0, v0, v13, vcc
	v_cndmask_b32_e32 v12, v12, v14, vcc
	v_bfrev_b32_e32 v14, 28
	v_lshlrev_b32_e32 v13, 24, v40
	v_lshl_add_u32 v0, v0, 23, v14
	v_and_or_b32 v0, v13, s96, v0
	v_lshl_or_b32 v0, v12, 21, v0
                                        ; implicit-def: $vgpr12
.LBB2_4724:                             ;   in Loop: Header=BB2_4719 Depth=3
	s_andn2_saveexec_b64 s[74:75], s[74:75]
; %bb.4725:                             ;   in Loop: Header=BB2_4719 Depth=3
	v_mov_b32_e32 v0, -1
	v_cmp_gt_i16_sdwa vcc, sext(v40), v0 src0_sel:BYTE_0 src1_sel:DWORD
	v_mov_b32_e32 v0, 0xc7600000
	v_mov_b32_e32 v13, 0x47600000
	v_cndmask_b32_e32 v0, v0, v13, vcc
	v_cmp_eq_u32_e32 vcc, 0, v12
	v_mov_b32_e32 v12, 0x7f800001
	v_cndmask_b32_e32 v0, v12, v0, vcc
; %bb.4726:                             ;   in Loop: Header=BB2_4719 Depth=3
	s_or_b64 exec, exec, s[74:75]
.LBB2_4727:                             ;   in Loop: Header=BB2_4719 Depth=3
	s_or_b64 exec, exec, s[72:73]
.LBB2_4728:                             ;   in Loop: Header=BB2_4719 Depth=3
	s_or_b64 exec, exec, s[34:35]
	s_waitcnt vmcnt(0)
	v_cmp_ne_u16_sdwa vcc, sext(v8), v51 src0_sel:BYTE_0 src1_sel:DWORD
	s_and_saveexec_b64 s[34:35], vcc
	s_cbranch_execz .LBB2_4736
; %bb.4729:                             ;   in Loop: Header=BB2_4719 Depth=3
	v_cmp_ne_u16_sdwa vcc, sext(v8), s94 src0_sel:BYTE_0 src1_sel:DWORD
	v_bfrev_b32_e32 v7, 1
	s_and_saveexec_b64 s[72:73], vcc
	s_cbranch_execz .LBB2_4735
; %bb.4730:                             ;   in Loop: Header=BB2_4719 Depth=3
	v_and_b32_e32 v7, 0x7c, v8
	v_and_b32_e32 v12, 3, v8
	v_cmp_ne_u32_e32 vcc, s95, v7
                                        ; implicit-def: $vgpr7
	s_and_saveexec_b64 s[74:75], vcc
	s_xor_b64 s[74:75], exec, s[74:75]
	s_cbranch_execz .LBB2_4732
; %bb.4731:                             ;   in Loop: Header=BB2_4719 Depth=3
	v_ffbh_u32_e32 v13, v12
	v_min_u32_e32 v13, 32, v13
	v_subrev_u32_e32 v14, 29, v13
	v_bfe_u32 v7, v8, 2, 5
	v_lshlrev_b64 v[14:15], v14, v[8:9]
	v_sub_u32_e32 v13, 30, v13
	v_and_b32_e32 v14, 3, v14
	v_cmp_eq_u32_e32 vcc, 0, v7
	v_cndmask_b32_e32 v7, v7, v13, vcc
	v_cndmask_b32_e32 v12, v12, v14, vcc
	v_bfrev_b32_e32 v14, 28
	v_lshlrev_b32_e32 v13, 24, v8
	v_lshl_add_u32 v7, v7, 23, v14
	v_and_or_b32 v7, v13, s96, v7
	v_lshl_or_b32 v7, v12, 21, v7
                                        ; implicit-def: $vgpr12
.LBB2_4732:                             ;   in Loop: Header=BB2_4719 Depth=3
	s_andn2_saveexec_b64 s[74:75], s[74:75]
; %bb.4733:                             ;   in Loop: Header=BB2_4719 Depth=3
	v_mov_b32_e32 v7, -1
	v_cmp_gt_i16_sdwa vcc, sext(v8), v7 src0_sel:BYTE_0 src1_sel:DWORD
	v_mov_b32_e32 v7, 0xc7600000
	v_mov_b32_e32 v13, 0x47600000
	v_cndmask_b32_e32 v7, v7, v13, vcc
	v_cmp_eq_u32_e32 vcc, 0, v12
	v_mov_b32_e32 v12, 0x7f800001
	v_cndmask_b32_e32 v7, v12, v7, vcc
; %bb.4734:                             ;   in Loop: Header=BB2_4719 Depth=3
	s_or_b64 exec, exec, s[74:75]
.LBB2_4735:                             ;   in Loop: Header=BB2_4719 Depth=3
	s_or_b64 exec, exec, s[72:73]
.LBB2_4736:                             ;   in Loop: Header=BB2_4719 Depth=3
	s_or_b64 exec, exec, s[34:35]
	v_max_f32_e32 v7, v7, v7
	v_max_f32_e32 v0, v0, v0
	;; [unrolled: 1-line block ×3, first 2 shown]
	s_branch .LBB2_4755
.LBB2_4737:                             ;   in Loop: Header=BB2_4719 Depth=3
                                        ; implicit-def: $vgpr7
	s_cbranch_execz .LBB2_4755
; %bb.4738:                             ;   in Loop: Header=BB2_4719 Depth=3
	v_mov_b32_e32 v7, 0
	v_mov_b32_e32 v0, 0
	s_and_saveexec_b64 s[34:35], s[30:31]
	s_cbranch_execz .LBB2_4746
; %bb.4739:                             ;   in Loop: Header=BB2_4719 Depth=3
	v_cmp_ne_u16_sdwa vcc, sext(v40), s94 src0_sel:BYTE_0 src1_sel:DWORD
	v_bfrev_b32_e32 v0, 1
	s_and_saveexec_b64 s[30:31], vcc
	s_cbranch_execz .LBB2_4745
; %bb.4740:                             ;   in Loop: Header=BB2_4719 Depth=3
	v_and_b32_e32 v0, 0x7c, v40
	v_and_b32_e32 v12, 3, v40
	v_cmp_ne_u32_e32 vcc, s95, v0
                                        ; implicit-def: $vgpr0
	s_and_saveexec_b64 s[72:73], vcc
	s_xor_b64 s[72:73], exec, s[72:73]
	s_cbranch_execz .LBB2_4742
; %bb.4741:                             ;   in Loop: Header=BB2_4719 Depth=3
	v_ffbh_u32_e32 v13, v12
	v_min_u32_e32 v13, 32, v13
	v_subrev_u32_e32 v14, 29, v13
	v_bfe_u32 v0, v40, 2, 5
	v_lshlrev_b64 v[14:15], v14, v[40:41]
	v_sub_u32_e32 v13, 30, v13
	v_and_b32_e32 v14, 3, v14
	v_cmp_eq_u32_e32 vcc, 0, v0
	v_cndmask_b32_e32 v0, v0, v13, vcc
	v_cndmask_b32_e32 v12, v12, v14, vcc
	v_bfrev_b32_e32 v14, 28
	v_lshlrev_b32_e32 v13, 24, v40
	v_lshl_add_u32 v0, v0, 23, v14
	v_and_or_b32 v0, v13, s96, v0
	v_lshl_or_b32 v0, v12, 21, v0
                                        ; implicit-def: $vgpr12
.LBB2_4742:                             ;   in Loop: Header=BB2_4719 Depth=3
	s_andn2_saveexec_b64 s[72:73], s[72:73]
; %bb.4743:                             ;   in Loop: Header=BB2_4719 Depth=3
	v_mov_b32_e32 v0, -1
	v_cmp_gt_i16_sdwa vcc, sext(v40), v0 src0_sel:BYTE_0 src1_sel:DWORD
	v_mov_b32_e32 v0, 0xc7600000
	v_mov_b32_e32 v13, 0x47600000
	v_cndmask_b32_e32 v0, v0, v13, vcc
	v_cmp_eq_u32_e32 vcc, 0, v12
	v_mov_b32_e32 v12, 0x7f800001
	v_cndmask_b32_e32 v0, v12, v0, vcc
; %bb.4744:                             ;   in Loop: Header=BB2_4719 Depth=3
	s_or_b64 exec, exec, s[72:73]
.LBB2_4745:                             ;   in Loop: Header=BB2_4719 Depth=3
	s_or_b64 exec, exec, s[30:31]
.LBB2_4746:                             ;   in Loop: Header=BB2_4719 Depth=3
	s_or_b64 exec, exec, s[34:35]
	s_waitcnt vmcnt(0)
	v_cmp_ne_u16_sdwa vcc, sext(v8), v51 src0_sel:BYTE_0 src1_sel:DWORD
	s_and_saveexec_b64 s[30:31], vcc
	s_cbranch_execz .LBB2_4754
; %bb.4747:                             ;   in Loop: Header=BB2_4719 Depth=3
	v_cmp_ne_u16_sdwa vcc, sext(v8), s94 src0_sel:BYTE_0 src1_sel:DWORD
	v_bfrev_b32_e32 v7, 1
	s_and_saveexec_b64 s[34:35], vcc
	s_cbranch_execz .LBB2_4753
; %bb.4748:                             ;   in Loop: Header=BB2_4719 Depth=3
	v_and_b32_e32 v7, 0x7c, v8
	v_and_b32_e32 v12, 3, v8
	v_cmp_ne_u32_e32 vcc, s95, v7
                                        ; implicit-def: $vgpr7
	s_and_saveexec_b64 s[72:73], vcc
	s_xor_b64 s[72:73], exec, s[72:73]
	s_cbranch_execz .LBB2_4750
; %bb.4749:                             ;   in Loop: Header=BB2_4719 Depth=3
	v_ffbh_u32_e32 v13, v12
	v_min_u32_e32 v13, 32, v13
	v_subrev_u32_e32 v14, 29, v13
	v_bfe_u32 v7, v8, 2, 5
	v_lshlrev_b64 v[14:15], v14, v[8:9]
	v_sub_u32_e32 v13, 30, v13
	v_and_b32_e32 v14, 3, v14
	v_cmp_eq_u32_e32 vcc, 0, v7
	v_cndmask_b32_e32 v7, v7, v13, vcc
	v_cndmask_b32_e32 v12, v12, v14, vcc
	v_bfrev_b32_e32 v14, 28
	v_lshlrev_b32_e32 v13, 24, v8
	v_lshl_add_u32 v7, v7, 23, v14
	v_and_or_b32 v7, v13, s96, v7
	v_lshl_or_b32 v7, v12, 21, v7
                                        ; implicit-def: $vgpr12
.LBB2_4750:                             ;   in Loop: Header=BB2_4719 Depth=3
	s_andn2_saveexec_b64 s[72:73], s[72:73]
; %bb.4751:                             ;   in Loop: Header=BB2_4719 Depth=3
	v_mov_b32_e32 v7, -1
	v_cmp_gt_i16_sdwa vcc, sext(v8), v7 src0_sel:BYTE_0 src1_sel:DWORD
	v_mov_b32_e32 v7, 0xc7600000
	v_mov_b32_e32 v13, 0x47600000
	v_cndmask_b32_e32 v7, v7, v13, vcc
	v_cmp_eq_u32_e32 vcc, 0, v12
	v_mov_b32_e32 v12, 0x7f800001
	v_cndmask_b32_e32 v7, v12, v7, vcc
; %bb.4752:                             ;   in Loop: Header=BB2_4719 Depth=3
	s_or_b64 exec, exec, s[72:73]
.LBB2_4753:                             ;   in Loop: Header=BB2_4719 Depth=3
	s_or_b64 exec, exec, s[34:35]
.LBB2_4754:                             ;   in Loop: Header=BB2_4719 Depth=3
	s_or_b64 exec, exec, s[30:31]
	v_max_f32_e32 v7, v7, v7
	v_max_f32_e32 v0, v0, v0
	v_min_f32_e32 v7, v0, v7
.LBB2_4755:                             ;   in Loop: Header=BB2_4719 Depth=3
	v_and_b32_sdwa v0, v7, s97 dst_sel:DWORD dst_unused:UNUSED_PAD src0_sel:BYTE_3 src1_sel:DWORD
	v_and_b32_e32 v12, 0x7f800000, v7
	v_mov_b32_e32 v13, v51
	v_and_b32_e32 v50, 0x7fffff, v7
	v_or_b32_e32 v28, 0x7b, v0
	v_cmp_ne_u64_e32 vcc, s[52:53], v[12:13]
	s_and_saveexec_b64 s[30:31], vcc
	s_xor_b64 s[34:35], exec, s[30:31]
	s_cbranch_execz .LBB2_4765
; %bb.4756:                             ;   in Loop: Header=BB2_4719 Depth=3
	v_and_b32_e32 v12, 0x7fffffff, v7
	v_mov_b32_e32 v13, v51
	v_cmp_gt_u64_e32 vcc, s[54:55], v[12:13]
	s_and_saveexec_b64 s[72:73], vcc
	s_cbranch_execz .LBB2_4764
; %bb.4757:                             ;   in Loop: Header=BB2_4719 Depth=3
	v_cmp_ne_u32_e32 vcc, 0, v7
	v_mov_b32_e32 v28, 0
	s_and_saveexec_b64 s[74:75], vcc
	s_cbranch_execz .LBB2_4763
; %bb.4758:                             ;   in Loop: Header=BB2_4719 Depth=3
	v_bfe_u32 v7, v7, 23, 8
	v_sub_u32_e32 v13, 0x71, v7
	v_cmp_gt_u32_e32 vcc, s38, v7
	v_add_u32_e32 v12, 0xffffff81, v7
	v_cndmask_b32_e32 v13, 0, v13, vcc
	v_cmp_eq_u32_e32 vcc, 0, v7
	v_mov_b32_e32 v7, 0xffffff82
	v_cndmask_b32_e32 v7, v12, v7, vcc
	v_mov_b32_e32 v12, 0x70
	v_or_b32_e32 v14, 0x800000, v50
	v_cndmask_b32_e32 v15, v13, v12, vcc
	v_cndmask_b32_e32 v50, v14, v50, vcc
	v_add_u32_e32 v12, 21, v15
	v_lshlrev_b64 v[12:13], v12, -1
	v_add_u32_e32 v14, 20, v15
	v_lshrrev_b64 v[26:27], v15, v[50:51]
	v_not_b32_e32 v13, v13
	v_not_b32_e32 v12, v12
	v_lshlrev_b64 v[24:25], v14, 1
	v_lshrrev_b32_e32 v14, 23, v26
	v_and_b32_e32 v13, 0, v13
	v_and_b32_e32 v12, v50, v12
	v_add3_u32 v15, v15, v7, v14
	v_bfe_u32 v7, v26, 21, 1
	v_add_u32_e32 v7, -1, v7
	v_cmp_eq_u64_e32 vcc, v[12:13], v[24:25]
	v_cndmask_b32_e32 v7, 0, v7, vcc
	v_add_u32_e32 v7, v7, v26
	v_and_b32_e32 v7, 0x1fffff, v7
	v_add_co_u32_e32 v12, vcc, v7, v26
	v_add_u32_e32 v14, 14, v15
	v_addc_co_u32_e32 v13, vcc, 0, v27, vcc
	v_cmp_ne_u32_e32 vcc, 0, v14
                                        ; implicit-def: $vgpr7
	s_and_saveexec_b64 s[30:31], vcc
	s_xor_b64 s[30:31], exec, s[30:31]
; %bb.4759:                             ;   in Loop: Header=BB2_4719 Depth=3
	v_add_u32_e32 v7, 15, v15
	v_cmp_lt_u64_e32 vcc, s[56:57], v[12:13]
	v_cndmask_b32_e32 v7, v14, v7, vcc
	v_cndmask_b32_e64 v14, 0, 1, vcc
	v_lshrrev_b64 v[12:13], v14, v[12:13]
; %bb.4760:                             ;   in Loop: Header=BB2_4719 Depth=3
	s_andn2_saveexec_b64 vcc, s[30:31]
; %bb.4761:                             ;   in Loop: Header=BB2_4719 Depth=3
	v_bfe_u32 v7, v12, 23, 1
; %bb.4762:                             ;   in Loop: Header=BB2_4719 Depth=3
	s_or_b64 exec, exec, vcc
	v_lshrrev_b64 v[12:13], 21, v[12:13]
	v_cmp_gt_i32_e32 vcc, 32, v7
	v_cndmask_b32_e32 v13, 0, v13, vcc
	v_cndmask_b32_e32 v12, 3, v12, vcc
	v_cmp_eq_u32_e32 vcc, 0, v7
	v_min_i32_e32 v7, 31, v7
	v_cmp_eq_u64_e64 s[30:31], 0, v[12:13]
	v_lshlrev_b32_e32 v7, 2, v7
	v_and_or_b32 v7, v12, 3, v7
	s_and_b64 vcc, vcc, s[30:31]
	v_cndmask_b32_e64 v7, v7, 0, vcc
	v_or_b32_e32 v28, v7, v0
.LBB2_4763:                             ;   in Loop: Header=BB2_4719 Depth=3
	s_or_b64 exec, exec, s[74:75]
.LBB2_4764:                             ;   in Loop: Header=BB2_4719 Depth=3
	s_or_b64 exec, exec, s[72:73]
                                        ; implicit-def: $vgpr7
.LBB2_4765:                             ;   in Loop: Header=BB2_4719 Depth=3
	s_andn2_saveexec_b64 s[30:31], s[34:35]
; %bb.4766:                             ;   in Loop: Header=BB2_4719 Depth=3
	v_or_b32_sdwa v0, v7, s39 dst_sel:DWORD dst_unused:UNUSED_PAD src0_sel:BYTE_3 src1_sel:DWORD
	v_cmp_eq_u64_e32 vcc, 0, v[50:51]
	v_cndmask_b32_e32 v28, v0, v28, vcc
; %bb.4767:                             ;   in Loop: Header=BB2_4719 Depth=3
	s_or_b64 exec, exec, s[30:31]
	v_lshrrev_b16_e32 v50, 8, v40
	s_waitcnt vmcnt(0)
	v_lshrrev_b16_e32 v12, 8, v8
	v_cmp_ne_u16_e64 s[30:31], 0, v50
	s_and_b64 vcc, exec, s[70:71]
	s_cbranch_vccz .LBB2_4785
; %bb.4768:                             ;   in Loop: Header=BB2_4719 Depth=3
	v_mov_b32_e32 v7, 0
	v_mov_b32_e32 v0, 0
	s_and_saveexec_b64 s[34:35], s[30:31]
	s_cbranch_execz .LBB2_4776
; %bb.4769:                             ;   in Loop: Header=BB2_4719 Depth=3
	v_cmp_ne_u16_e32 vcc, s97, v50
	v_bfrev_b32_e32 v0, 1
	s_and_saveexec_b64 s[72:73], vcc
	s_cbranch_execz .LBB2_4775
; %bb.4770:                             ;   in Loop: Header=BB2_4719 Depth=3
	v_and_b32_e32 v0, 0x7c, v50
	v_and_b32_e32 v13, 3, v50
	v_cmp_ne_u32_e32 vcc, s95, v0
                                        ; implicit-def: $vgpr0
	s_and_saveexec_b64 s[74:75], vcc
	s_xor_b64 s[74:75], exec, s[74:75]
	s_cbranch_execz .LBB2_4772
; %bb.4771:                             ;   in Loop: Header=BB2_4719 Depth=3
	v_ffbh_u32_e32 v14, v13
	v_min_u32_e32 v24, 32, v14
	v_subrev_u32_e32 v14, 29, v24
	v_bfe_u32 v0, v50, 2, 5
	v_lshlrev_b64 v[14:15], v14, v[50:51]
	v_sub_u32_e32 v15, 30, v24
	v_cmp_eq_u32_e32 vcc, 0, v0
	v_and_b32_e32 v14, 3, v14
	v_cndmask_b32_e32 v0, v0, v15, vcc
	v_bfrev_b32_e32 v15, 28
	v_cndmask_b32_e32 v13, v13, v14, vcc
	v_lshlrev_b32_e32 v14, 16, v40
	v_lshl_add_u32 v0, v0, 23, v15
	v_and_or_b32 v0, v14, s96, v0
	v_lshl_or_b32 v0, v13, 21, v0
                                        ; implicit-def: $vgpr13
.LBB2_4772:                             ;   in Loop: Header=BB2_4719 Depth=3
	s_andn2_saveexec_b64 s[74:75], s[74:75]
; %bb.4773:                             ;   in Loop: Header=BB2_4719 Depth=3
	v_cmp_lt_i16_e32 vcc, -1, v40
	v_mov_b32_e32 v0, 0xc7600000
	v_mov_b32_e32 v14, 0x47600000
	v_cndmask_b32_e32 v0, v0, v14, vcc
	v_cmp_eq_u32_e32 vcc, 0, v13
	v_mov_b32_e32 v13, 0x7f800001
	v_cndmask_b32_e32 v0, v13, v0, vcc
; %bb.4774:                             ;   in Loop: Header=BB2_4719 Depth=3
	s_or_b64 exec, exec, s[74:75]
.LBB2_4775:                             ;   in Loop: Header=BB2_4719 Depth=3
	s_or_b64 exec, exec, s[72:73]
.LBB2_4776:                             ;   in Loop: Header=BB2_4719 Depth=3
	s_or_b64 exec, exec, s[34:35]
	v_cmp_ne_u16_e32 vcc, 0, v12
	s_and_saveexec_b64 s[34:35], vcc
	s_cbranch_execz .LBB2_4784
; %bb.4777:                             ;   in Loop: Header=BB2_4719 Depth=3
	v_cmp_ne_u16_e32 vcc, s97, v12
	v_bfrev_b32_e32 v7, 1
	s_and_saveexec_b64 s[72:73], vcc
	s_cbranch_execz .LBB2_4783
; %bb.4778:                             ;   in Loop: Header=BB2_4719 Depth=3
	v_and_b32_e32 v7, 0x7c, v12
	v_and_b32_e32 v14, 3, v12
	v_cmp_ne_u32_e32 vcc, s95, v7
                                        ; implicit-def: $vgpr7
	s_and_saveexec_b64 s[74:75], vcc
	s_xor_b64 s[74:75], exec, s[74:75]
	s_cbranch_execz .LBB2_4780
; %bb.4779:                             ;   in Loop: Header=BB2_4719 Depth=3
	v_ffbh_u32_e32 v15, v14
	v_min_u32_e32 v15, 32, v15
	v_mov_b32_e32 v13, v51
	v_subrev_u32_e32 v24, 29, v15
	v_bfe_u32 v7, v12, 2, 5
	v_lshlrev_b64 v[24:25], v24, v[12:13]
	v_sub_u32_e32 v13, 30, v15
	v_and_b32_e32 v15, 3, v24
	v_cmp_eq_u32_e32 vcc, 0, v7
	v_cndmask_b32_e32 v7, v7, v13, vcc
	v_cndmask_b32_e32 v13, v14, v15, vcc
	v_bfrev_b32_e32 v15, 28
	v_lshlrev_b32_e32 v14, 16, v8
	v_lshl_add_u32 v7, v7, 23, v15
	v_and_or_b32 v7, v14, s96, v7
	v_lshl_or_b32 v7, v13, 21, v7
                                        ; implicit-def: $vgpr14
.LBB2_4780:                             ;   in Loop: Header=BB2_4719 Depth=3
	s_andn2_saveexec_b64 s[74:75], s[74:75]
; %bb.4781:                             ;   in Loop: Header=BB2_4719 Depth=3
	v_cmp_lt_i16_e32 vcc, -1, v8
	v_mov_b32_e32 v7, 0xc7600000
	v_mov_b32_e32 v13, 0x47600000
	v_cndmask_b32_e32 v7, v7, v13, vcc
	v_cmp_eq_u32_e32 vcc, 0, v14
	v_mov_b32_e32 v13, 0x7f800001
	v_cndmask_b32_e32 v7, v13, v7, vcc
; %bb.4782:                             ;   in Loop: Header=BB2_4719 Depth=3
	s_or_b64 exec, exec, s[74:75]
.LBB2_4783:                             ;   in Loop: Header=BB2_4719 Depth=3
	s_or_b64 exec, exec, s[72:73]
.LBB2_4784:                             ;   in Loop: Header=BB2_4719 Depth=3
	s_or_b64 exec, exec, s[34:35]
	v_max_f32_e32 v7, v7, v7
	v_max_f32_e32 v0, v0, v0
	;; [unrolled: 1-line block ×3, first 2 shown]
	s_branch .LBB2_4803
.LBB2_4785:                             ;   in Loop: Header=BB2_4719 Depth=3
                                        ; implicit-def: $vgpr7
	s_cbranch_execz .LBB2_4803
; %bb.4786:                             ;   in Loop: Header=BB2_4719 Depth=3
	v_mov_b32_e32 v7, 0
	v_mov_b32_e32 v0, 0
	s_and_saveexec_b64 s[34:35], s[30:31]
	s_cbranch_execz .LBB2_4794
; %bb.4787:                             ;   in Loop: Header=BB2_4719 Depth=3
	v_cmp_ne_u16_e32 vcc, s97, v50
	v_bfrev_b32_e32 v0, 1
	s_and_saveexec_b64 s[30:31], vcc
	s_cbranch_execz .LBB2_4793
; %bb.4788:                             ;   in Loop: Header=BB2_4719 Depth=3
	v_and_b32_e32 v0, 0x7c, v50
	v_and_b32_e32 v13, 3, v50
	v_cmp_ne_u32_e32 vcc, s95, v0
                                        ; implicit-def: $vgpr0
	s_and_saveexec_b64 s[72:73], vcc
	s_xor_b64 s[72:73], exec, s[72:73]
	s_cbranch_execz .LBB2_4790
; %bb.4789:                             ;   in Loop: Header=BB2_4719 Depth=3
	v_ffbh_u32_e32 v14, v13
	v_min_u32_e32 v24, 32, v14
	v_subrev_u32_e32 v14, 29, v24
	v_bfe_u32 v0, v50, 2, 5
	v_lshlrev_b64 v[14:15], v14, v[50:51]
	v_sub_u32_e32 v15, 30, v24
	v_cmp_eq_u32_e32 vcc, 0, v0
	v_and_b32_e32 v14, 3, v14
	v_cndmask_b32_e32 v0, v0, v15, vcc
	v_bfrev_b32_e32 v15, 28
	v_cndmask_b32_e32 v13, v13, v14, vcc
	v_lshlrev_b32_e32 v14, 16, v40
	v_lshl_add_u32 v0, v0, 23, v15
	v_and_or_b32 v0, v14, s96, v0
	v_lshl_or_b32 v0, v13, 21, v0
                                        ; implicit-def: $vgpr13
.LBB2_4790:                             ;   in Loop: Header=BB2_4719 Depth=3
	s_andn2_saveexec_b64 s[72:73], s[72:73]
; %bb.4791:                             ;   in Loop: Header=BB2_4719 Depth=3
	v_cmp_lt_i16_e32 vcc, -1, v40
	v_mov_b32_e32 v0, 0xc7600000
	v_mov_b32_e32 v14, 0x47600000
	v_cndmask_b32_e32 v0, v0, v14, vcc
	v_cmp_eq_u32_e32 vcc, 0, v13
	v_mov_b32_e32 v13, 0x7f800001
	v_cndmask_b32_e32 v0, v13, v0, vcc
; %bb.4792:                             ;   in Loop: Header=BB2_4719 Depth=3
	s_or_b64 exec, exec, s[72:73]
.LBB2_4793:                             ;   in Loop: Header=BB2_4719 Depth=3
	s_or_b64 exec, exec, s[30:31]
.LBB2_4794:                             ;   in Loop: Header=BB2_4719 Depth=3
	s_or_b64 exec, exec, s[34:35]
	v_cmp_ne_u16_e32 vcc, 0, v12
	s_and_saveexec_b64 s[30:31], vcc
	s_cbranch_execz .LBB2_4802
; %bb.4795:                             ;   in Loop: Header=BB2_4719 Depth=3
	v_cmp_ne_u16_e32 vcc, s97, v12
	v_bfrev_b32_e32 v7, 1
	s_and_saveexec_b64 s[34:35], vcc
	s_cbranch_execz .LBB2_4801
; %bb.4796:                             ;   in Loop: Header=BB2_4719 Depth=3
	v_and_b32_e32 v7, 0x7c, v12
	v_and_b32_e32 v14, 3, v12
	v_cmp_ne_u32_e32 vcc, s95, v7
                                        ; implicit-def: $vgpr7
	s_and_saveexec_b64 s[72:73], vcc
	s_xor_b64 s[72:73], exec, s[72:73]
	s_cbranch_execz .LBB2_4798
; %bb.4797:                             ;   in Loop: Header=BB2_4719 Depth=3
	v_ffbh_u32_e32 v15, v14
	v_min_u32_e32 v15, 32, v15
	v_mov_b32_e32 v13, v51
	v_subrev_u32_e32 v24, 29, v15
	v_bfe_u32 v7, v12, 2, 5
	v_lshlrev_b64 v[12:13], v24, v[12:13]
	v_sub_u32_e32 v13, 30, v15
	v_and_b32_e32 v12, 3, v12
	v_cmp_eq_u32_e32 vcc, 0, v7
	v_cndmask_b32_e32 v7, v7, v13, vcc
	v_cndmask_b32_e32 v12, v14, v12, vcc
	v_bfrev_b32_e32 v14, 28
	v_lshlrev_b32_e32 v13, 16, v8
	v_lshl_add_u32 v7, v7, 23, v14
	v_and_or_b32 v7, v13, s96, v7
	v_lshl_or_b32 v7, v12, 21, v7
                                        ; implicit-def: $vgpr14
.LBB2_4798:                             ;   in Loop: Header=BB2_4719 Depth=3
	s_andn2_saveexec_b64 s[72:73], s[72:73]
; %bb.4799:                             ;   in Loop: Header=BB2_4719 Depth=3
	v_cmp_lt_i16_e32 vcc, -1, v8
	v_mov_b32_e32 v7, 0xc7600000
	v_mov_b32_e32 v12, 0x47600000
	v_cndmask_b32_e32 v7, v7, v12, vcc
	v_cmp_eq_u32_e32 vcc, 0, v14
	v_mov_b32_e32 v12, 0x7f800001
	v_cndmask_b32_e32 v7, v12, v7, vcc
; %bb.4800:                             ;   in Loop: Header=BB2_4719 Depth=3
	s_or_b64 exec, exec, s[72:73]
.LBB2_4801:                             ;   in Loop: Header=BB2_4719 Depth=3
	s_or_b64 exec, exec, s[34:35]
.LBB2_4802:                             ;   in Loop: Header=BB2_4719 Depth=3
	s_or_b64 exec, exec, s[30:31]
	v_max_f32_e32 v7, v7, v7
	v_max_f32_e32 v0, v0, v0
	v_min_f32_e32 v7, v0, v7
.LBB2_4803:                             ;   in Loop: Header=BB2_4719 Depth=3
	v_and_b32_sdwa v0, v7, s97 dst_sel:DWORD dst_unused:UNUSED_PAD src0_sel:BYTE_3 src1_sel:DWORD
	v_and_b32_e32 v12, 0x7f800000, v7
	v_mov_b32_e32 v13, v51
	v_and_b32_e32 v50, 0x7fffff, v7
	v_or_b32_e32 v29, 0x7b, v0
	v_cmp_ne_u64_e32 vcc, s[52:53], v[12:13]
	s_and_saveexec_b64 s[30:31], vcc
	s_xor_b64 s[34:35], exec, s[30:31]
	s_cbranch_execz .LBB2_4813
; %bb.4804:                             ;   in Loop: Header=BB2_4719 Depth=3
	v_and_b32_e32 v12, 0x7fffffff, v7
	v_mov_b32_e32 v13, v51
	v_cmp_gt_u64_e32 vcc, s[54:55], v[12:13]
	s_and_saveexec_b64 s[72:73], vcc
	s_cbranch_execz .LBB2_4812
; %bb.4805:                             ;   in Loop: Header=BB2_4719 Depth=3
	v_cmp_ne_u32_e32 vcc, 0, v7
	v_mov_b32_e32 v29, 0
	s_and_saveexec_b64 s[74:75], vcc
	s_cbranch_execz .LBB2_4811
; %bb.4806:                             ;   in Loop: Header=BB2_4719 Depth=3
	v_bfe_u32 v7, v7, 23, 8
	v_sub_u32_e32 v13, 0x71, v7
	v_cmp_gt_u32_e32 vcc, s38, v7
	v_add_u32_e32 v12, 0xffffff81, v7
	v_cndmask_b32_e32 v13, 0, v13, vcc
	v_cmp_eq_u32_e32 vcc, 0, v7
	v_mov_b32_e32 v7, 0xffffff82
	v_cndmask_b32_e32 v7, v12, v7, vcc
	v_mov_b32_e32 v12, 0x70
	v_or_b32_e32 v14, 0x800000, v50
	v_cndmask_b32_e32 v15, v13, v12, vcc
	v_cndmask_b32_e32 v50, v14, v50, vcc
	v_add_u32_e32 v12, 21, v15
	v_lshlrev_b64 v[12:13], v12, -1
	v_add_u32_e32 v14, 20, v15
	v_lshrrev_b64 v[26:27], v15, v[50:51]
	v_not_b32_e32 v13, v13
	v_not_b32_e32 v12, v12
	v_lshlrev_b64 v[24:25], v14, 1
	v_lshrrev_b32_e32 v14, 23, v26
	v_and_b32_e32 v13, 0, v13
	v_and_b32_e32 v12, v50, v12
	v_add3_u32 v15, v15, v7, v14
	v_bfe_u32 v7, v26, 21, 1
	v_add_u32_e32 v7, -1, v7
	v_cmp_eq_u64_e32 vcc, v[12:13], v[24:25]
	v_cndmask_b32_e32 v7, 0, v7, vcc
	v_add_u32_e32 v7, v7, v26
	v_and_b32_e32 v7, 0x1fffff, v7
	v_add_co_u32_e32 v12, vcc, v7, v26
	v_add_u32_e32 v14, 14, v15
	v_addc_co_u32_e32 v13, vcc, 0, v27, vcc
	v_cmp_ne_u32_e32 vcc, 0, v14
                                        ; implicit-def: $vgpr7
	s_and_saveexec_b64 s[30:31], vcc
	s_xor_b64 s[30:31], exec, s[30:31]
; %bb.4807:                             ;   in Loop: Header=BB2_4719 Depth=3
	v_add_u32_e32 v7, 15, v15
	v_cmp_lt_u64_e32 vcc, s[56:57], v[12:13]
	v_cndmask_b32_e32 v7, v14, v7, vcc
	v_cndmask_b32_e64 v14, 0, 1, vcc
	v_lshrrev_b64 v[12:13], v14, v[12:13]
; %bb.4808:                             ;   in Loop: Header=BB2_4719 Depth=3
	s_andn2_saveexec_b64 vcc, s[30:31]
; %bb.4809:                             ;   in Loop: Header=BB2_4719 Depth=3
	v_bfe_u32 v7, v12, 23, 1
; %bb.4810:                             ;   in Loop: Header=BB2_4719 Depth=3
	s_or_b64 exec, exec, vcc
	v_lshrrev_b64 v[12:13], 21, v[12:13]
	v_cmp_gt_i32_e32 vcc, 32, v7
	v_cndmask_b32_e32 v13, 0, v13, vcc
	v_cndmask_b32_e32 v12, 3, v12, vcc
	v_cmp_eq_u32_e32 vcc, 0, v7
	v_min_i32_e32 v7, 31, v7
	v_cmp_eq_u64_e64 s[30:31], 0, v[12:13]
	v_lshlrev_b32_e32 v7, 2, v7
	v_and_or_b32 v7, v12, 3, v7
	s_and_b64 vcc, vcc, s[30:31]
	v_cndmask_b32_e64 v7, v7, 0, vcc
	v_or_b32_e32 v29, v7, v0
.LBB2_4811:                             ;   in Loop: Header=BB2_4719 Depth=3
	s_or_b64 exec, exec, s[74:75]
.LBB2_4812:                             ;   in Loop: Header=BB2_4719 Depth=3
	s_or_b64 exec, exec, s[72:73]
                                        ; implicit-def: $vgpr7
.LBB2_4813:                             ;   in Loop: Header=BB2_4719 Depth=3
	s_andn2_saveexec_b64 s[30:31], s[34:35]
; %bb.4814:                             ;   in Loop: Header=BB2_4719 Depth=3
	v_or_b32_sdwa v0, v7, s39 dst_sel:DWORD dst_unused:UNUSED_PAD src0_sel:BYTE_3 src1_sel:DWORD
	v_cmp_eq_u64_e32 vcc, 0, v[50:51]
	v_cndmask_b32_e32 v29, v0, v29, vcc
; %bb.4815:                             ;   in Loop: Header=BB2_4719 Depth=3
	s_or_b64 exec, exec, s[30:31]
	v_lshrrev_b32_e32 v14, 16, v40
	v_lshrrev_b32_e32 v12, 16, v8
	v_cmp_ne_u16_sdwa s[30:31], v14, v51 src0_sel:BYTE_0 src1_sel:DWORD
	s_and_b64 vcc, exec, s[70:71]
	s_cbranch_vccz .LBB2_4833
; %bb.4816:                             ;   in Loop: Header=BB2_4719 Depth=3
	v_mov_b32_e32 v7, 0
	v_mov_b32_e32 v0, 0
	s_and_saveexec_b64 s[34:35], s[30:31]
	s_cbranch_execz .LBB2_4824
; %bb.4817:                             ;   in Loop: Header=BB2_4719 Depth=3
	v_cmp_ne_u16_sdwa vcc, v14, s97 src0_sel:BYTE_0 src1_sel:DWORD
	v_bfrev_b32_e32 v0, 1
	s_and_saveexec_b64 s[72:73], vcc
	s_cbranch_execz .LBB2_4823
; %bb.4818:                             ;   in Loop: Header=BB2_4719 Depth=3
	v_and_b32_e32 v0, 0x7c0000, v40
	v_bfe_u32 v13, v40, 16, 2
	v_cmp_ne_u32_e32 vcc, s36, v0
                                        ; implicit-def: $vgpr0
	s_and_saveexec_b64 s[74:75], vcc
	s_xor_b64 s[74:75], exec, s[74:75]
	s_cbranch_execz .LBB2_4820
; %bb.4819:                             ;   in Loop: Header=BB2_4719 Depth=3
	v_ffbh_u32_e32 v15, v13
	v_min_u32_e32 v15, 32, v15
	v_subrev_u32_e32 v24, 29, v15
	v_bfe_u32 v0, v40, 18, 5
	v_lshlrev_b64 v[24:25], v24, v[14:15]
	v_sub_u32_e32 v15, 30, v15
	v_and_b32_e32 v24, 3, v24
	v_cmp_eq_u32_e32 vcc, 0, v0
	v_cndmask_b32_e32 v0, v0, v15, vcc
	v_cndmask_b32_e32 v13, v13, v24, vcc
	v_bfrev_b32_e32 v24, 28
	v_lshlrev_b32_e32 v15, 24, v14
	v_lshl_add_u32 v0, v0, 23, v24
	v_and_or_b32 v0, v15, s96, v0
	v_lshl_or_b32 v0, v13, 21, v0
                                        ; implicit-def: $vgpr13
.LBB2_4820:                             ;   in Loop: Header=BB2_4719 Depth=3
	s_andn2_saveexec_b64 s[74:75], s[74:75]
; %bb.4821:                             ;   in Loop: Header=BB2_4719 Depth=3
	v_mov_b32_e32 v0, -1
	v_cmp_gt_i16_sdwa vcc, sext(v14), v0 src0_sel:BYTE_0 src1_sel:DWORD
	v_mov_b32_e32 v0, 0xc7600000
	v_mov_b32_e32 v15, 0x47600000
	v_cndmask_b32_e32 v0, v0, v15, vcc
	v_cmp_eq_u32_e32 vcc, 0, v13
	v_mov_b32_e32 v13, 0x7f800001
	v_cndmask_b32_e32 v0, v13, v0, vcc
; %bb.4822:                             ;   in Loop: Header=BB2_4719 Depth=3
	s_or_b64 exec, exec, s[74:75]
.LBB2_4823:                             ;   in Loop: Header=BB2_4719 Depth=3
	s_or_b64 exec, exec, s[72:73]
.LBB2_4824:                             ;   in Loop: Header=BB2_4719 Depth=3
	s_or_b64 exec, exec, s[34:35]
	v_cmp_ne_u16_sdwa vcc, v12, v51 src0_sel:BYTE_0 src1_sel:DWORD
	s_and_saveexec_b64 s[34:35], vcc
	s_cbranch_execz .LBB2_4832
; %bb.4825:                             ;   in Loop: Header=BB2_4719 Depth=3
	v_cmp_ne_u16_sdwa vcc, v12, s97 src0_sel:BYTE_0 src1_sel:DWORD
	v_bfrev_b32_e32 v7, 1
	s_and_saveexec_b64 s[72:73], vcc
	s_cbranch_execz .LBB2_4831
; %bb.4826:                             ;   in Loop: Header=BB2_4719 Depth=3
	v_and_b32_e32 v7, 0x7c0000, v8
	v_bfe_u32 v13, v8, 16, 2
	v_cmp_ne_u32_e32 vcc, s36, v7
                                        ; implicit-def: $vgpr7
	s_and_saveexec_b64 s[74:75], vcc
	s_xor_b64 s[74:75], exec, s[74:75]
	s_cbranch_execz .LBB2_4828
; %bb.4827:                             ;   in Loop: Header=BB2_4719 Depth=3
	v_ffbh_u32_e32 v15, v13
	v_min_u32_e32 v15, 32, v15
	v_subrev_u32_e32 v24, 29, v15
	v_bfe_u32 v7, v8, 18, 5
	v_lshlrev_b64 v[24:25], v24, v[12:13]
	v_sub_u32_e32 v15, 30, v15
	v_and_b32_e32 v24, 3, v24
	v_cmp_eq_u32_e32 vcc, 0, v7
	v_cndmask_b32_e32 v7, v7, v15, vcc
	v_cndmask_b32_e32 v13, v13, v24, vcc
	v_bfrev_b32_e32 v24, 28
	v_lshlrev_b32_e32 v15, 24, v12
	v_lshl_add_u32 v7, v7, 23, v24
	v_and_or_b32 v7, v15, s96, v7
	v_lshl_or_b32 v7, v13, 21, v7
                                        ; implicit-def: $vgpr13
.LBB2_4828:                             ;   in Loop: Header=BB2_4719 Depth=3
	s_andn2_saveexec_b64 s[74:75], s[74:75]
; %bb.4829:                             ;   in Loop: Header=BB2_4719 Depth=3
	v_mov_b32_e32 v7, -1
	v_cmp_gt_i16_sdwa vcc, sext(v12), v7 src0_sel:BYTE_0 src1_sel:DWORD
	v_mov_b32_e32 v7, 0xc7600000
	v_mov_b32_e32 v15, 0x47600000
	v_cndmask_b32_e32 v7, v7, v15, vcc
	v_cmp_eq_u32_e32 vcc, 0, v13
	v_mov_b32_e32 v13, 0x7f800001
	v_cndmask_b32_e32 v7, v13, v7, vcc
; %bb.4830:                             ;   in Loop: Header=BB2_4719 Depth=3
	s_or_b64 exec, exec, s[74:75]
.LBB2_4831:                             ;   in Loop: Header=BB2_4719 Depth=3
	s_or_b64 exec, exec, s[72:73]
.LBB2_4832:                             ;   in Loop: Header=BB2_4719 Depth=3
	s_or_b64 exec, exec, s[34:35]
	v_max_f32_e32 v7, v7, v7
	v_max_f32_e32 v0, v0, v0
	;; [unrolled: 1-line block ×3, first 2 shown]
	s_branch .LBB2_4851
.LBB2_4833:                             ;   in Loop: Header=BB2_4719 Depth=3
                                        ; implicit-def: $vgpr7
	s_cbranch_execz .LBB2_4851
; %bb.4834:                             ;   in Loop: Header=BB2_4719 Depth=3
	v_mov_b32_e32 v7, 0
	v_mov_b32_e32 v0, 0
	s_and_saveexec_b64 s[34:35], s[30:31]
	s_cbranch_execz .LBB2_4842
; %bb.4835:                             ;   in Loop: Header=BB2_4719 Depth=3
	v_cmp_ne_u16_sdwa vcc, v14, s97 src0_sel:BYTE_0 src1_sel:DWORD
	v_bfrev_b32_e32 v0, 1
	s_and_saveexec_b64 s[30:31], vcc
	s_cbranch_execz .LBB2_4841
; %bb.4836:                             ;   in Loop: Header=BB2_4719 Depth=3
	v_and_b32_e32 v0, 0x7c0000, v40
	v_bfe_u32 v13, v40, 16, 2
	v_cmp_ne_u32_e32 vcc, s36, v0
                                        ; implicit-def: $vgpr0
	s_and_saveexec_b64 s[72:73], vcc
	s_xor_b64 s[72:73], exec, s[72:73]
	s_cbranch_execz .LBB2_4838
; %bb.4837:                             ;   in Loop: Header=BB2_4719 Depth=3
	v_ffbh_u32_e32 v15, v13
	v_min_u32_e32 v15, 32, v15
	v_bfe_u32 v0, v40, 18, 5
	v_subrev_u32_e32 v24, 29, v15
	v_lshlrev_b64 v[24:25], v24, v[14:15]
	v_sub_u32_e32 v15, 30, v15
	v_cmp_eq_u32_e32 vcc, 0, v0
	v_cndmask_b32_e32 v0, v0, v15, vcc
	v_bfrev_b32_e32 v15, 28
	v_and_b32_e32 v24, 3, v24
	v_lshlrev_b32_e32 v14, 24, v14
	v_lshl_add_u32 v0, v0, 23, v15
	v_cndmask_b32_e32 v13, v13, v24, vcc
	v_and_or_b32 v0, v14, s96, v0
	v_lshl_or_b32 v0, v13, 21, v0
                                        ; implicit-def: $vgpr13
                                        ; implicit-def: $vgpr14
.LBB2_4838:                             ;   in Loop: Header=BB2_4719 Depth=3
	s_andn2_saveexec_b64 s[72:73], s[72:73]
; %bb.4839:                             ;   in Loop: Header=BB2_4719 Depth=3
	v_mov_b32_e32 v0, -1
	v_cmp_gt_i16_sdwa vcc, sext(v14), v0 src0_sel:BYTE_0 src1_sel:DWORD
	v_mov_b32_e32 v0, 0xc7600000
	v_mov_b32_e32 v14, 0x47600000
	v_cndmask_b32_e32 v0, v0, v14, vcc
	v_cmp_eq_u32_e32 vcc, 0, v13
	v_mov_b32_e32 v13, 0x7f800001
	v_cndmask_b32_e32 v0, v13, v0, vcc
; %bb.4840:                             ;   in Loop: Header=BB2_4719 Depth=3
	s_or_b64 exec, exec, s[72:73]
.LBB2_4841:                             ;   in Loop: Header=BB2_4719 Depth=3
	s_or_b64 exec, exec, s[30:31]
.LBB2_4842:                             ;   in Loop: Header=BB2_4719 Depth=3
	s_or_b64 exec, exec, s[34:35]
	v_cmp_ne_u16_sdwa vcc, v12, v51 src0_sel:BYTE_0 src1_sel:DWORD
	s_and_saveexec_b64 s[30:31], vcc
	s_cbranch_execz .LBB2_4850
; %bb.4843:                             ;   in Loop: Header=BB2_4719 Depth=3
	v_cmp_ne_u16_sdwa vcc, v12, s97 src0_sel:BYTE_0 src1_sel:DWORD
	v_bfrev_b32_e32 v7, 1
	s_and_saveexec_b64 s[34:35], vcc
	s_cbranch_execz .LBB2_4849
; %bb.4844:                             ;   in Loop: Header=BB2_4719 Depth=3
	v_and_b32_e32 v7, 0x7c0000, v8
	v_bfe_u32 v13, v8, 16, 2
	v_cmp_ne_u32_e32 vcc, s36, v7
                                        ; implicit-def: $vgpr7
	s_and_saveexec_b64 s[72:73], vcc
	s_xor_b64 s[72:73], exec, s[72:73]
	s_cbranch_execz .LBB2_4846
; %bb.4845:                             ;   in Loop: Header=BB2_4719 Depth=3
	v_ffbh_u32_e32 v14, v13
	v_min_u32_e32 v24, 32, v14
	v_subrev_u32_e32 v14, 29, v24
	v_bfe_u32 v7, v8, 18, 5
	v_lshlrev_b64 v[14:15], v14, v[12:13]
	v_sub_u32_e32 v15, 30, v24
	v_and_b32_e32 v14, 3, v14
	v_cmp_eq_u32_e32 vcc, 0, v7
	v_cndmask_b32_e32 v7, v7, v15, vcc
	v_cndmask_b32_e32 v13, v13, v14, vcc
	v_bfrev_b32_e32 v14, 28
	v_lshlrev_b32_e32 v12, 24, v12
	v_lshl_add_u32 v7, v7, 23, v14
	v_and_or_b32 v7, v12, s96, v7
	v_lshl_or_b32 v7, v13, 21, v7
                                        ; implicit-def: $vgpr13
                                        ; implicit-def: $vgpr12
.LBB2_4846:                             ;   in Loop: Header=BB2_4719 Depth=3
	s_andn2_saveexec_b64 s[72:73], s[72:73]
; %bb.4847:                             ;   in Loop: Header=BB2_4719 Depth=3
	v_mov_b32_e32 v7, -1
	v_cmp_gt_i16_sdwa vcc, sext(v12), v7 src0_sel:BYTE_0 src1_sel:DWORD
	v_mov_b32_e32 v7, 0xc7600000
	v_mov_b32_e32 v12, 0x47600000
	v_cndmask_b32_e32 v7, v7, v12, vcc
	v_cmp_eq_u32_e32 vcc, 0, v13
	v_mov_b32_e32 v12, 0x7f800001
	v_cndmask_b32_e32 v7, v12, v7, vcc
; %bb.4848:                             ;   in Loop: Header=BB2_4719 Depth=3
	s_or_b64 exec, exec, s[72:73]
.LBB2_4849:                             ;   in Loop: Header=BB2_4719 Depth=3
	s_or_b64 exec, exec, s[34:35]
.LBB2_4850:                             ;   in Loop: Header=BB2_4719 Depth=3
	s_or_b64 exec, exec, s[30:31]
	v_max_f32_e32 v7, v7, v7
	v_max_f32_e32 v0, v0, v0
	v_min_f32_e32 v7, v0, v7
.LBB2_4851:                             ;   in Loop: Header=BB2_4719 Depth=3
	v_and_b32_sdwa v0, v7, s97 dst_sel:DWORD dst_unused:UNUSED_PAD src0_sel:BYTE_3 src1_sel:DWORD
	v_and_b32_e32 v12, 0x7f800000, v7
	v_mov_b32_e32 v13, v51
	v_and_b32_e32 v50, 0x7fffff, v7
	v_or_b32_e32 v36, 0x7b, v0
	v_cmp_ne_u64_e32 vcc, s[52:53], v[12:13]
	s_and_saveexec_b64 s[30:31], vcc
	s_xor_b64 s[34:35], exec, s[30:31]
	s_cbranch_execz .LBB2_4861
; %bb.4852:                             ;   in Loop: Header=BB2_4719 Depth=3
	v_and_b32_e32 v12, 0x7fffffff, v7
	v_mov_b32_e32 v13, v51
	v_cmp_gt_u64_e32 vcc, s[54:55], v[12:13]
	s_and_saveexec_b64 s[72:73], vcc
	s_cbranch_execz .LBB2_4860
; %bb.4853:                             ;   in Loop: Header=BB2_4719 Depth=3
	v_cmp_ne_u32_e32 vcc, 0, v7
	v_mov_b32_e32 v36, 0
	s_and_saveexec_b64 s[74:75], vcc
	s_cbranch_execz .LBB2_4859
; %bb.4854:                             ;   in Loop: Header=BB2_4719 Depth=3
	v_bfe_u32 v7, v7, 23, 8
	v_sub_u32_e32 v13, 0x71, v7
	v_cmp_gt_u32_e32 vcc, s38, v7
	v_add_u32_e32 v12, 0xffffff81, v7
	v_cndmask_b32_e32 v13, 0, v13, vcc
	v_cmp_eq_u32_e32 vcc, 0, v7
	v_mov_b32_e32 v7, 0xffffff82
	v_cndmask_b32_e32 v7, v12, v7, vcc
	v_mov_b32_e32 v12, 0x70
	v_or_b32_e32 v14, 0x800000, v50
	v_cndmask_b32_e32 v15, v13, v12, vcc
	v_cndmask_b32_e32 v50, v14, v50, vcc
	v_add_u32_e32 v12, 21, v15
	v_lshlrev_b64 v[12:13], v12, -1
	v_add_u32_e32 v14, 20, v15
	v_lshrrev_b64 v[26:27], v15, v[50:51]
	v_not_b32_e32 v13, v13
	v_not_b32_e32 v12, v12
	v_lshlrev_b64 v[24:25], v14, 1
	v_lshrrev_b32_e32 v14, 23, v26
	v_and_b32_e32 v13, 0, v13
	v_and_b32_e32 v12, v50, v12
	v_add3_u32 v15, v15, v7, v14
	v_bfe_u32 v7, v26, 21, 1
	v_add_u32_e32 v7, -1, v7
	v_cmp_eq_u64_e32 vcc, v[12:13], v[24:25]
	v_cndmask_b32_e32 v7, 0, v7, vcc
	v_add_u32_e32 v7, v7, v26
	v_and_b32_e32 v7, 0x1fffff, v7
	v_add_co_u32_e32 v12, vcc, v7, v26
	v_add_u32_e32 v14, 14, v15
	v_addc_co_u32_e32 v13, vcc, 0, v27, vcc
	v_cmp_ne_u32_e32 vcc, 0, v14
                                        ; implicit-def: $vgpr7
	s_and_saveexec_b64 s[30:31], vcc
	s_xor_b64 s[30:31], exec, s[30:31]
; %bb.4855:                             ;   in Loop: Header=BB2_4719 Depth=3
	v_add_u32_e32 v7, 15, v15
	v_cmp_lt_u64_e32 vcc, s[56:57], v[12:13]
	v_cndmask_b32_e32 v7, v14, v7, vcc
	v_cndmask_b32_e64 v14, 0, 1, vcc
	v_lshrrev_b64 v[12:13], v14, v[12:13]
; %bb.4856:                             ;   in Loop: Header=BB2_4719 Depth=3
	s_andn2_saveexec_b64 vcc, s[30:31]
; %bb.4857:                             ;   in Loop: Header=BB2_4719 Depth=3
	v_bfe_u32 v7, v12, 23, 1
; %bb.4858:                             ;   in Loop: Header=BB2_4719 Depth=3
	s_or_b64 exec, exec, vcc
	v_lshrrev_b64 v[12:13], 21, v[12:13]
	v_cmp_gt_i32_e32 vcc, 32, v7
	v_cndmask_b32_e32 v13, 0, v13, vcc
	v_cndmask_b32_e32 v12, 3, v12, vcc
	v_cmp_eq_u32_e32 vcc, 0, v7
	v_min_i32_e32 v7, 31, v7
	v_cmp_eq_u64_e64 s[30:31], 0, v[12:13]
	v_lshlrev_b32_e32 v7, 2, v7
	v_and_or_b32 v7, v12, 3, v7
	s_and_b64 vcc, vcc, s[30:31]
	v_cndmask_b32_e64 v7, v7, 0, vcc
	v_or_b32_e32 v36, v7, v0
.LBB2_4859:                             ;   in Loop: Header=BB2_4719 Depth=3
	s_or_b64 exec, exec, s[74:75]
.LBB2_4860:                             ;   in Loop: Header=BB2_4719 Depth=3
	s_or_b64 exec, exec, s[72:73]
                                        ; implicit-def: $vgpr7
.LBB2_4861:                             ;   in Loop: Header=BB2_4719 Depth=3
	s_andn2_saveexec_b64 s[30:31], s[34:35]
; %bb.4862:                             ;   in Loop: Header=BB2_4719 Depth=3
	v_or_b32_sdwa v0, v7, s39 dst_sel:DWORD dst_unused:UNUSED_PAD src0_sel:BYTE_3 src1_sel:DWORD
	v_cmp_eq_u64_e32 vcc, 0, v[50:51]
	v_cndmask_b32_e32 v36, v0, v36, vcc
; %bb.4863:                             ;   in Loop: Header=BB2_4719 Depth=3
	s_or_b64 exec, exec, s[30:31]
	v_lshrrev_b32_e32 v14, 24, v40
	v_lshrrev_b32_e32 v12, 24, v8
	v_cmp_lt_u32_e64 s[30:31], s43, v40
	s_and_b64 vcc, exec, s[70:71]
	s_cbranch_vccz .LBB2_4881
; %bb.4864:                             ;   in Loop: Header=BB2_4719 Depth=3
	v_mov_b32_e32 v7, 0
	v_mov_b32_e32 v0, 0
	s_and_saveexec_b64 s[34:35], s[30:31]
	s_cbranch_execz .LBB2_4872
; %bb.4865:                             ;   in Loop: Header=BB2_4719 Depth=3
	v_cmp_ne_u32_e32 vcc, s97, v14
	v_bfrev_b32_e32 v0, 1
	s_and_saveexec_b64 s[72:73], vcc
	s_cbranch_execz .LBB2_4871
; %bb.4866:                             ;   in Loop: Header=BB2_4719 Depth=3
	v_and_b32_e32 v0, 0x7c000000, v40
	v_bfe_u32 v13, v40, 24, 2
	v_cmp_ne_u32_e32 vcc, s37, v0
                                        ; implicit-def: $vgpr0
	s_and_saveexec_b64 s[74:75], vcc
	s_xor_b64 s[74:75], exec, s[74:75]
	s_cbranch_execz .LBB2_4868
; %bb.4867:                             ;   in Loop: Header=BB2_4719 Depth=3
	v_ffbh_u32_e32 v15, v13
	v_min_u32_e32 v15, 32, v15
	v_bfe_u32 v0, v40, 26, 5
	v_subrev_u32_e32 v24, 29, v15
	v_lshlrev_b64 v[24:25], v24, v[14:15]
	v_sub_u32_e32 v15, 30, v15
	v_cmp_eq_u32_e32 vcc, 0, v0
	v_cndmask_b32_e32 v0, v0, v15, vcc
	v_bfrev_b32_e32 v15, 28
	v_and_b32_e32 v24, 3, v24
	v_lshl_add_u32 v0, v0, 23, v15
	v_cndmask_b32_e32 v13, v13, v24, vcc
	v_and_or_b32 v0, v40, s96, v0
	v_lshl_or_b32 v0, v13, 21, v0
                                        ; implicit-def: $vgpr13
.LBB2_4868:                             ;   in Loop: Header=BB2_4719 Depth=3
	s_andn2_saveexec_b64 s[74:75], s[74:75]
; %bb.4869:                             ;   in Loop: Header=BB2_4719 Depth=3
	v_cmp_lt_i32_e32 vcc, -1, v40
	v_mov_b32_e32 v0, 0xc7600000
	v_mov_b32_e32 v15, 0x47600000
	v_cndmask_b32_e32 v0, v0, v15, vcc
	v_cmp_eq_u32_e32 vcc, 0, v13
	v_mov_b32_e32 v13, 0x7f800001
	v_cndmask_b32_e32 v0, v13, v0, vcc
; %bb.4870:                             ;   in Loop: Header=BB2_4719 Depth=3
	s_or_b64 exec, exec, s[74:75]
.LBB2_4871:                             ;   in Loop: Header=BB2_4719 Depth=3
	s_or_b64 exec, exec, s[72:73]
.LBB2_4872:                             ;   in Loop: Header=BB2_4719 Depth=3
	s_or_b64 exec, exec, s[34:35]
	v_cmp_lt_u32_e32 vcc, s43, v8
	s_and_saveexec_b64 s[34:35], vcc
	s_cbranch_execz .LBB2_4880
; %bb.4873:                             ;   in Loop: Header=BB2_4719 Depth=3
	v_cmp_ne_u32_e32 vcc, s97, v12
	v_bfrev_b32_e32 v7, 1
	s_and_saveexec_b64 s[72:73], vcc
	s_cbranch_execz .LBB2_4879
; %bb.4874:                             ;   in Loop: Header=BB2_4719 Depth=3
	v_and_b32_e32 v7, 0x7c000000, v8
	v_bfe_u32 v13, v8, 24, 2
	v_cmp_ne_u32_e32 vcc, s37, v7
                                        ; implicit-def: $vgpr7
	s_and_saveexec_b64 s[74:75], vcc
	s_xor_b64 s[74:75], exec, s[74:75]
	s_cbranch_execz .LBB2_4876
; %bb.4875:                             ;   in Loop: Header=BB2_4719 Depth=3
	v_ffbh_u32_e32 v15, v13
	v_bfe_u32 v7, v8, 26, 5
	v_min_u32_e32 v15, 32, v15
	v_subrev_u32_e32 v24, 29, v15
	v_sub_u32_e32 v15, 30, v15
	v_cmp_eq_u32_e32 vcc, 0, v7
	v_lshlrev_b64 v[24:25], v24, v[12:13]
	v_cndmask_b32_e32 v7, v7, v15, vcc
	v_bfrev_b32_e32 v15, 28
	v_and_b32_e32 v24, 3, v24
	v_lshl_add_u32 v7, v7, 23, v15
	v_cndmask_b32_e32 v13, v13, v24, vcc
	v_and_or_b32 v7, v8, s96, v7
	v_lshl_or_b32 v7, v13, 21, v7
                                        ; implicit-def: $vgpr13
.LBB2_4876:                             ;   in Loop: Header=BB2_4719 Depth=3
	s_andn2_saveexec_b64 s[74:75], s[74:75]
; %bb.4877:                             ;   in Loop: Header=BB2_4719 Depth=3
	v_cmp_lt_i32_e32 vcc, -1, v8
	v_mov_b32_e32 v7, 0xc7600000
	v_mov_b32_e32 v15, 0x47600000
	v_cndmask_b32_e32 v7, v7, v15, vcc
	v_cmp_eq_u32_e32 vcc, 0, v13
	v_mov_b32_e32 v13, 0x7f800001
	v_cndmask_b32_e32 v7, v13, v7, vcc
; %bb.4878:                             ;   in Loop: Header=BB2_4719 Depth=3
	s_or_b64 exec, exec, s[74:75]
.LBB2_4879:                             ;   in Loop: Header=BB2_4719 Depth=3
	s_or_b64 exec, exec, s[72:73]
.LBB2_4880:                             ;   in Loop: Header=BB2_4719 Depth=3
	s_or_b64 exec, exec, s[34:35]
	v_max_f32_e32 v7, v7, v7
	v_max_f32_e32 v0, v0, v0
	;; [unrolled: 1-line block ×3, first 2 shown]
	s_branch .LBB2_4899
.LBB2_4881:                             ;   in Loop: Header=BB2_4719 Depth=3
                                        ; implicit-def: $vgpr7
	s_cbranch_execz .LBB2_4899
; %bb.4882:                             ;   in Loop: Header=BB2_4719 Depth=3
	v_mov_b32_e32 v7, 0
	v_mov_b32_e32 v0, 0
	s_and_saveexec_b64 s[34:35], s[30:31]
	s_cbranch_execz .LBB2_4890
; %bb.4883:                             ;   in Loop: Header=BB2_4719 Depth=3
	v_cmp_ne_u32_e32 vcc, s97, v14
	v_bfrev_b32_e32 v0, 1
	s_and_saveexec_b64 s[30:31], vcc
	s_cbranch_execz .LBB2_4889
; %bb.4884:                             ;   in Loop: Header=BB2_4719 Depth=3
	v_and_b32_e32 v0, 0x7c000000, v40
	v_bfe_u32 v13, v40, 24, 2
	v_cmp_ne_u32_e32 vcc, s37, v0
                                        ; implicit-def: $vgpr0
	s_and_saveexec_b64 s[72:73], vcc
	s_xor_b64 s[72:73], exec, s[72:73]
	s_cbranch_execz .LBB2_4886
; %bb.4885:                             ;   in Loop: Header=BB2_4719 Depth=3
	v_ffbh_u32_e32 v15, v13
	v_min_u32_e32 v24, 32, v15
	v_subrev_u32_e32 v15, 29, v24
	v_bfe_u32 v0, v40, 26, 5
	v_lshlrev_b64 v[14:15], v15, v[14:15]
	v_sub_u32_e32 v15, 30, v24
	v_and_b32_e32 v14, 3, v14
	v_cmp_eq_u32_e32 vcc, 0, v0
	v_cndmask_b32_e32 v0, v0, v15, vcc
	v_cndmask_b32_e32 v13, v13, v14, vcc
	v_bfrev_b32_e32 v14, 28
	v_lshl_add_u32 v0, v0, 23, v14
	v_and_or_b32 v0, v40, s96, v0
	v_lshl_or_b32 v0, v13, 21, v0
                                        ; implicit-def: $vgpr13
.LBB2_4886:                             ;   in Loop: Header=BB2_4719 Depth=3
	s_andn2_saveexec_b64 s[72:73], s[72:73]
; %bb.4887:                             ;   in Loop: Header=BB2_4719 Depth=3
	v_cmp_lt_i32_e32 vcc, -1, v40
	v_mov_b32_e32 v0, 0xc7600000
	v_mov_b32_e32 v14, 0x47600000
	v_cndmask_b32_e32 v0, v0, v14, vcc
	v_cmp_eq_u32_e32 vcc, 0, v13
	v_mov_b32_e32 v13, 0x7f800001
	v_cndmask_b32_e32 v0, v13, v0, vcc
; %bb.4888:                             ;   in Loop: Header=BB2_4719 Depth=3
	s_or_b64 exec, exec, s[72:73]
.LBB2_4889:                             ;   in Loop: Header=BB2_4719 Depth=3
	s_or_b64 exec, exec, s[30:31]
.LBB2_4890:                             ;   in Loop: Header=BB2_4719 Depth=3
	s_or_b64 exec, exec, s[34:35]
	v_cmp_lt_u32_e32 vcc, s43, v8
	s_and_saveexec_b64 s[30:31], vcc
	s_cbranch_execz .LBB2_4898
; %bb.4891:                             ;   in Loop: Header=BB2_4719 Depth=3
	v_cmp_ne_u32_e32 vcc, s97, v12
	v_bfrev_b32_e32 v7, 1
	s_and_saveexec_b64 s[34:35], vcc
	s_cbranch_execz .LBB2_4897
; %bb.4892:                             ;   in Loop: Header=BB2_4719 Depth=3
	v_and_b32_e32 v7, 0x7c000000, v8
	v_bfe_u32 v13, v8, 24, 2
	v_cmp_ne_u32_e32 vcc, s37, v7
                                        ; implicit-def: $vgpr7
	s_and_saveexec_b64 s[72:73], vcc
	s_xor_b64 s[72:73], exec, s[72:73]
	s_cbranch_execz .LBB2_4894
; %bb.4893:                             ;   in Loop: Header=BB2_4719 Depth=3
	v_ffbh_u32_e32 v14, v13
	v_min_u32_e32 v24, 32, v14
	v_subrev_u32_e32 v14, 29, v24
	v_bfe_u32 v7, v8, 26, 5
	v_lshlrev_b64 v[14:15], v14, v[12:13]
	v_sub_u32_e32 v12, 30, v24
	v_and_b32_e32 v14, 3, v14
	v_cmp_eq_u32_e32 vcc, 0, v7
	v_cndmask_b32_e32 v7, v7, v12, vcc
	v_cndmask_b32_e32 v12, v13, v14, vcc
	v_bfrev_b32_e32 v13, 28
	v_lshl_add_u32 v7, v7, 23, v13
	v_and_or_b32 v7, v8, s96, v7
	v_lshl_or_b32 v7, v12, 21, v7
                                        ; implicit-def: $vgpr13
.LBB2_4894:                             ;   in Loop: Header=BB2_4719 Depth=3
	s_andn2_saveexec_b64 s[72:73], s[72:73]
; %bb.4895:                             ;   in Loop: Header=BB2_4719 Depth=3
	v_cmp_lt_i32_e32 vcc, -1, v8
	v_mov_b32_e32 v7, 0xc7600000
	v_mov_b32_e32 v12, 0x47600000
	v_cndmask_b32_e32 v7, v7, v12, vcc
	v_cmp_eq_u32_e32 vcc, 0, v13
	v_mov_b32_e32 v12, 0x7f800001
	v_cndmask_b32_e32 v7, v12, v7, vcc
; %bb.4896:                             ;   in Loop: Header=BB2_4719 Depth=3
	s_or_b64 exec, exec, s[72:73]
.LBB2_4897:                             ;   in Loop: Header=BB2_4719 Depth=3
	s_or_b64 exec, exec, s[34:35]
.LBB2_4898:                             ;   in Loop: Header=BB2_4719 Depth=3
	s_or_b64 exec, exec, s[30:31]
	v_max_f32_e32 v7, v7, v7
	v_max_f32_e32 v0, v0, v0
	v_min_f32_e32 v7, v0, v7
.LBB2_4899:                             ;   in Loop: Header=BB2_4719 Depth=3
	v_and_b32_sdwa v0, v7, s97 dst_sel:DWORD dst_unused:UNUSED_PAD src0_sel:BYTE_3 src1_sel:DWORD
	v_and_b32_e32 v12, 0x7f800000, v7
	v_mov_b32_e32 v13, v51
	v_and_b32_e32 v50, 0x7fffff, v7
	v_or_b32_e32 v37, 0x7b, v0
	v_cmp_ne_u64_e32 vcc, s[52:53], v[12:13]
	s_and_saveexec_b64 s[30:31], vcc
	s_xor_b64 s[34:35], exec, s[30:31]
	s_cbranch_execz .LBB2_4909
; %bb.4900:                             ;   in Loop: Header=BB2_4719 Depth=3
	v_and_b32_e32 v12, 0x7fffffff, v7
	v_mov_b32_e32 v13, v51
	v_cmp_gt_u64_e32 vcc, s[54:55], v[12:13]
	s_and_saveexec_b64 s[72:73], vcc
	s_cbranch_execz .LBB2_4908
; %bb.4901:                             ;   in Loop: Header=BB2_4719 Depth=3
	v_cmp_ne_u32_e32 vcc, 0, v7
	v_mov_b32_e32 v37, 0
	s_and_saveexec_b64 s[74:75], vcc
	s_cbranch_execz .LBB2_4907
; %bb.4902:                             ;   in Loop: Header=BB2_4719 Depth=3
	v_bfe_u32 v7, v7, 23, 8
	v_sub_u32_e32 v13, 0x71, v7
	v_cmp_gt_u32_e32 vcc, s38, v7
	v_add_u32_e32 v12, 0xffffff81, v7
	v_cndmask_b32_e32 v13, 0, v13, vcc
	v_cmp_eq_u32_e32 vcc, 0, v7
	v_mov_b32_e32 v7, 0xffffff82
	v_cndmask_b32_e32 v7, v12, v7, vcc
	v_mov_b32_e32 v12, 0x70
	v_or_b32_e32 v14, 0x800000, v50
	v_cndmask_b32_e32 v15, v13, v12, vcc
	v_cndmask_b32_e32 v50, v14, v50, vcc
	v_add_u32_e32 v12, 21, v15
	v_lshlrev_b64 v[12:13], v12, -1
	v_add_u32_e32 v14, 20, v15
	v_lshrrev_b64 v[26:27], v15, v[50:51]
	v_not_b32_e32 v13, v13
	v_not_b32_e32 v12, v12
	v_lshlrev_b64 v[24:25], v14, 1
	v_lshrrev_b32_e32 v14, 23, v26
	v_and_b32_e32 v13, 0, v13
	v_and_b32_e32 v12, v50, v12
	v_add3_u32 v15, v15, v7, v14
	v_bfe_u32 v7, v26, 21, 1
	v_add_u32_e32 v7, -1, v7
	v_cmp_eq_u64_e32 vcc, v[12:13], v[24:25]
	v_cndmask_b32_e32 v7, 0, v7, vcc
	v_add_u32_e32 v7, v7, v26
	v_and_b32_e32 v7, 0x1fffff, v7
	v_add_co_u32_e32 v12, vcc, v7, v26
	v_add_u32_e32 v14, 14, v15
	v_addc_co_u32_e32 v13, vcc, 0, v27, vcc
	v_cmp_ne_u32_e32 vcc, 0, v14
                                        ; implicit-def: $vgpr7
	s_and_saveexec_b64 s[30:31], vcc
	s_xor_b64 s[30:31], exec, s[30:31]
; %bb.4903:                             ;   in Loop: Header=BB2_4719 Depth=3
	v_add_u32_e32 v7, 15, v15
	v_cmp_lt_u64_e32 vcc, s[56:57], v[12:13]
	v_cndmask_b32_e32 v7, v14, v7, vcc
	v_cndmask_b32_e64 v14, 0, 1, vcc
	v_lshrrev_b64 v[12:13], v14, v[12:13]
; %bb.4904:                             ;   in Loop: Header=BB2_4719 Depth=3
	s_andn2_saveexec_b64 vcc, s[30:31]
; %bb.4905:                             ;   in Loop: Header=BB2_4719 Depth=3
	v_bfe_u32 v7, v12, 23, 1
; %bb.4906:                             ;   in Loop: Header=BB2_4719 Depth=3
	s_or_b64 exec, exec, vcc
	v_lshrrev_b64 v[12:13], 21, v[12:13]
	v_cmp_gt_i32_e32 vcc, 32, v7
	v_cndmask_b32_e32 v13, 0, v13, vcc
	v_cndmask_b32_e32 v12, 3, v12, vcc
	v_cmp_eq_u32_e32 vcc, 0, v7
	v_min_i32_e32 v7, 31, v7
	v_cmp_eq_u64_e64 s[30:31], 0, v[12:13]
	v_lshlrev_b32_e32 v7, 2, v7
	v_and_or_b32 v7, v12, 3, v7
	s_and_b64 vcc, vcc, s[30:31]
	v_cndmask_b32_e64 v7, v7, 0, vcc
	v_or_b32_e32 v37, v7, v0
.LBB2_4907:                             ;   in Loop: Header=BB2_4719 Depth=3
	s_or_b64 exec, exec, s[74:75]
.LBB2_4908:                             ;   in Loop: Header=BB2_4719 Depth=3
	s_or_b64 exec, exec, s[72:73]
                                        ; implicit-def: $vgpr7
.LBB2_4909:                             ;   in Loop: Header=BB2_4719 Depth=3
	s_andn2_saveexec_b64 s[30:31], s[34:35]
; %bb.4910:                             ;   in Loop: Header=BB2_4719 Depth=3
	v_or_b32_sdwa v0, v7, s39 dst_sel:DWORD dst_unused:UNUSED_PAD src0_sel:BYTE_3 src1_sel:DWORD
	v_cmp_eq_u64_e32 vcc, 0, v[50:51]
	v_cndmask_b32_e32 v37, v0, v37, vcc
; %bb.4911:                             ;   in Loop: Header=BB2_4719 Depth=3
	s_or_b64 exec, exec, s[30:31]
	v_mov_b32_e32 v50, v41
	v_mov_b32_e32 v12, v9
	;; [unrolled: 1-line block ×3, first 2 shown]
	v_cmp_ne_u16_sdwa s[30:31], v41, v51 src0_sel:BYTE_0 src1_sel:DWORD
	s_and_b64 vcc, exec, s[70:71]
	s_cbranch_vccz .LBB2_4929
; %bb.4912:                             ;   in Loop: Header=BB2_4719 Depth=3
	v_mov_b32_e32 v7, 0
	v_mov_b32_e32 v0, 0
	s_and_saveexec_b64 s[34:35], s[30:31]
	s_cbranch_execz .LBB2_4920
; %bb.4913:                             ;   in Loop: Header=BB2_4719 Depth=3
	v_cmp_ne_u16_sdwa vcc, v41, s97 src0_sel:BYTE_0 src1_sel:DWORD
	v_bfrev_b32_e32 v0, 1
	s_and_saveexec_b64 s[72:73], vcc
	s_cbranch_execz .LBB2_4919
; %bb.4914:                             ;   in Loop: Header=BB2_4719 Depth=3
	v_and_b32_e32 v0, 0x7c, v41
	v_and_b32_e32 v14, 3, v41
	v_cmp_ne_u32_e32 vcc, s95, v0
                                        ; implicit-def: $vgpr0
	s_and_saveexec_b64 s[74:75], vcc
	s_xor_b64 s[74:75], exec, s[74:75]
	s_cbranch_execz .LBB2_4916
; %bb.4915:                             ;   in Loop: Header=BB2_4719 Depth=3
	v_ffbh_u32_e32 v15, v14
	v_min_u32_e32 v15, 32, v15
	v_subrev_u32_e32 v24, 29, v15
	v_bfe_u32 v0, v41, 2, 5
	v_lshlrev_b64 v[24:25], v24, v[50:51]
	v_sub_u32_e32 v15, 30, v15
	v_and_b32_e32 v24, 3, v24
	v_cmp_eq_u32_e32 vcc, 0, v0
	v_cndmask_b32_e32 v0, v0, v15, vcc
	v_cndmask_b32_e32 v14, v14, v24, vcc
	v_bfrev_b32_e32 v24, 28
	v_lshlrev_b32_e32 v15, 24, v41
	v_lshl_add_u32 v0, v0, 23, v24
	v_and_or_b32 v0, v15, s96, v0
	v_lshl_or_b32 v0, v14, 21, v0
                                        ; implicit-def: $vgpr14
.LBB2_4916:                             ;   in Loop: Header=BB2_4719 Depth=3
	s_andn2_saveexec_b64 s[74:75], s[74:75]
; %bb.4917:                             ;   in Loop: Header=BB2_4719 Depth=3
	v_mov_b32_e32 v0, -1
	v_cmp_gt_i16_sdwa vcc, sext(v41), v0 src0_sel:BYTE_0 src1_sel:DWORD
	v_mov_b32_e32 v0, 0xc7600000
	v_mov_b32_e32 v15, 0x47600000
	v_cndmask_b32_e32 v0, v0, v15, vcc
	v_cmp_eq_u32_e32 vcc, 0, v14
	v_mov_b32_e32 v14, 0x7f800001
	v_cndmask_b32_e32 v0, v14, v0, vcc
; %bb.4918:                             ;   in Loop: Header=BB2_4719 Depth=3
	s_or_b64 exec, exec, s[74:75]
.LBB2_4919:                             ;   in Loop: Header=BB2_4719 Depth=3
	s_or_b64 exec, exec, s[72:73]
.LBB2_4920:                             ;   in Loop: Header=BB2_4719 Depth=3
	s_or_b64 exec, exec, s[34:35]
	v_cmp_ne_u16_sdwa vcc, v9, v51 src0_sel:BYTE_0 src1_sel:DWORD
	s_and_saveexec_b64 s[34:35], vcc
	s_cbranch_execz .LBB2_4928
; %bb.4921:                             ;   in Loop: Header=BB2_4719 Depth=3
	v_cmp_ne_u16_sdwa vcc, v9, s97 src0_sel:BYTE_0 src1_sel:DWORD
	v_bfrev_b32_e32 v7, 1
	s_and_saveexec_b64 s[72:73], vcc
	s_cbranch_execz .LBB2_4927
; %bb.4922:                             ;   in Loop: Header=BB2_4719 Depth=3
	v_and_b32_e32 v7, 0x7c, v9
	v_and_b32_e32 v14, 3, v9
	v_cmp_ne_u32_e32 vcc, s95, v7
                                        ; implicit-def: $vgpr7
	s_and_saveexec_b64 s[74:75], vcc
	s_xor_b64 s[74:75], exec, s[74:75]
	s_cbranch_execz .LBB2_4924
; %bb.4923:                             ;   in Loop: Header=BB2_4719 Depth=3
	v_ffbh_u32_e32 v15, v14
	v_min_u32_e32 v15, 32, v15
	v_subrev_u32_e32 v24, 29, v15
	v_bfe_u32 v7, v9, 2, 5
	v_lshlrev_b64 v[24:25], v24, v[12:13]
	v_sub_u32_e32 v15, 30, v15
	v_and_b32_e32 v24, 3, v24
	v_cmp_eq_u32_e32 vcc, 0, v7
	v_cndmask_b32_e32 v7, v7, v15, vcc
	v_cndmask_b32_e32 v14, v14, v24, vcc
	v_bfrev_b32_e32 v24, 28
	v_lshlrev_b32_e32 v15, 24, v9
	v_lshl_add_u32 v7, v7, 23, v24
	v_and_or_b32 v7, v15, s96, v7
	v_lshl_or_b32 v7, v14, 21, v7
                                        ; implicit-def: $vgpr14
.LBB2_4924:                             ;   in Loop: Header=BB2_4719 Depth=3
	s_andn2_saveexec_b64 s[74:75], s[74:75]
; %bb.4925:                             ;   in Loop: Header=BB2_4719 Depth=3
	v_mov_b32_e32 v7, -1
	v_cmp_gt_i16_sdwa vcc, sext(v9), v7 src0_sel:BYTE_0 src1_sel:DWORD
	v_mov_b32_e32 v7, 0xc7600000
	v_mov_b32_e32 v15, 0x47600000
	v_cndmask_b32_e32 v7, v7, v15, vcc
	v_cmp_eq_u32_e32 vcc, 0, v14
	v_mov_b32_e32 v14, 0x7f800001
	v_cndmask_b32_e32 v7, v14, v7, vcc
; %bb.4926:                             ;   in Loop: Header=BB2_4719 Depth=3
	s_or_b64 exec, exec, s[74:75]
.LBB2_4927:                             ;   in Loop: Header=BB2_4719 Depth=3
	s_or_b64 exec, exec, s[72:73]
.LBB2_4928:                             ;   in Loop: Header=BB2_4719 Depth=3
	s_or_b64 exec, exec, s[34:35]
	v_max_f32_e32 v7, v7, v7
	v_max_f32_e32 v0, v0, v0
	;; [unrolled: 1-line block ×3, first 2 shown]
	s_branch .LBB2_4947
.LBB2_4929:                             ;   in Loop: Header=BB2_4719 Depth=3
                                        ; implicit-def: $vgpr7
	s_cbranch_execz .LBB2_4947
; %bb.4930:                             ;   in Loop: Header=BB2_4719 Depth=3
	v_mov_b32_e32 v7, 0
	v_mov_b32_e32 v0, 0
	s_and_saveexec_b64 s[34:35], s[30:31]
	s_cbranch_execz .LBB2_4938
; %bb.4931:                             ;   in Loop: Header=BB2_4719 Depth=3
	v_cmp_ne_u16_sdwa vcc, v41, s97 src0_sel:BYTE_0 src1_sel:DWORD
	v_bfrev_b32_e32 v0, 1
	s_and_saveexec_b64 s[30:31], vcc
	s_cbranch_execz .LBB2_4937
; %bb.4932:                             ;   in Loop: Header=BB2_4719 Depth=3
	v_and_b32_e32 v0, 0x7c, v41
	v_and_b32_e32 v14, 3, v41
	v_cmp_ne_u32_e32 vcc, s95, v0
                                        ; implicit-def: $vgpr0
	s_and_saveexec_b64 s[72:73], vcc
	s_xor_b64 s[72:73], exec, s[72:73]
	s_cbranch_execz .LBB2_4934
; %bb.4933:                             ;   in Loop: Header=BB2_4719 Depth=3
	v_ffbh_u32_e32 v15, v14
	v_min_u32_e32 v15, 32, v15
	v_subrev_u32_e32 v24, 29, v15
	v_bfe_u32 v0, v41, 2, 5
	v_lshlrev_b64 v[24:25], v24, v[50:51]
	v_sub_u32_e32 v15, 30, v15
	v_and_b32_e32 v24, 3, v24
	v_cmp_eq_u32_e32 vcc, 0, v0
	v_cndmask_b32_e32 v0, v0, v15, vcc
	v_cndmask_b32_e32 v14, v14, v24, vcc
	v_bfrev_b32_e32 v24, 28
	v_lshlrev_b32_e32 v15, 24, v41
	v_lshl_add_u32 v0, v0, 23, v24
	v_and_or_b32 v0, v15, s96, v0
	v_lshl_or_b32 v0, v14, 21, v0
                                        ; implicit-def: $vgpr14
.LBB2_4934:                             ;   in Loop: Header=BB2_4719 Depth=3
	s_andn2_saveexec_b64 s[72:73], s[72:73]
; %bb.4935:                             ;   in Loop: Header=BB2_4719 Depth=3
	v_mov_b32_e32 v0, -1
	v_cmp_gt_i16_sdwa vcc, sext(v41), v0 src0_sel:BYTE_0 src1_sel:DWORD
	v_mov_b32_e32 v0, 0xc7600000
	v_mov_b32_e32 v15, 0x47600000
	v_cndmask_b32_e32 v0, v0, v15, vcc
	v_cmp_eq_u32_e32 vcc, 0, v14
	v_mov_b32_e32 v14, 0x7f800001
	v_cndmask_b32_e32 v0, v14, v0, vcc
; %bb.4936:                             ;   in Loop: Header=BB2_4719 Depth=3
	s_or_b64 exec, exec, s[72:73]
.LBB2_4937:                             ;   in Loop: Header=BB2_4719 Depth=3
	s_or_b64 exec, exec, s[30:31]
.LBB2_4938:                             ;   in Loop: Header=BB2_4719 Depth=3
	s_or_b64 exec, exec, s[34:35]
	v_cmp_ne_u16_sdwa vcc, v9, v51 src0_sel:BYTE_0 src1_sel:DWORD
	s_and_saveexec_b64 s[30:31], vcc
	s_cbranch_execz .LBB2_4946
; %bb.4939:                             ;   in Loop: Header=BB2_4719 Depth=3
	v_cmp_ne_u16_sdwa vcc, v9, s97 src0_sel:BYTE_0 src1_sel:DWORD
	v_bfrev_b32_e32 v7, 1
	s_and_saveexec_b64 s[34:35], vcc
	s_cbranch_execz .LBB2_4945
; %bb.4940:                             ;   in Loop: Header=BB2_4719 Depth=3
	v_and_b32_e32 v7, 0x7c, v9
	v_and_b32_e32 v14, 3, v9
	v_cmp_ne_u32_e32 vcc, s95, v7
                                        ; implicit-def: $vgpr7
	s_and_saveexec_b64 s[72:73], vcc
	s_xor_b64 s[72:73], exec, s[72:73]
	s_cbranch_execz .LBB2_4942
; %bb.4941:                             ;   in Loop: Header=BB2_4719 Depth=3
	v_ffbh_u32_e32 v15, v14
	v_min_u32_e32 v15, 32, v15
	v_subrev_u32_e32 v24, 29, v15
	v_bfe_u32 v7, v9, 2, 5
	v_lshlrev_b64 v[24:25], v24, v[12:13]
	v_sub_u32_e32 v13, 30, v15
	v_and_b32_e32 v15, 3, v24
	v_cmp_eq_u32_e32 vcc, 0, v7
	v_cndmask_b32_e32 v7, v7, v13, vcc
	v_cndmask_b32_e32 v13, v14, v15, vcc
	v_bfrev_b32_e32 v15, 28
	v_lshlrev_b32_e32 v14, 24, v9
	v_lshl_add_u32 v7, v7, 23, v15
	v_and_or_b32 v7, v14, s96, v7
	v_lshl_or_b32 v7, v13, 21, v7
                                        ; implicit-def: $vgpr14
.LBB2_4942:                             ;   in Loop: Header=BB2_4719 Depth=3
	s_andn2_saveexec_b64 s[72:73], s[72:73]
; %bb.4943:                             ;   in Loop: Header=BB2_4719 Depth=3
	v_mov_b32_e32 v7, -1
	v_cmp_gt_i16_sdwa vcc, sext(v9), v7 src0_sel:BYTE_0 src1_sel:DWORD
	v_mov_b32_e32 v7, 0xc7600000
	v_mov_b32_e32 v13, 0x47600000
	v_cndmask_b32_e32 v7, v7, v13, vcc
	v_cmp_eq_u32_e32 vcc, 0, v14
	v_mov_b32_e32 v13, 0x7f800001
	v_cndmask_b32_e32 v7, v13, v7, vcc
; %bb.4944:                             ;   in Loop: Header=BB2_4719 Depth=3
	s_or_b64 exec, exec, s[72:73]
.LBB2_4945:                             ;   in Loop: Header=BB2_4719 Depth=3
	s_or_b64 exec, exec, s[34:35]
.LBB2_4946:                             ;   in Loop: Header=BB2_4719 Depth=3
	s_or_b64 exec, exec, s[30:31]
	v_max_f32_e32 v7, v7, v7
	v_max_f32_e32 v0, v0, v0
	v_min_f32_e32 v7, v0, v7
.LBB2_4947:                             ;   in Loop: Header=BB2_4719 Depth=3
	v_and_b32_sdwa v0, v7, s97 dst_sel:DWORD dst_unused:UNUSED_PAD src0_sel:BYTE_3 src1_sel:DWORD
	v_and_b32_e32 v24, 0x7f800000, v7
	v_mov_b32_e32 v25, v51
	v_and_b32_e32 v14, 0x7fffff, v7
	v_mov_b32_e32 v15, v51
	v_or_b32_e32 v38, 0x7b, v0
	v_cmp_ne_u64_e32 vcc, s[52:53], v[24:25]
	s_and_saveexec_b64 s[30:31], vcc
	s_xor_b64 s[34:35], exec, s[30:31]
	s_cbranch_execz .LBB2_4957
; %bb.4948:                             ;   in Loop: Header=BB2_4719 Depth=3
	v_and_b32_e32 v24, 0x7fffffff, v7
	v_mov_b32_e32 v25, v51
	v_cmp_gt_u64_e32 vcc, s[54:55], v[24:25]
	s_and_saveexec_b64 s[72:73], vcc
	s_cbranch_execz .LBB2_4956
; %bb.4949:                             ;   in Loop: Header=BB2_4719 Depth=3
	v_cmp_ne_u32_e32 vcc, 0, v7
	v_mov_b32_e32 v38, 0
	s_and_saveexec_b64 s[74:75], vcc
	s_cbranch_execz .LBB2_4955
; %bb.4950:                             ;   in Loop: Header=BB2_4719 Depth=3
	v_bfe_u32 v7, v7, 23, 8
	v_sub_u32_e32 v24, 0x71, v7
	v_cmp_gt_u32_e32 vcc, s38, v7
	v_add_u32_e32 v13, 0xffffff81, v7
	v_cndmask_b32_e32 v24, 0, v24, vcc
	v_cmp_eq_u32_e32 vcc, 0, v7
	v_mov_b32_e32 v7, 0xffffff82
	v_cndmask_b32_e32 v7, v13, v7, vcc
	v_mov_b32_e32 v13, 0x70
	v_cndmask_b32_e32 v13, v24, v13, vcc
	v_or_b32_e32 v25, 0x800000, v14
	v_add_u32_e32 v24, 21, v13
	v_cndmask_b32_e32 v14, v25, v14, vcc
	v_lshlrev_b64 v[24:25], v24, -1
	v_not_b32_e32 v24, v24
	v_and_b32_e32 v24, v14, v24
	v_add_u32_e32 v26, 20, v13
	v_lshrrev_b64 v[14:15], v13, v[14:15]
	v_not_b32_e32 v25, v25
	v_lshlrev_b64 v[30:31], v26, 1
	v_lshrrev_b32_e32 v26, 23, v14
	v_and_b32_e32 v25, 0, v25
	v_add3_u32 v26, v13, v7, v26
	v_bfe_u32 v7, v14, 21, 1
	v_add_u32_e32 v7, -1, v7
	v_cmp_eq_u64_e32 vcc, v[24:25], v[30:31]
	v_cndmask_b32_e32 v7, 0, v7, vcc
	v_add_u32_e32 v7, v7, v14
	v_and_b32_e32 v7, 0x1fffff, v7
	v_add_co_u32_e32 v14, vcc, v7, v14
	v_add_u32_e32 v13, 14, v26
	v_addc_co_u32_e32 v15, vcc, 0, v15, vcc
	v_cmp_ne_u32_e32 vcc, 0, v13
                                        ; implicit-def: $vgpr7
	s_and_saveexec_b64 s[30:31], vcc
	s_xor_b64 s[30:31], exec, s[30:31]
; %bb.4951:                             ;   in Loop: Header=BB2_4719 Depth=3
	v_add_u32_e32 v7, 15, v26
	v_cmp_lt_u64_e32 vcc, s[56:57], v[14:15]
	v_cndmask_b32_e32 v7, v13, v7, vcc
	v_cndmask_b32_e64 v13, 0, 1, vcc
	v_lshrrev_b64 v[14:15], v13, v[14:15]
; %bb.4952:                             ;   in Loop: Header=BB2_4719 Depth=3
	s_andn2_saveexec_b64 vcc, s[30:31]
; %bb.4953:                             ;   in Loop: Header=BB2_4719 Depth=3
	v_bfe_u32 v7, v14, 23, 1
; %bb.4954:                             ;   in Loop: Header=BB2_4719 Depth=3
	s_or_b64 exec, exec, vcc
	v_lshrrev_b64 v[14:15], 21, v[14:15]
	v_cmp_gt_i32_e32 vcc, 32, v7
	v_cndmask_b32_e32 v15, 0, v15, vcc
	v_cndmask_b32_e32 v14, 3, v14, vcc
	v_cmp_eq_u32_e32 vcc, 0, v7
	v_min_i32_e32 v7, 31, v7
	v_cmp_eq_u64_e64 s[30:31], 0, v[14:15]
	v_lshlrev_b32_e32 v7, 2, v7
	v_and_or_b32 v7, v14, 3, v7
	s_and_b64 vcc, vcc, s[30:31]
	v_cndmask_b32_e64 v7, v7, 0, vcc
	v_or_b32_e32 v38, v7, v0
.LBB2_4955:                             ;   in Loop: Header=BB2_4719 Depth=3
	s_or_b64 exec, exec, s[74:75]
.LBB2_4956:                             ;   in Loop: Header=BB2_4719 Depth=3
	s_or_b64 exec, exec, s[72:73]
                                        ; implicit-def: $vgpr7
                                        ; implicit-def: $vgpr14_vgpr15
.LBB2_4957:                             ;   in Loop: Header=BB2_4719 Depth=3
	s_andn2_saveexec_b64 s[30:31], s[34:35]
; %bb.4958:                             ;   in Loop: Header=BB2_4719 Depth=3
	v_or_b32_sdwa v0, v7, s39 dst_sel:DWORD dst_unused:UNUSED_PAD src0_sel:BYTE_3 src1_sel:DWORD
	v_cmp_eq_u64_e32 vcc, 0, v[14:15]
	v_cndmask_b32_e32 v38, v0, v38, vcc
; %bb.4959:                             ;   in Loop: Header=BB2_4719 Depth=3
	s_or_b64 exec, exec, s[30:31]
	v_lshrrev_b16_e32 v14, 8, v50
	v_lshrrev_b16_e32 v26, 8, v12
	v_cmp_ne_u16_e64 s[30:31], 0, v14
	s_and_b64 vcc, exec, s[70:71]
	s_cbranch_vccz .LBB2_4977
; %bb.4960:                             ;   in Loop: Header=BB2_4719 Depth=3
	v_mov_b32_e32 v7, 0
	v_mov_b32_e32 v0, 0
	s_and_saveexec_b64 s[34:35], s[30:31]
	s_cbranch_execz .LBB2_4968
; %bb.4961:                             ;   in Loop: Header=BB2_4719 Depth=3
	v_cmp_ne_u16_e32 vcc, s97, v14
	v_bfrev_b32_e32 v0, 1
	s_and_saveexec_b64 s[72:73], vcc
	s_cbranch_execz .LBB2_4967
; %bb.4962:                             ;   in Loop: Header=BB2_4719 Depth=3
	v_and_b32_e32 v0, 0x7c, v14
	v_and_b32_e32 v13, 3, v14
	v_cmp_ne_u32_e32 vcc, s95, v0
                                        ; implicit-def: $vgpr0
	s_and_saveexec_b64 s[74:75], vcc
	s_xor_b64 s[74:75], exec, s[74:75]
	s_cbranch_execz .LBB2_4964
; %bb.4963:                             ;   in Loop: Header=BB2_4719 Depth=3
	v_ffbh_u32_e32 v24, v13
	v_min_u32_e32 v27, 32, v24
	v_mov_b32_e32 v15, v51
	v_subrev_u32_e32 v24, 29, v27
	v_bfe_u32 v0, v14, 2, 5
	v_lshlrev_b64 v[24:25], v24, v[14:15]
	v_sub_u32_e32 v15, 30, v27
	v_and_b32_e32 v24, 3, v24
	v_cmp_eq_u32_e32 vcc, 0, v0
	v_cndmask_b32_e32 v0, v0, v15, vcc
	v_cndmask_b32_e32 v13, v13, v24, vcc
	v_bfrev_b32_e32 v24, 28
	v_lshlrev_b32_e32 v15, 16, v50
	v_lshl_add_u32 v0, v0, 23, v24
	v_and_or_b32 v0, v15, s96, v0
	v_lshl_or_b32 v0, v13, 21, v0
                                        ; implicit-def: $vgpr13
.LBB2_4964:                             ;   in Loop: Header=BB2_4719 Depth=3
	s_andn2_saveexec_b64 s[74:75], s[74:75]
; %bb.4965:                             ;   in Loop: Header=BB2_4719 Depth=3
	v_cmp_lt_i16_e32 vcc, -1, v50
	v_mov_b32_e32 v0, 0xc7600000
	v_mov_b32_e32 v15, 0x47600000
	v_cndmask_b32_e32 v0, v0, v15, vcc
	v_cmp_eq_u32_e32 vcc, 0, v13
	v_mov_b32_e32 v13, 0x7f800001
	v_cndmask_b32_e32 v0, v13, v0, vcc
; %bb.4966:                             ;   in Loop: Header=BB2_4719 Depth=3
	s_or_b64 exec, exec, s[74:75]
.LBB2_4967:                             ;   in Loop: Header=BB2_4719 Depth=3
	s_or_b64 exec, exec, s[72:73]
.LBB2_4968:                             ;   in Loop: Header=BB2_4719 Depth=3
	s_or_b64 exec, exec, s[34:35]
	v_cmp_ne_u16_e32 vcc, 0, v26
	s_and_saveexec_b64 s[34:35], vcc
	s_cbranch_execz .LBB2_4976
; %bb.4969:                             ;   in Loop: Header=BB2_4719 Depth=3
	v_cmp_ne_u16_e32 vcc, s97, v26
	v_bfrev_b32_e32 v7, 1
	s_and_saveexec_b64 s[72:73], vcc
	s_cbranch_execz .LBB2_4975
; %bb.4970:                             ;   in Loop: Header=BB2_4719 Depth=3
	v_and_b32_e32 v7, 0x7c, v26
	v_and_b32_e32 v13, 3, v26
	v_cmp_ne_u32_e32 vcc, s95, v7
                                        ; implicit-def: $vgpr7
	s_and_saveexec_b64 s[74:75], vcc
	s_xor_b64 s[74:75], exec, s[74:75]
	s_cbranch_execz .LBB2_4972
; %bb.4971:                             ;   in Loop: Header=BB2_4719 Depth=3
	v_ffbh_u32_e32 v15, v13
	v_min_u32_e32 v15, 32, v15
	v_mov_b32_e32 v27, v51
	v_subrev_u32_e32 v24, 29, v15
	v_bfe_u32 v7, v26, 2, 5
	v_lshlrev_b64 v[24:25], v24, v[26:27]
	v_sub_u32_e32 v15, 30, v15
	v_and_b32_e32 v24, 3, v24
	v_cmp_eq_u32_e32 vcc, 0, v7
	v_cndmask_b32_e32 v7, v7, v15, vcc
	v_cndmask_b32_e32 v13, v13, v24, vcc
	v_bfrev_b32_e32 v24, 28
	v_lshlrev_b32_e32 v15, 16, v12
	v_lshl_add_u32 v7, v7, 23, v24
	v_and_or_b32 v7, v15, s96, v7
	v_lshl_or_b32 v7, v13, 21, v7
                                        ; implicit-def: $vgpr13
.LBB2_4972:                             ;   in Loop: Header=BB2_4719 Depth=3
	s_andn2_saveexec_b64 s[74:75], s[74:75]
; %bb.4973:                             ;   in Loop: Header=BB2_4719 Depth=3
	v_cmp_lt_i16_e32 vcc, -1, v12
	v_mov_b32_e32 v7, 0xc7600000
	v_mov_b32_e32 v15, 0x47600000
	v_cndmask_b32_e32 v7, v7, v15, vcc
	v_cmp_eq_u32_e32 vcc, 0, v13
	v_mov_b32_e32 v13, 0x7f800001
	v_cndmask_b32_e32 v7, v13, v7, vcc
; %bb.4974:                             ;   in Loop: Header=BB2_4719 Depth=3
	s_or_b64 exec, exec, s[74:75]
.LBB2_4975:                             ;   in Loop: Header=BB2_4719 Depth=3
	s_or_b64 exec, exec, s[72:73]
.LBB2_4976:                             ;   in Loop: Header=BB2_4719 Depth=3
	s_or_b64 exec, exec, s[34:35]
	v_max_f32_e32 v7, v7, v7
	v_max_f32_e32 v0, v0, v0
	;; [unrolled: 1-line block ×3, first 2 shown]
	s_branch .LBB2_4995
.LBB2_4977:                             ;   in Loop: Header=BB2_4719 Depth=3
                                        ; implicit-def: $vgpr7
	s_cbranch_execz .LBB2_4995
; %bb.4978:                             ;   in Loop: Header=BB2_4719 Depth=3
	v_mov_b32_e32 v7, 0
	v_mov_b32_e32 v0, 0
	s_and_saveexec_b64 s[34:35], s[30:31]
	s_cbranch_execz .LBB2_4986
; %bb.4979:                             ;   in Loop: Header=BB2_4719 Depth=3
	v_cmp_ne_u16_e32 vcc, s97, v14
	v_bfrev_b32_e32 v0, 1
	s_and_saveexec_b64 s[30:31], vcc
	s_cbranch_execz .LBB2_4985
; %bb.4980:                             ;   in Loop: Header=BB2_4719 Depth=3
	v_and_b32_e32 v0, 0x7c, v14
	v_and_b32_e32 v13, 3, v14
	v_cmp_ne_u32_e32 vcc, s95, v0
                                        ; implicit-def: $vgpr0
	s_and_saveexec_b64 s[72:73], vcc
	s_xor_b64 s[72:73], exec, s[72:73]
	s_cbranch_execz .LBB2_4982
; %bb.4981:                             ;   in Loop: Header=BB2_4719 Depth=3
	v_ffbh_u32_e32 v24, v13
	v_min_u32_e32 v24, 32, v24
	v_mov_b32_e32 v15, v51
	v_subrev_u32_e32 v25, 29, v24
	v_bfe_u32 v0, v14, 2, 5
	v_lshlrev_b64 v[14:15], v25, v[14:15]
	v_sub_u32_e32 v15, 30, v24
	v_cmp_eq_u32_e32 vcc, 0, v0
	v_and_b32_e32 v14, 3, v14
	v_cndmask_b32_e32 v0, v0, v15, vcc
	v_bfrev_b32_e32 v15, 28
	v_cndmask_b32_e32 v13, v13, v14, vcc
	v_lshlrev_b32_e32 v14, 16, v50
	v_lshl_add_u32 v0, v0, 23, v15
	v_and_or_b32 v0, v14, s96, v0
	v_lshl_or_b32 v0, v13, 21, v0
                                        ; implicit-def: $vgpr13
.LBB2_4982:                             ;   in Loop: Header=BB2_4719 Depth=3
	s_andn2_saveexec_b64 s[72:73], s[72:73]
; %bb.4983:                             ;   in Loop: Header=BB2_4719 Depth=3
	v_cmp_lt_i16_e32 vcc, -1, v50
	v_mov_b32_e32 v0, 0xc7600000
	v_mov_b32_e32 v14, 0x47600000
	v_cndmask_b32_e32 v0, v0, v14, vcc
	v_cmp_eq_u32_e32 vcc, 0, v13
	v_mov_b32_e32 v13, 0x7f800001
	v_cndmask_b32_e32 v0, v13, v0, vcc
; %bb.4984:                             ;   in Loop: Header=BB2_4719 Depth=3
	s_or_b64 exec, exec, s[72:73]
.LBB2_4985:                             ;   in Loop: Header=BB2_4719 Depth=3
	s_or_b64 exec, exec, s[30:31]
.LBB2_4986:                             ;   in Loop: Header=BB2_4719 Depth=3
	s_or_b64 exec, exec, s[34:35]
	v_cmp_ne_u16_e32 vcc, 0, v26
	s_and_saveexec_b64 s[30:31], vcc
	s_cbranch_execz .LBB2_4994
; %bb.4987:                             ;   in Loop: Header=BB2_4719 Depth=3
	v_cmp_ne_u16_e32 vcc, s97, v26
	v_bfrev_b32_e32 v7, 1
	s_and_saveexec_b64 s[34:35], vcc
	s_cbranch_execz .LBB2_4993
; %bb.4988:                             ;   in Loop: Header=BB2_4719 Depth=3
	v_and_b32_e32 v7, 0x7c, v26
	v_and_b32_e32 v14, 3, v26
	v_cmp_ne_u32_e32 vcc, s95, v7
                                        ; implicit-def: $vgpr7
	s_and_saveexec_b64 s[72:73], vcc
	s_xor_b64 s[72:73], exec, s[72:73]
	s_cbranch_execz .LBB2_4990
; %bb.4989:                             ;   in Loop: Header=BB2_4719 Depth=3
	v_ffbh_u32_e32 v13, v14
	v_min_u32_e32 v13, 32, v13
	v_mov_b32_e32 v27, v51
	v_subrev_u32_e32 v15, 29, v13
	v_bfe_u32 v7, v26, 2, 5
	v_lshlrev_b64 v[24:25], v15, v[26:27]
	v_sub_u32_e32 v13, 30, v13
	v_and_b32_e32 v15, 3, v24
	v_cmp_eq_u32_e32 vcc, 0, v7
	v_cndmask_b32_e32 v7, v7, v13, vcc
	v_cndmask_b32_e32 v13, v14, v15, vcc
	v_bfrev_b32_e32 v14, 28
	v_lshlrev_b32_e32 v12, 16, v12
	v_lshl_add_u32 v7, v7, 23, v14
	v_and_or_b32 v7, v12, s96, v7
	v_lshl_or_b32 v7, v13, 21, v7
                                        ; implicit-def: $vgpr14
                                        ; implicit-def: $vgpr12_vgpr13
.LBB2_4990:                             ;   in Loop: Header=BB2_4719 Depth=3
	s_andn2_saveexec_b64 s[72:73], s[72:73]
; %bb.4991:                             ;   in Loop: Header=BB2_4719 Depth=3
	v_cmp_lt_i16_e32 vcc, -1, v12
	v_mov_b32_e32 v7, 0xc7600000
	v_mov_b32_e32 v12, 0x47600000
	v_cndmask_b32_e32 v7, v7, v12, vcc
	v_cmp_eq_u32_e32 vcc, 0, v14
	v_mov_b32_e32 v12, 0x7f800001
	v_cndmask_b32_e32 v7, v12, v7, vcc
; %bb.4992:                             ;   in Loop: Header=BB2_4719 Depth=3
	s_or_b64 exec, exec, s[72:73]
.LBB2_4993:                             ;   in Loop: Header=BB2_4719 Depth=3
	s_or_b64 exec, exec, s[34:35]
.LBB2_4994:                             ;   in Loop: Header=BB2_4719 Depth=3
	s_or_b64 exec, exec, s[30:31]
	v_max_f32_e32 v7, v7, v7
	v_max_f32_e32 v0, v0, v0
	v_min_f32_e32 v7, v0, v7
.LBB2_4995:                             ;   in Loop: Header=BB2_4719 Depth=3
	v_and_b32_sdwa v0, v7, s97 dst_sel:DWORD dst_unused:UNUSED_PAD src0_sel:BYTE_3 src1_sel:DWORD
	v_and_b32_e32 v12, 0x7f800000, v7
	v_mov_b32_e32 v13, v51
	v_and_b32_e32 v50, 0x7fffff, v7
	v_or_b32_e32 v26, 0x7b, v0
	v_cmp_ne_u64_e32 vcc, s[52:53], v[12:13]
	s_and_saveexec_b64 s[30:31], vcc
	s_xor_b64 s[34:35], exec, s[30:31]
	s_cbranch_execz .LBB2_5005
; %bb.4996:                             ;   in Loop: Header=BB2_4719 Depth=3
	v_and_b32_e32 v12, 0x7fffffff, v7
	v_mov_b32_e32 v13, v51
	v_cmp_gt_u64_e32 vcc, s[54:55], v[12:13]
	s_and_saveexec_b64 s[72:73], vcc
	s_cbranch_execz .LBB2_5004
; %bb.4997:                             ;   in Loop: Header=BB2_4719 Depth=3
	v_cmp_ne_u32_e32 vcc, 0, v7
	v_mov_b32_e32 v26, 0
	s_and_saveexec_b64 s[74:75], vcc
	s_cbranch_execz .LBB2_5003
; %bb.4998:                             ;   in Loop: Header=BB2_4719 Depth=3
	v_bfe_u32 v7, v7, 23, 8
	v_sub_u32_e32 v13, 0x71, v7
	v_cmp_gt_u32_e32 vcc, s38, v7
	v_add_u32_e32 v12, 0xffffff81, v7
	v_cndmask_b32_e32 v13, 0, v13, vcc
	v_cmp_eq_u32_e32 vcc, 0, v7
	v_mov_b32_e32 v7, 0xffffff82
	v_cndmask_b32_e32 v7, v12, v7, vcc
	v_mov_b32_e32 v12, 0x70
	v_or_b32_e32 v14, 0x800000, v50
	v_cndmask_b32_e32 v15, v13, v12, vcc
	v_cndmask_b32_e32 v50, v14, v50, vcc
	v_add_u32_e32 v12, 21, v15
	v_lshlrev_b64 v[12:13], v12, -1
	v_add_u32_e32 v14, 20, v15
	v_lshrrev_b64 v[26:27], v15, v[50:51]
	v_not_b32_e32 v13, v13
	v_not_b32_e32 v12, v12
	v_lshlrev_b64 v[24:25], v14, 1
	v_lshrrev_b32_e32 v14, 23, v26
	v_and_b32_e32 v13, 0, v13
	v_and_b32_e32 v12, v50, v12
	v_add3_u32 v15, v15, v7, v14
	v_bfe_u32 v7, v26, 21, 1
	v_add_u32_e32 v7, -1, v7
	v_cmp_eq_u64_e32 vcc, v[12:13], v[24:25]
	v_cndmask_b32_e32 v7, 0, v7, vcc
	v_add_u32_e32 v7, v7, v26
	v_and_b32_e32 v7, 0x1fffff, v7
	v_add_co_u32_e32 v12, vcc, v7, v26
	v_add_u32_e32 v14, 14, v15
	v_addc_co_u32_e32 v13, vcc, 0, v27, vcc
	v_cmp_ne_u32_e32 vcc, 0, v14
                                        ; implicit-def: $vgpr7
	s_and_saveexec_b64 s[30:31], vcc
	s_xor_b64 s[30:31], exec, s[30:31]
; %bb.4999:                             ;   in Loop: Header=BB2_4719 Depth=3
	v_add_u32_e32 v7, 15, v15
	v_cmp_lt_u64_e32 vcc, s[56:57], v[12:13]
	v_cndmask_b32_e32 v7, v14, v7, vcc
	v_cndmask_b32_e64 v14, 0, 1, vcc
	v_lshrrev_b64 v[12:13], v14, v[12:13]
; %bb.5000:                             ;   in Loop: Header=BB2_4719 Depth=3
	s_andn2_saveexec_b64 vcc, s[30:31]
; %bb.5001:                             ;   in Loop: Header=BB2_4719 Depth=3
	v_bfe_u32 v7, v12, 23, 1
; %bb.5002:                             ;   in Loop: Header=BB2_4719 Depth=3
	s_or_b64 exec, exec, vcc
	v_lshrrev_b64 v[12:13], 21, v[12:13]
	v_cmp_gt_i32_e32 vcc, 32, v7
	v_cndmask_b32_e32 v13, 0, v13, vcc
	v_cndmask_b32_e32 v12, 3, v12, vcc
	v_cmp_eq_u32_e32 vcc, 0, v7
	v_min_i32_e32 v7, 31, v7
	v_cmp_eq_u64_e64 s[30:31], 0, v[12:13]
	v_lshlrev_b32_e32 v7, 2, v7
	v_and_or_b32 v7, v12, 3, v7
	s_and_b64 vcc, vcc, s[30:31]
	v_cndmask_b32_e64 v7, v7, 0, vcc
	v_or_b32_e32 v26, v7, v0
.LBB2_5003:                             ;   in Loop: Header=BB2_4719 Depth=3
	s_or_b64 exec, exec, s[74:75]
.LBB2_5004:                             ;   in Loop: Header=BB2_4719 Depth=3
	s_or_b64 exec, exec, s[72:73]
                                        ; implicit-def: $vgpr7
.LBB2_5005:                             ;   in Loop: Header=BB2_4719 Depth=3
	s_andn2_saveexec_b64 s[30:31], s[34:35]
; %bb.5006:                             ;   in Loop: Header=BB2_4719 Depth=3
	v_or_b32_sdwa v0, v7, s39 dst_sel:DWORD dst_unused:UNUSED_PAD src0_sel:BYTE_3 src1_sel:DWORD
	v_cmp_eq_u64_e32 vcc, 0, v[50:51]
	v_cndmask_b32_e32 v26, v0, v26, vcc
; %bb.5007:                             ;   in Loop: Header=BB2_4719 Depth=3
	s_or_b64 exec, exec, s[30:31]
	v_lshrrev_b32_e32 v14, 16, v41
	v_lshrrev_b32_e32 v12, 16, v9
	v_cmp_ne_u16_sdwa s[30:31], v14, v51 src0_sel:BYTE_0 src1_sel:DWORD
	s_and_b64 vcc, exec, s[70:71]
	s_cbranch_vccz .LBB2_5025
; %bb.5008:                             ;   in Loop: Header=BB2_4719 Depth=3
	v_mov_b32_e32 v7, 0
	v_mov_b32_e32 v0, 0
	s_and_saveexec_b64 s[34:35], s[30:31]
	s_cbranch_execz .LBB2_5016
; %bb.5009:                             ;   in Loop: Header=BB2_4719 Depth=3
	v_cmp_ne_u16_sdwa vcc, v14, s97 src0_sel:BYTE_0 src1_sel:DWORD
	v_bfrev_b32_e32 v0, 1
	s_and_saveexec_b64 s[72:73], vcc
	s_cbranch_execz .LBB2_5015
; %bb.5010:                             ;   in Loop: Header=BB2_4719 Depth=3
	v_and_b32_e32 v0, 0x7c0000, v41
	v_bfe_u32 v13, v41, 16, 2
	v_cmp_ne_u32_e32 vcc, s36, v0
                                        ; implicit-def: $vgpr0
	s_and_saveexec_b64 s[74:75], vcc
	s_xor_b64 s[74:75], exec, s[74:75]
	s_cbranch_execz .LBB2_5012
; %bb.5011:                             ;   in Loop: Header=BB2_4719 Depth=3
	v_ffbh_u32_e32 v15, v13
	v_min_u32_e32 v15, 32, v15
	v_subrev_u32_e32 v24, 29, v15
	v_bfe_u32 v0, v41, 18, 5
	v_lshlrev_b64 v[24:25], v24, v[14:15]
	v_sub_u32_e32 v15, 30, v15
	v_and_b32_e32 v24, 3, v24
	v_cmp_eq_u32_e32 vcc, 0, v0
	v_cndmask_b32_e32 v0, v0, v15, vcc
	v_cndmask_b32_e32 v13, v13, v24, vcc
	v_bfrev_b32_e32 v24, 28
	v_lshlrev_b32_e32 v15, 24, v14
	v_lshl_add_u32 v0, v0, 23, v24
	v_and_or_b32 v0, v15, s96, v0
	v_lshl_or_b32 v0, v13, 21, v0
                                        ; implicit-def: $vgpr13
.LBB2_5012:                             ;   in Loop: Header=BB2_4719 Depth=3
	s_andn2_saveexec_b64 s[74:75], s[74:75]
; %bb.5013:                             ;   in Loop: Header=BB2_4719 Depth=3
	v_mov_b32_e32 v0, -1
	v_cmp_gt_i16_sdwa vcc, sext(v14), v0 src0_sel:BYTE_0 src1_sel:DWORD
	v_mov_b32_e32 v0, 0xc7600000
	v_mov_b32_e32 v15, 0x47600000
	v_cndmask_b32_e32 v0, v0, v15, vcc
	v_cmp_eq_u32_e32 vcc, 0, v13
	v_mov_b32_e32 v13, 0x7f800001
	v_cndmask_b32_e32 v0, v13, v0, vcc
; %bb.5014:                             ;   in Loop: Header=BB2_4719 Depth=3
	s_or_b64 exec, exec, s[74:75]
.LBB2_5015:                             ;   in Loop: Header=BB2_4719 Depth=3
	s_or_b64 exec, exec, s[72:73]
.LBB2_5016:                             ;   in Loop: Header=BB2_4719 Depth=3
	s_or_b64 exec, exec, s[34:35]
	v_cmp_ne_u16_sdwa vcc, v12, v51 src0_sel:BYTE_0 src1_sel:DWORD
	s_and_saveexec_b64 s[34:35], vcc
	s_cbranch_execz .LBB2_5024
; %bb.5017:                             ;   in Loop: Header=BB2_4719 Depth=3
	v_cmp_ne_u16_sdwa vcc, v12, s97 src0_sel:BYTE_0 src1_sel:DWORD
	v_bfrev_b32_e32 v7, 1
	s_and_saveexec_b64 s[72:73], vcc
	s_cbranch_execz .LBB2_5023
; %bb.5018:                             ;   in Loop: Header=BB2_4719 Depth=3
	v_and_b32_e32 v7, 0x7c0000, v9
	v_bfe_u32 v13, v9, 16, 2
	v_cmp_ne_u32_e32 vcc, s36, v7
                                        ; implicit-def: $vgpr7
	s_and_saveexec_b64 s[74:75], vcc
	s_xor_b64 s[74:75], exec, s[74:75]
	s_cbranch_execz .LBB2_5020
; %bb.5019:                             ;   in Loop: Header=BB2_4719 Depth=3
	v_ffbh_u32_e32 v15, v13
	v_min_u32_e32 v15, 32, v15
	v_subrev_u32_e32 v24, 29, v15
	v_bfe_u32 v7, v9, 18, 5
	v_lshlrev_b64 v[24:25], v24, v[12:13]
	v_sub_u32_e32 v15, 30, v15
	v_and_b32_e32 v24, 3, v24
	v_cmp_eq_u32_e32 vcc, 0, v7
	v_cndmask_b32_e32 v7, v7, v15, vcc
	v_cndmask_b32_e32 v13, v13, v24, vcc
	v_bfrev_b32_e32 v24, 28
	v_lshlrev_b32_e32 v15, 24, v12
	v_lshl_add_u32 v7, v7, 23, v24
	v_and_or_b32 v7, v15, s96, v7
	v_lshl_or_b32 v7, v13, 21, v7
                                        ; implicit-def: $vgpr13
.LBB2_5020:                             ;   in Loop: Header=BB2_4719 Depth=3
	s_andn2_saveexec_b64 s[74:75], s[74:75]
; %bb.5021:                             ;   in Loop: Header=BB2_4719 Depth=3
	v_mov_b32_e32 v7, -1
	v_cmp_gt_i16_sdwa vcc, sext(v12), v7 src0_sel:BYTE_0 src1_sel:DWORD
	v_mov_b32_e32 v7, 0xc7600000
	v_mov_b32_e32 v15, 0x47600000
	v_cndmask_b32_e32 v7, v7, v15, vcc
	v_cmp_eq_u32_e32 vcc, 0, v13
	v_mov_b32_e32 v13, 0x7f800001
	v_cndmask_b32_e32 v7, v13, v7, vcc
; %bb.5022:                             ;   in Loop: Header=BB2_4719 Depth=3
	s_or_b64 exec, exec, s[74:75]
.LBB2_5023:                             ;   in Loop: Header=BB2_4719 Depth=3
	s_or_b64 exec, exec, s[72:73]
.LBB2_5024:                             ;   in Loop: Header=BB2_4719 Depth=3
	s_or_b64 exec, exec, s[34:35]
	v_max_f32_e32 v7, v7, v7
	v_max_f32_e32 v0, v0, v0
	;; [unrolled: 1-line block ×3, first 2 shown]
	s_branch .LBB2_5043
.LBB2_5025:                             ;   in Loop: Header=BB2_4719 Depth=3
                                        ; implicit-def: $vgpr7
	s_cbranch_execz .LBB2_5043
; %bb.5026:                             ;   in Loop: Header=BB2_4719 Depth=3
	v_mov_b32_e32 v7, 0
	v_mov_b32_e32 v0, 0
	s_and_saveexec_b64 s[34:35], s[30:31]
	s_cbranch_execz .LBB2_5034
; %bb.5027:                             ;   in Loop: Header=BB2_4719 Depth=3
	v_cmp_ne_u16_sdwa vcc, v14, s97 src0_sel:BYTE_0 src1_sel:DWORD
	v_bfrev_b32_e32 v0, 1
	s_and_saveexec_b64 s[30:31], vcc
	s_cbranch_execz .LBB2_5033
; %bb.5028:                             ;   in Loop: Header=BB2_4719 Depth=3
	v_and_b32_e32 v0, 0x7c0000, v41
	v_bfe_u32 v13, v41, 16, 2
	v_cmp_ne_u32_e32 vcc, s36, v0
                                        ; implicit-def: $vgpr0
	s_and_saveexec_b64 s[72:73], vcc
	s_xor_b64 s[72:73], exec, s[72:73]
	s_cbranch_execz .LBB2_5030
; %bb.5029:                             ;   in Loop: Header=BB2_4719 Depth=3
	v_ffbh_u32_e32 v15, v13
	v_min_u32_e32 v15, 32, v15
	v_bfe_u32 v0, v41, 18, 5
	v_subrev_u32_e32 v24, 29, v15
	v_lshlrev_b64 v[24:25], v24, v[14:15]
	v_sub_u32_e32 v15, 30, v15
	v_cmp_eq_u32_e32 vcc, 0, v0
	v_cndmask_b32_e32 v0, v0, v15, vcc
	v_bfrev_b32_e32 v15, 28
	v_and_b32_e32 v24, 3, v24
	v_lshlrev_b32_e32 v14, 24, v14
	v_lshl_add_u32 v0, v0, 23, v15
	v_cndmask_b32_e32 v13, v13, v24, vcc
	v_and_or_b32 v0, v14, s96, v0
	v_lshl_or_b32 v0, v13, 21, v0
                                        ; implicit-def: $vgpr13
                                        ; implicit-def: $vgpr14
.LBB2_5030:                             ;   in Loop: Header=BB2_4719 Depth=3
	s_andn2_saveexec_b64 s[72:73], s[72:73]
; %bb.5031:                             ;   in Loop: Header=BB2_4719 Depth=3
	v_mov_b32_e32 v0, -1
	v_cmp_gt_i16_sdwa vcc, sext(v14), v0 src0_sel:BYTE_0 src1_sel:DWORD
	v_mov_b32_e32 v0, 0xc7600000
	v_mov_b32_e32 v14, 0x47600000
	v_cndmask_b32_e32 v0, v0, v14, vcc
	v_cmp_eq_u32_e32 vcc, 0, v13
	v_mov_b32_e32 v13, 0x7f800001
	v_cndmask_b32_e32 v0, v13, v0, vcc
; %bb.5032:                             ;   in Loop: Header=BB2_4719 Depth=3
	s_or_b64 exec, exec, s[72:73]
.LBB2_5033:                             ;   in Loop: Header=BB2_4719 Depth=3
	s_or_b64 exec, exec, s[30:31]
.LBB2_5034:                             ;   in Loop: Header=BB2_4719 Depth=3
	s_or_b64 exec, exec, s[34:35]
	v_cmp_ne_u16_sdwa vcc, v12, v51 src0_sel:BYTE_0 src1_sel:DWORD
	s_and_saveexec_b64 s[30:31], vcc
	s_cbranch_execz .LBB2_5042
; %bb.5035:                             ;   in Loop: Header=BB2_4719 Depth=3
	v_cmp_ne_u16_sdwa vcc, v12, s97 src0_sel:BYTE_0 src1_sel:DWORD
	v_bfrev_b32_e32 v7, 1
	s_and_saveexec_b64 s[34:35], vcc
	s_cbranch_execz .LBB2_5041
; %bb.5036:                             ;   in Loop: Header=BB2_4719 Depth=3
	v_and_b32_e32 v7, 0x7c0000, v9
	v_bfe_u32 v13, v9, 16, 2
	v_cmp_ne_u32_e32 vcc, s36, v7
                                        ; implicit-def: $vgpr7
	s_and_saveexec_b64 s[72:73], vcc
	s_xor_b64 s[72:73], exec, s[72:73]
	s_cbranch_execz .LBB2_5038
; %bb.5037:                             ;   in Loop: Header=BB2_4719 Depth=3
	v_ffbh_u32_e32 v14, v13
	v_min_u32_e32 v24, 32, v14
	v_subrev_u32_e32 v14, 29, v24
	v_bfe_u32 v7, v9, 18, 5
	v_lshlrev_b64 v[14:15], v14, v[12:13]
	v_sub_u32_e32 v15, 30, v24
	v_and_b32_e32 v14, 3, v14
	v_cmp_eq_u32_e32 vcc, 0, v7
	v_cndmask_b32_e32 v7, v7, v15, vcc
	v_cndmask_b32_e32 v13, v13, v14, vcc
	v_bfrev_b32_e32 v14, 28
	v_lshlrev_b32_e32 v12, 24, v12
	v_lshl_add_u32 v7, v7, 23, v14
	v_and_or_b32 v7, v12, s96, v7
	v_lshl_or_b32 v7, v13, 21, v7
                                        ; implicit-def: $vgpr13
                                        ; implicit-def: $vgpr12
.LBB2_5038:                             ;   in Loop: Header=BB2_4719 Depth=3
	s_andn2_saveexec_b64 s[72:73], s[72:73]
; %bb.5039:                             ;   in Loop: Header=BB2_4719 Depth=3
	v_mov_b32_e32 v7, -1
	v_cmp_gt_i16_sdwa vcc, sext(v12), v7 src0_sel:BYTE_0 src1_sel:DWORD
	v_mov_b32_e32 v7, 0xc7600000
	v_mov_b32_e32 v12, 0x47600000
	v_cndmask_b32_e32 v7, v7, v12, vcc
	v_cmp_eq_u32_e32 vcc, 0, v13
	v_mov_b32_e32 v12, 0x7f800001
	v_cndmask_b32_e32 v7, v12, v7, vcc
; %bb.5040:                             ;   in Loop: Header=BB2_4719 Depth=3
	s_or_b64 exec, exec, s[72:73]
.LBB2_5041:                             ;   in Loop: Header=BB2_4719 Depth=3
	s_or_b64 exec, exec, s[34:35]
.LBB2_5042:                             ;   in Loop: Header=BB2_4719 Depth=3
	s_or_b64 exec, exec, s[30:31]
	v_max_f32_e32 v7, v7, v7
	v_max_f32_e32 v0, v0, v0
	v_min_f32_e32 v7, v0, v7
.LBB2_5043:                             ;   in Loop: Header=BB2_4719 Depth=3
	v_and_b32_sdwa v0, v7, s97 dst_sel:DWORD dst_unused:UNUSED_PAD src0_sel:BYTE_3 src1_sel:DWORD
	v_and_b32_e32 v12, 0x7f800000, v7
	v_mov_b32_e32 v13, v51
	v_and_b32_e32 v50, 0x7fffff, v7
	v_or_b32_e32 v27, 0x7b, v0
	v_cmp_ne_u64_e32 vcc, s[52:53], v[12:13]
	s_and_saveexec_b64 s[30:31], vcc
	s_xor_b64 s[34:35], exec, s[30:31]
	s_cbranch_execz .LBB2_5053
; %bb.5044:                             ;   in Loop: Header=BB2_4719 Depth=3
	v_and_b32_e32 v12, 0x7fffffff, v7
	v_mov_b32_e32 v13, v51
	v_cmp_gt_u64_e32 vcc, s[54:55], v[12:13]
	s_and_saveexec_b64 s[72:73], vcc
	s_cbranch_execz .LBB2_5052
; %bb.5045:                             ;   in Loop: Header=BB2_4719 Depth=3
	v_cmp_ne_u32_e32 vcc, 0, v7
	v_mov_b32_e32 v27, 0
	s_and_saveexec_b64 s[74:75], vcc
	s_cbranch_execz .LBB2_5051
; %bb.5046:                             ;   in Loop: Header=BB2_4719 Depth=3
	v_bfe_u32 v7, v7, 23, 8
	v_sub_u32_e32 v13, 0x71, v7
	v_cmp_gt_u32_e32 vcc, s38, v7
	v_add_u32_e32 v12, 0xffffff81, v7
	v_cndmask_b32_e32 v13, 0, v13, vcc
	v_cmp_eq_u32_e32 vcc, 0, v7
	v_mov_b32_e32 v7, 0xffffff82
	v_cndmask_b32_e32 v7, v12, v7, vcc
	v_mov_b32_e32 v12, 0x70
	v_or_b32_e32 v14, 0x800000, v50
	v_cndmask_b32_e32 v15, v13, v12, vcc
	v_cndmask_b32_e32 v50, v14, v50, vcc
	v_add_u32_e32 v12, 21, v15
	v_lshlrev_b64 v[12:13], v12, -1
	v_add_u32_e32 v14, 20, v15
	v_lshrrev_b64 v[30:31], v15, v[50:51]
	v_not_b32_e32 v13, v13
	v_not_b32_e32 v12, v12
	v_lshlrev_b64 v[24:25], v14, 1
	v_lshrrev_b32_e32 v14, 23, v30
	v_and_b32_e32 v13, 0, v13
	v_and_b32_e32 v12, v50, v12
	v_add3_u32 v15, v15, v7, v14
	v_bfe_u32 v7, v30, 21, 1
	v_add_u32_e32 v7, -1, v7
	v_cmp_eq_u64_e32 vcc, v[12:13], v[24:25]
	v_cndmask_b32_e32 v7, 0, v7, vcc
	v_add_u32_e32 v7, v7, v30
	v_and_b32_e32 v7, 0x1fffff, v7
	v_add_co_u32_e32 v12, vcc, v7, v30
	v_add_u32_e32 v14, 14, v15
	v_addc_co_u32_e32 v13, vcc, 0, v31, vcc
	v_cmp_ne_u32_e32 vcc, 0, v14
                                        ; implicit-def: $vgpr7
	s_and_saveexec_b64 s[30:31], vcc
	s_xor_b64 s[30:31], exec, s[30:31]
; %bb.5047:                             ;   in Loop: Header=BB2_4719 Depth=3
	v_add_u32_e32 v7, 15, v15
	v_cmp_lt_u64_e32 vcc, s[56:57], v[12:13]
	v_cndmask_b32_e32 v7, v14, v7, vcc
	v_cndmask_b32_e64 v14, 0, 1, vcc
	v_lshrrev_b64 v[12:13], v14, v[12:13]
; %bb.5048:                             ;   in Loop: Header=BB2_4719 Depth=3
	s_andn2_saveexec_b64 vcc, s[30:31]
; %bb.5049:                             ;   in Loop: Header=BB2_4719 Depth=3
	v_bfe_u32 v7, v12, 23, 1
; %bb.5050:                             ;   in Loop: Header=BB2_4719 Depth=3
	s_or_b64 exec, exec, vcc
	v_lshrrev_b64 v[12:13], 21, v[12:13]
	v_cmp_gt_i32_e32 vcc, 32, v7
	v_cndmask_b32_e32 v13, 0, v13, vcc
	v_cndmask_b32_e32 v12, 3, v12, vcc
	v_cmp_eq_u32_e32 vcc, 0, v7
	v_min_i32_e32 v7, 31, v7
	v_cmp_eq_u64_e64 s[30:31], 0, v[12:13]
	v_lshlrev_b32_e32 v7, 2, v7
	v_and_or_b32 v7, v12, 3, v7
	s_and_b64 vcc, vcc, s[30:31]
	v_cndmask_b32_e64 v7, v7, 0, vcc
	v_or_b32_e32 v27, v7, v0
.LBB2_5051:                             ;   in Loop: Header=BB2_4719 Depth=3
	s_or_b64 exec, exec, s[74:75]
.LBB2_5052:                             ;   in Loop: Header=BB2_4719 Depth=3
	s_or_b64 exec, exec, s[72:73]
                                        ; implicit-def: $vgpr7
.LBB2_5053:                             ;   in Loop: Header=BB2_4719 Depth=3
	s_andn2_saveexec_b64 s[30:31], s[34:35]
; %bb.5054:                             ;   in Loop: Header=BB2_4719 Depth=3
	v_or_b32_sdwa v0, v7, s39 dst_sel:DWORD dst_unused:UNUSED_PAD src0_sel:BYTE_3 src1_sel:DWORD
	v_cmp_eq_u64_e32 vcc, 0, v[50:51]
	v_cndmask_b32_e32 v27, v0, v27, vcc
; %bb.5055:                             ;   in Loop: Header=BB2_4719 Depth=3
	s_or_b64 exec, exec, s[30:31]
	v_lshrrev_b32_e32 v14, 24, v41
	v_lshrrev_b32_e32 v12, 24, v9
	v_cmp_lt_u64_e64 s[30:31], s[42:43], v[40:41]
	s_and_b64 vcc, exec, s[70:71]
	s_cbranch_vccz .LBB2_5073
; %bb.5056:                             ;   in Loop: Header=BB2_4719 Depth=3
	v_mov_b32_e32 v7, 0
	v_mov_b32_e32 v0, 0
	s_and_saveexec_b64 s[34:35], s[30:31]
	s_cbranch_execz .LBB2_5064
; %bb.5057:                             ;   in Loop: Header=BB2_4719 Depth=3
	v_cmp_ne_u32_e32 vcc, s97, v14
	v_bfrev_b32_e32 v0, 1
	s_and_saveexec_b64 s[72:73], vcc
	s_cbranch_execz .LBB2_5063
; %bb.5058:                             ;   in Loop: Header=BB2_4719 Depth=3
	v_and_b32_e32 v0, 0x7c000000, v41
	v_bfe_u32 v13, v41, 24, 2
	v_cmp_ne_u32_e32 vcc, s37, v0
                                        ; implicit-def: $vgpr0
	s_and_saveexec_b64 s[74:75], vcc
	s_xor_b64 s[74:75], exec, s[74:75]
	s_cbranch_execz .LBB2_5060
; %bb.5059:                             ;   in Loop: Header=BB2_4719 Depth=3
	v_ffbh_u32_e32 v15, v13
	v_min_u32_e32 v15, 32, v15
	v_bfe_u32 v0, v41, 26, 5
	v_subrev_u32_e32 v24, 29, v15
	v_lshlrev_b64 v[24:25], v24, v[14:15]
	v_sub_u32_e32 v15, 30, v15
	v_cmp_eq_u32_e32 vcc, 0, v0
	v_cndmask_b32_e32 v0, v0, v15, vcc
	v_bfrev_b32_e32 v15, 28
	v_and_b32_e32 v24, 3, v24
	v_lshl_add_u32 v0, v0, 23, v15
	v_cndmask_b32_e32 v13, v13, v24, vcc
	v_and_or_b32 v0, v41, s96, v0
	v_lshl_or_b32 v0, v13, 21, v0
                                        ; implicit-def: $vgpr13
.LBB2_5060:                             ;   in Loop: Header=BB2_4719 Depth=3
	s_andn2_saveexec_b64 s[74:75], s[74:75]
; %bb.5061:                             ;   in Loop: Header=BB2_4719 Depth=3
	v_cmp_lt_i64_e32 vcc, -1, v[40:41]
	v_mov_b32_e32 v0, 0xc7600000
	v_mov_b32_e32 v15, 0x47600000
	v_cndmask_b32_e32 v0, v0, v15, vcc
	v_cmp_eq_u32_e32 vcc, 0, v13
	v_mov_b32_e32 v13, 0x7f800001
	v_cndmask_b32_e32 v0, v13, v0, vcc
; %bb.5062:                             ;   in Loop: Header=BB2_4719 Depth=3
	s_or_b64 exec, exec, s[74:75]
.LBB2_5063:                             ;   in Loop: Header=BB2_4719 Depth=3
	s_or_b64 exec, exec, s[72:73]
.LBB2_5064:                             ;   in Loop: Header=BB2_4719 Depth=3
	s_or_b64 exec, exec, s[34:35]
	v_cmp_lt_u64_e32 vcc, s[42:43], v[8:9]
	s_and_saveexec_b64 s[34:35], vcc
	s_cbranch_execz .LBB2_5072
; %bb.5065:                             ;   in Loop: Header=BB2_4719 Depth=3
	v_cmp_ne_u32_e32 vcc, s97, v12
	v_bfrev_b32_e32 v7, 1
	s_and_saveexec_b64 s[72:73], vcc
	s_cbranch_execz .LBB2_5071
; %bb.5066:                             ;   in Loop: Header=BB2_4719 Depth=3
	v_and_b32_e32 v7, 0x7c000000, v9
	v_bfe_u32 v13, v9, 24, 2
	v_cmp_ne_u32_e32 vcc, s37, v7
                                        ; implicit-def: $vgpr7
	s_and_saveexec_b64 s[74:75], vcc
	s_xor_b64 s[74:75], exec, s[74:75]
	s_cbranch_execz .LBB2_5068
; %bb.5067:                             ;   in Loop: Header=BB2_4719 Depth=3
	v_ffbh_u32_e32 v15, v13
	v_bfe_u32 v7, v9, 26, 5
	v_min_u32_e32 v15, 32, v15
	v_subrev_u32_e32 v24, 29, v15
	v_sub_u32_e32 v15, 30, v15
	v_cmp_eq_u32_e32 vcc, 0, v7
	v_lshlrev_b64 v[24:25], v24, v[12:13]
	v_cndmask_b32_e32 v7, v7, v15, vcc
	v_bfrev_b32_e32 v15, 28
	v_and_b32_e32 v24, 3, v24
	v_lshl_add_u32 v7, v7, 23, v15
	v_cndmask_b32_e32 v13, v13, v24, vcc
	v_and_or_b32 v7, v9, s96, v7
	v_lshl_or_b32 v7, v13, 21, v7
                                        ; implicit-def: $vgpr13
.LBB2_5068:                             ;   in Loop: Header=BB2_4719 Depth=3
	s_andn2_saveexec_b64 s[74:75], s[74:75]
; %bb.5069:                             ;   in Loop: Header=BB2_4719 Depth=3
	v_cmp_lt_i64_e32 vcc, -1, v[8:9]
	v_mov_b32_e32 v7, 0xc7600000
	v_mov_b32_e32 v15, 0x47600000
	v_cndmask_b32_e32 v7, v7, v15, vcc
	v_cmp_eq_u32_e32 vcc, 0, v13
	v_mov_b32_e32 v13, 0x7f800001
	v_cndmask_b32_e32 v7, v13, v7, vcc
; %bb.5070:                             ;   in Loop: Header=BB2_4719 Depth=3
	s_or_b64 exec, exec, s[74:75]
.LBB2_5071:                             ;   in Loop: Header=BB2_4719 Depth=3
	s_or_b64 exec, exec, s[72:73]
.LBB2_5072:                             ;   in Loop: Header=BB2_4719 Depth=3
	s_or_b64 exec, exec, s[34:35]
	v_max_f32_e32 v7, v7, v7
	v_max_f32_e32 v0, v0, v0
	;; [unrolled: 1-line block ×3, first 2 shown]
	s_branch .LBB2_5091
.LBB2_5073:                             ;   in Loop: Header=BB2_4719 Depth=3
                                        ; implicit-def: $vgpr7
	s_cbranch_execz .LBB2_5091
; %bb.5074:                             ;   in Loop: Header=BB2_4719 Depth=3
	v_mov_b32_e32 v7, 0
	v_mov_b32_e32 v0, 0
	s_and_saveexec_b64 s[34:35], s[30:31]
	s_cbranch_execz .LBB2_5082
; %bb.5075:                             ;   in Loop: Header=BB2_4719 Depth=3
	v_cmp_ne_u32_e32 vcc, s97, v14
	v_bfrev_b32_e32 v0, 1
	s_and_saveexec_b64 s[30:31], vcc
	s_cbranch_execz .LBB2_5081
; %bb.5076:                             ;   in Loop: Header=BB2_4719 Depth=3
	v_and_b32_e32 v0, 0x7c000000, v41
	v_bfe_u32 v13, v41, 24, 2
	v_cmp_ne_u32_e32 vcc, s37, v0
                                        ; implicit-def: $vgpr0
	s_and_saveexec_b64 s[72:73], vcc
	s_xor_b64 s[72:73], exec, s[72:73]
	s_cbranch_execz .LBB2_5078
; %bb.5077:                             ;   in Loop: Header=BB2_4719 Depth=3
	v_ffbh_u32_e32 v15, v13
	v_min_u32_e32 v24, 32, v15
	v_subrev_u32_e32 v15, 29, v24
	v_bfe_u32 v0, v41, 26, 5
	v_lshlrev_b64 v[14:15], v15, v[14:15]
	v_sub_u32_e32 v15, 30, v24
	v_and_b32_e32 v14, 3, v14
	v_cmp_eq_u32_e32 vcc, 0, v0
	v_cndmask_b32_e32 v0, v0, v15, vcc
	v_cndmask_b32_e32 v13, v13, v14, vcc
	v_bfrev_b32_e32 v14, 28
	v_lshl_add_u32 v0, v0, 23, v14
	v_and_or_b32 v0, v41, s96, v0
	v_lshl_or_b32 v0, v13, 21, v0
                                        ; implicit-def: $vgpr13
.LBB2_5078:                             ;   in Loop: Header=BB2_4719 Depth=3
	s_andn2_saveexec_b64 s[72:73], s[72:73]
; %bb.5079:                             ;   in Loop: Header=BB2_4719 Depth=3
	v_cmp_lt_i64_e32 vcc, -1, v[40:41]
	v_mov_b32_e32 v0, 0xc7600000
	v_mov_b32_e32 v14, 0x47600000
	v_cndmask_b32_e32 v0, v0, v14, vcc
	v_cmp_eq_u32_e32 vcc, 0, v13
	v_mov_b32_e32 v13, 0x7f800001
	v_cndmask_b32_e32 v0, v13, v0, vcc
; %bb.5080:                             ;   in Loop: Header=BB2_4719 Depth=3
	s_or_b64 exec, exec, s[72:73]
.LBB2_5081:                             ;   in Loop: Header=BB2_4719 Depth=3
	s_or_b64 exec, exec, s[30:31]
.LBB2_5082:                             ;   in Loop: Header=BB2_4719 Depth=3
	s_or_b64 exec, exec, s[34:35]
	v_cmp_lt_u64_e32 vcc, s[42:43], v[8:9]
	s_and_saveexec_b64 s[30:31], vcc
	s_cbranch_execz .LBB2_5090
; %bb.5083:                             ;   in Loop: Header=BB2_4719 Depth=3
	v_cmp_ne_u32_e32 vcc, s97, v12
	v_bfrev_b32_e32 v7, 1
	s_and_saveexec_b64 s[34:35], vcc
	s_cbranch_execz .LBB2_5089
; %bb.5084:                             ;   in Loop: Header=BB2_4719 Depth=3
	v_and_b32_e32 v7, 0x7c000000, v9
	v_bfe_u32 v13, v9, 24, 2
	v_cmp_ne_u32_e32 vcc, s37, v7
                                        ; implicit-def: $vgpr7
	s_and_saveexec_b64 s[72:73], vcc
	s_xor_b64 s[72:73], exec, s[72:73]
	s_cbranch_execz .LBB2_5086
; %bb.5085:                             ;   in Loop: Header=BB2_4719 Depth=3
	v_ffbh_u32_e32 v8, v13
	v_min_u32_e32 v8, 32, v8
	v_subrev_u32_e32 v14, 29, v8
	v_bfe_u32 v7, v9, 26, 5
	v_lshlrev_b64 v[14:15], v14, v[12:13]
	v_sub_u32_e32 v8, 30, v8
	v_and_b32_e32 v12, 3, v14
	v_cmp_eq_u32_e32 vcc, 0, v7
	v_cndmask_b32_e32 v7, v7, v8, vcc
	v_cndmask_b32_e32 v8, v13, v12, vcc
	v_bfrev_b32_e32 v12, 28
	v_lshl_add_u32 v7, v7, 23, v12
	v_and_or_b32 v7, v9, s96, v7
	v_lshl_or_b32 v7, v8, 21, v7
                                        ; implicit-def: $vgpr13
.LBB2_5086:                             ;   in Loop: Header=BB2_4719 Depth=3
	s_andn2_saveexec_b64 s[72:73], s[72:73]
; %bb.5087:                             ;   in Loop: Header=BB2_4719 Depth=3
	v_cmp_lt_i64_e32 vcc, -1, v[8:9]
	v_mov_b32_e32 v7, 0xc7600000
	v_mov_b32_e32 v8, 0x47600000
	v_cndmask_b32_e32 v7, v7, v8, vcc
	v_cmp_eq_u32_e32 vcc, 0, v13
	v_mov_b32_e32 v8, 0x7f800001
	v_cndmask_b32_e32 v7, v8, v7, vcc
; %bb.5088:                             ;   in Loop: Header=BB2_4719 Depth=3
	s_or_b64 exec, exec, s[72:73]
.LBB2_5089:                             ;   in Loop: Header=BB2_4719 Depth=3
	s_or_b64 exec, exec, s[34:35]
.LBB2_5090:                             ;   in Loop: Header=BB2_4719 Depth=3
	s_or_b64 exec, exec, s[30:31]
	v_max_f32_e32 v7, v7, v7
	v_max_f32_e32 v0, v0, v0
	v_min_f32_e32 v7, v0, v7
.LBB2_5091:                             ;   in Loop: Header=BB2_4719 Depth=3
	v_and_b32_sdwa v0, v7, s97 dst_sel:DWORD dst_unused:UNUSED_PAD src0_sel:BYTE_3 src1_sel:DWORD
	v_and_b32_e32 v8, 0x7f800000, v7
	v_mov_b32_e32 v9, v51
	v_and_b32_e32 v50, 0x7fffff, v7
	v_or_b32_e32 v31, 0x7b, v0
	v_cmp_ne_u64_e32 vcc, s[52:53], v[8:9]
	s_and_saveexec_b64 s[30:31], vcc
	s_xor_b64 s[34:35], exec, s[30:31]
	s_cbranch_execz .LBB2_5119
; %bb.5092:                             ;   in Loop: Header=BB2_4719 Depth=3
	v_and_b32_e32 v8, 0x7fffffff, v7
	v_mov_b32_e32 v9, v51
	v_cmp_gt_u64_e32 vcc, s[54:55], v[8:9]
	s_and_saveexec_b64 s[72:73], vcc
	s_cbranch_execz .LBB2_5100
; %bb.5093:                             ;   in Loop: Header=BB2_4719 Depth=3
	v_cmp_ne_u32_e32 vcc, 0, v7
	v_mov_b32_e32 v31, 0
	s_and_saveexec_b64 s[74:75], vcc
	s_cbranch_execz .LBB2_5099
; %bb.5094:                             ;   in Loop: Header=BB2_4719 Depth=3
	v_bfe_u32 v7, v7, 23, 8
	v_sub_u32_e32 v9, 0x71, v7
	v_cmp_gt_u32_e32 vcc, s38, v7
	v_add_u32_e32 v8, 0xffffff81, v7
	v_cndmask_b32_e32 v9, 0, v9, vcc
	v_cmp_eq_u32_e32 vcc, 0, v7
	v_mov_b32_e32 v7, 0xffffff82
	v_cndmask_b32_e32 v7, v8, v7, vcc
	v_mov_b32_e32 v8, 0x70
	v_or_b32_e32 v12, 0x800000, v50
	v_cndmask_b32_e32 v13, v9, v8, vcc
	v_cndmask_b32_e32 v50, v12, v50, vcc
	v_add_u32_e32 v8, 21, v13
	v_lshlrev_b64 v[8:9], v8, -1
	v_add_u32_e32 v12, 20, v13
	v_lshrrev_b64 v[24:25], v13, v[50:51]
	v_not_b32_e32 v9, v9
	v_not_b32_e32 v8, v8
	v_lshlrev_b64 v[14:15], v12, 1
	v_lshrrev_b32_e32 v12, 23, v24
	v_and_b32_e32 v9, 0, v9
	v_and_b32_e32 v8, v50, v8
	v_add3_u32 v13, v13, v7, v12
	v_bfe_u32 v7, v24, 21, 1
	v_add_u32_e32 v7, -1, v7
	v_cmp_eq_u64_e32 vcc, v[8:9], v[14:15]
	v_cndmask_b32_e32 v7, 0, v7, vcc
	v_add_u32_e32 v7, v7, v24
	v_and_b32_e32 v7, 0x1fffff, v7
	v_add_co_u32_e32 v8, vcc, v7, v24
	v_add_u32_e32 v12, 14, v13
	v_addc_co_u32_e32 v9, vcc, 0, v25, vcc
	v_cmp_ne_u32_e32 vcc, 0, v12
                                        ; implicit-def: $vgpr7
	s_and_saveexec_b64 s[30:31], vcc
	s_xor_b64 s[30:31], exec, s[30:31]
; %bb.5095:                             ;   in Loop: Header=BB2_4719 Depth=3
	v_add_u32_e32 v7, 15, v13
	v_cmp_lt_u64_e32 vcc, s[56:57], v[8:9]
	v_cndmask_b32_e32 v7, v12, v7, vcc
	v_cndmask_b32_e64 v12, 0, 1, vcc
	v_lshrrev_b64 v[8:9], v12, v[8:9]
; %bb.5096:                             ;   in Loop: Header=BB2_4719 Depth=3
	s_andn2_saveexec_b64 vcc, s[30:31]
; %bb.5097:                             ;   in Loop: Header=BB2_4719 Depth=3
	v_bfe_u32 v7, v8, 23, 1
; %bb.5098:                             ;   in Loop: Header=BB2_4719 Depth=3
	s_or_b64 exec, exec, vcc
	v_lshrrev_b64 v[8:9], 21, v[8:9]
	v_cmp_gt_i32_e32 vcc, 32, v7
	v_cndmask_b32_e32 v9, 0, v9, vcc
	v_cndmask_b32_e32 v8, 3, v8, vcc
	v_cmp_eq_u32_e32 vcc, 0, v7
	v_min_i32_e32 v7, 31, v7
	v_lshlrev_b32_e32 v7, 2, v7
	v_cmp_eq_u64_e64 s[30:31], 0, v[8:9]
	v_and_b32_e32 v7, 0xfc, v7
	v_and_or_b32 v7, v8, 3, v7
	s_and_b64 vcc, vcc, s[30:31]
	v_cndmask_b32_e64 v7, v7, 0, vcc
	v_or_b32_e32 v31, v7, v0
.LBB2_5099:                             ;   in Loop: Header=BB2_4719 Depth=3
	s_or_b64 exec, exec, s[74:75]
.LBB2_5100:                             ;   in Loop: Header=BB2_4719 Depth=3
	s_or_b64 exec, exec, s[72:73]
                                        ; implicit-def: $vgpr7
	s_andn2_saveexec_b64 s[30:31], s[34:35]
	s_cbranch_execnz .LBB2_5120
.LBB2_5101:                             ;   in Loop: Header=BB2_4719 Depth=3
	s_or_b64 exec, exec, s[30:31]
	v_cmp_ne_u16_sdwa s[30:31], v42, v51 src0_sel:BYTE_0 src1_sel:DWORD
	s_and_b64 vcc, exec, s[70:71]
	s_cbranch_vccz .LBB2_5121
.LBB2_5102:                             ;   in Loop: Header=BB2_4719 Depth=3
	v_mov_b32_e32 v7, 0
	v_mov_b32_e32 v0, 0
	s_and_saveexec_b64 s[34:35], s[30:31]
	s_cbranch_execz .LBB2_5110
; %bb.5103:                             ;   in Loop: Header=BB2_4719 Depth=3
	v_cmp_ne_u16_sdwa vcc, sext(v42), s94 src0_sel:BYTE_0 src1_sel:DWORD
	v_bfrev_b32_e32 v0, 1
	s_and_saveexec_b64 s[72:73], vcc
	s_cbranch_execz .LBB2_5109
; %bb.5104:                             ;   in Loop: Header=BB2_4719 Depth=3
	v_and_b32_e32 v0, 0x7c, v42
	v_and_b32_e32 v8, 3, v42
	v_cmp_ne_u32_e32 vcc, s95, v0
                                        ; implicit-def: $vgpr0
	s_and_saveexec_b64 s[74:75], vcc
	s_xor_b64 s[74:75], exec, s[74:75]
	s_cbranch_execz .LBB2_5106
; %bb.5105:                             ;   in Loop: Header=BB2_4719 Depth=3
	v_ffbh_u32_e32 v9, v8
	v_min_u32_e32 v9, 32, v9
	v_subrev_u32_e32 v12, 29, v9
	v_bfe_u32 v0, v42, 2, 5
	v_lshlrev_b64 v[12:13], v12, v[42:43]
	v_sub_u32_e32 v9, 30, v9
	v_and_b32_e32 v12, 3, v12
	v_cmp_eq_u32_e32 vcc, 0, v0
	v_cndmask_b32_e32 v0, v0, v9, vcc
	v_cndmask_b32_e32 v8, v8, v12, vcc
	v_bfrev_b32_e32 v12, 28
	v_lshlrev_b32_e32 v9, 24, v42
	v_lshl_add_u32 v0, v0, 23, v12
	v_and_or_b32 v0, v9, s96, v0
	v_lshl_or_b32 v0, v8, 21, v0
                                        ; implicit-def: $vgpr8
.LBB2_5106:                             ;   in Loop: Header=BB2_4719 Depth=3
	s_andn2_saveexec_b64 s[74:75], s[74:75]
; %bb.5107:                             ;   in Loop: Header=BB2_4719 Depth=3
	v_mov_b32_e32 v0, -1
	v_cmp_gt_i16_sdwa vcc, sext(v42), v0 src0_sel:BYTE_0 src1_sel:DWORD
	v_mov_b32_e32 v0, 0xc7600000
	v_mov_b32_e32 v9, 0x47600000
	v_cndmask_b32_e32 v0, v0, v9, vcc
	v_cmp_eq_u32_e32 vcc, 0, v8
	v_mov_b32_e32 v8, 0x7f800001
	v_cndmask_b32_e32 v0, v8, v0, vcc
; %bb.5108:                             ;   in Loop: Header=BB2_4719 Depth=3
	s_or_b64 exec, exec, s[74:75]
.LBB2_5109:                             ;   in Loop: Header=BB2_4719 Depth=3
	s_or_b64 exec, exec, s[72:73]
.LBB2_5110:                             ;   in Loop: Header=BB2_4719 Depth=3
	s_or_b64 exec, exec, s[34:35]
	v_cmp_ne_u16_sdwa vcc, sext(v10), v51 src0_sel:BYTE_0 src1_sel:DWORD
	s_and_saveexec_b64 s[34:35], vcc
	s_cbranch_execz .LBB2_5118
; %bb.5111:                             ;   in Loop: Header=BB2_4719 Depth=3
	v_cmp_ne_u16_sdwa vcc, sext(v10), s94 src0_sel:BYTE_0 src1_sel:DWORD
	v_bfrev_b32_e32 v7, 1
	s_and_saveexec_b64 s[72:73], vcc
	s_cbranch_execz .LBB2_5117
; %bb.5112:                             ;   in Loop: Header=BB2_4719 Depth=3
	v_and_b32_e32 v7, 0x7c, v10
	v_and_b32_e32 v8, 3, v10
	v_cmp_ne_u32_e32 vcc, s95, v7
                                        ; implicit-def: $vgpr7
	s_and_saveexec_b64 s[74:75], vcc
	s_xor_b64 s[74:75], exec, s[74:75]
	s_cbranch_execz .LBB2_5114
; %bb.5113:                             ;   in Loop: Header=BB2_4719 Depth=3
	v_ffbh_u32_e32 v9, v8
	v_min_u32_e32 v9, 32, v9
	v_subrev_u32_e32 v12, 29, v9
	v_bfe_u32 v7, v10, 2, 5
	v_lshlrev_b64 v[12:13], v12, v[10:11]
	v_sub_u32_e32 v9, 30, v9
	v_and_b32_e32 v12, 3, v12
	v_cmp_eq_u32_e32 vcc, 0, v7
	v_cndmask_b32_e32 v7, v7, v9, vcc
	v_cndmask_b32_e32 v8, v8, v12, vcc
	v_bfrev_b32_e32 v12, 28
	v_lshlrev_b32_e32 v9, 24, v10
	v_lshl_add_u32 v7, v7, 23, v12
	v_and_or_b32 v7, v9, s96, v7
	v_lshl_or_b32 v7, v8, 21, v7
                                        ; implicit-def: $vgpr8
.LBB2_5114:                             ;   in Loop: Header=BB2_4719 Depth=3
	s_andn2_saveexec_b64 s[74:75], s[74:75]
; %bb.5115:                             ;   in Loop: Header=BB2_4719 Depth=3
	v_mov_b32_e32 v7, -1
	v_cmp_gt_i16_sdwa vcc, sext(v10), v7 src0_sel:BYTE_0 src1_sel:DWORD
	v_mov_b32_e32 v7, 0xc7600000
	v_mov_b32_e32 v9, 0x47600000
	v_cndmask_b32_e32 v7, v7, v9, vcc
	v_cmp_eq_u32_e32 vcc, 0, v8
	v_mov_b32_e32 v8, 0x7f800001
	v_cndmask_b32_e32 v7, v8, v7, vcc
; %bb.5116:                             ;   in Loop: Header=BB2_4719 Depth=3
	s_or_b64 exec, exec, s[74:75]
.LBB2_5117:                             ;   in Loop: Header=BB2_4719 Depth=3
	s_or_b64 exec, exec, s[72:73]
.LBB2_5118:                             ;   in Loop: Header=BB2_4719 Depth=3
	s_or_b64 exec, exec, s[34:35]
	v_max_f32_e32 v7, v7, v7
	v_max_f32_e32 v0, v0, v0
	;; [unrolled: 1-line block ×3, first 2 shown]
	s_branch .LBB2_5139
.LBB2_5119:                             ;   in Loop: Header=BB2_4719 Depth=3
	s_andn2_saveexec_b64 s[30:31], s[34:35]
	s_cbranch_execz .LBB2_5101
.LBB2_5120:                             ;   in Loop: Header=BB2_4719 Depth=3
	v_or_b32_sdwa v0, v7, s39 dst_sel:DWORD dst_unused:UNUSED_PAD src0_sel:BYTE_3 src1_sel:DWORD
	v_cmp_eq_u64_e32 vcc, 0, v[50:51]
	v_cndmask_b32_e32 v31, v0, v31, vcc
	s_or_b64 exec, exec, s[30:31]
	v_cmp_ne_u16_sdwa s[30:31], v42, v51 src0_sel:BYTE_0 src1_sel:DWORD
	s_and_b64 vcc, exec, s[70:71]
	s_cbranch_vccnz .LBB2_5102
.LBB2_5121:                             ;   in Loop: Header=BB2_4719 Depth=3
                                        ; implicit-def: $vgpr7
	s_cbranch_execz .LBB2_5139
; %bb.5122:                             ;   in Loop: Header=BB2_4719 Depth=3
	v_mov_b32_e32 v7, 0
	v_mov_b32_e32 v0, 0
	s_and_saveexec_b64 s[34:35], s[30:31]
	s_cbranch_execz .LBB2_5130
; %bb.5123:                             ;   in Loop: Header=BB2_4719 Depth=3
	v_cmp_ne_u16_sdwa vcc, sext(v42), s94 src0_sel:BYTE_0 src1_sel:DWORD
	v_bfrev_b32_e32 v0, 1
	s_and_saveexec_b64 s[30:31], vcc
	s_cbranch_execz .LBB2_5129
; %bb.5124:                             ;   in Loop: Header=BB2_4719 Depth=3
	v_and_b32_e32 v0, 0x7c, v42
	v_and_b32_e32 v8, 3, v42
	v_cmp_ne_u32_e32 vcc, s95, v0
                                        ; implicit-def: $vgpr0
	s_and_saveexec_b64 s[72:73], vcc
	s_xor_b64 s[72:73], exec, s[72:73]
	s_cbranch_execz .LBB2_5126
; %bb.5125:                             ;   in Loop: Header=BB2_4719 Depth=3
	v_ffbh_u32_e32 v9, v8
	v_min_u32_e32 v9, 32, v9
	v_subrev_u32_e32 v12, 29, v9
	v_bfe_u32 v0, v42, 2, 5
	v_lshlrev_b64 v[12:13], v12, v[42:43]
	v_sub_u32_e32 v9, 30, v9
	v_and_b32_e32 v12, 3, v12
	v_cmp_eq_u32_e32 vcc, 0, v0
	v_cndmask_b32_e32 v0, v0, v9, vcc
	v_cndmask_b32_e32 v8, v8, v12, vcc
	v_bfrev_b32_e32 v12, 28
	v_lshlrev_b32_e32 v9, 24, v42
	v_lshl_add_u32 v0, v0, 23, v12
	v_and_or_b32 v0, v9, s96, v0
	v_lshl_or_b32 v0, v8, 21, v0
                                        ; implicit-def: $vgpr8
.LBB2_5126:                             ;   in Loop: Header=BB2_4719 Depth=3
	s_andn2_saveexec_b64 s[72:73], s[72:73]
; %bb.5127:                             ;   in Loop: Header=BB2_4719 Depth=3
	v_mov_b32_e32 v0, -1
	v_cmp_gt_i16_sdwa vcc, sext(v42), v0 src0_sel:BYTE_0 src1_sel:DWORD
	v_mov_b32_e32 v0, 0xc7600000
	v_mov_b32_e32 v9, 0x47600000
	v_cndmask_b32_e32 v0, v0, v9, vcc
	v_cmp_eq_u32_e32 vcc, 0, v8
	v_mov_b32_e32 v8, 0x7f800001
	v_cndmask_b32_e32 v0, v8, v0, vcc
; %bb.5128:                             ;   in Loop: Header=BB2_4719 Depth=3
	s_or_b64 exec, exec, s[72:73]
.LBB2_5129:                             ;   in Loop: Header=BB2_4719 Depth=3
	s_or_b64 exec, exec, s[30:31]
.LBB2_5130:                             ;   in Loop: Header=BB2_4719 Depth=3
	s_or_b64 exec, exec, s[34:35]
	v_cmp_ne_u16_sdwa vcc, sext(v10), v51 src0_sel:BYTE_0 src1_sel:DWORD
	s_and_saveexec_b64 s[30:31], vcc
	s_cbranch_execz .LBB2_5138
; %bb.5131:                             ;   in Loop: Header=BB2_4719 Depth=3
	v_cmp_ne_u16_sdwa vcc, sext(v10), s94 src0_sel:BYTE_0 src1_sel:DWORD
	v_bfrev_b32_e32 v7, 1
	s_and_saveexec_b64 s[34:35], vcc
	s_cbranch_execz .LBB2_5137
; %bb.5132:                             ;   in Loop: Header=BB2_4719 Depth=3
	v_and_b32_e32 v7, 0x7c, v10
	v_and_b32_e32 v8, 3, v10
	v_cmp_ne_u32_e32 vcc, s95, v7
                                        ; implicit-def: $vgpr7
	s_and_saveexec_b64 s[72:73], vcc
	s_xor_b64 s[72:73], exec, s[72:73]
	s_cbranch_execz .LBB2_5134
; %bb.5133:                             ;   in Loop: Header=BB2_4719 Depth=3
	v_ffbh_u32_e32 v9, v8
	v_min_u32_e32 v9, 32, v9
	v_subrev_u32_e32 v12, 29, v9
	v_bfe_u32 v7, v10, 2, 5
	v_lshlrev_b64 v[12:13], v12, v[10:11]
	v_sub_u32_e32 v9, 30, v9
	v_and_b32_e32 v12, 3, v12
	v_cmp_eq_u32_e32 vcc, 0, v7
	v_cndmask_b32_e32 v7, v7, v9, vcc
	v_cndmask_b32_e32 v8, v8, v12, vcc
	v_bfrev_b32_e32 v12, 28
	v_lshlrev_b32_e32 v9, 24, v10
	v_lshl_add_u32 v7, v7, 23, v12
	v_and_or_b32 v7, v9, s96, v7
	v_lshl_or_b32 v7, v8, 21, v7
                                        ; implicit-def: $vgpr8
.LBB2_5134:                             ;   in Loop: Header=BB2_4719 Depth=3
	s_andn2_saveexec_b64 s[72:73], s[72:73]
; %bb.5135:                             ;   in Loop: Header=BB2_4719 Depth=3
	v_mov_b32_e32 v7, -1
	v_cmp_gt_i16_sdwa vcc, sext(v10), v7 src0_sel:BYTE_0 src1_sel:DWORD
	v_mov_b32_e32 v7, 0xc7600000
	v_mov_b32_e32 v9, 0x47600000
	v_cndmask_b32_e32 v7, v7, v9, vcc
	v_cmp_eq_u32_e32 vcc, 0, v8
	v_mov_b32_e32 v8, 0x7f800001
	v_cndmask_b32_e32 v7, v8, v7, vcc
; %bb.5136:                             ;   in Loop: Header=BB2_4719 Depth=3
	s_or_b64 exec, exec, s[72:73]
.LBB2_5137:                             ;   in Loop: Header=BB2_4719 Depth=3
	s_or_b64 exec, exec, s[34:35]
.LBB2_5138:                             ;   in Loop: Header=BB2_4719 Depth=3
	s_or_b64 exec, exec, s[30:31]
	v_max_f32_e32 v7, v7, v7
	v_max_f32_e32 v0, v0, v0
	v_min_f32_e32 v7, v0, v7
.LBB2_5139:                             ;   in Loop: Header=BB2_4719 Depth=3
	v_and_b32_sdwa v0, v7, s97 dst_sel:DWORD dst_unused:UNUSED_PAD src0_sel:BYTE_3 src1_sel:DWORD
	v_and_b32_e32 v8, 0x7f800000, v7
	v_mov_b32_e32 v9, v51
	v_and_b32_e32 v50, 0x7fffff, v7
	v_or_b32_e32 v39, 0x7b, v0
	v_cmp_ne_u64_e32 vcc, s[52:53], v[8:9]
	s_and_saveexec_b64 s[30:31], vcc
	s_xor_b64 s[34:35], exec, s[30:31]
	s_cbranch_execz .LBB2_5149
; %bb.5140:                             ;   in Loop: Header=BB2_4719 Depth=3
	v_and_b32_e32 v8, 0x7fffffff, v7
	v_mov_b32_e32 v9, v51
	v_cmp_gt_u64_e32 vcc, s[54:55], v[8:9]
	s_and_saveexec_b64 s[72:73], vcc
	s_cbranch_execz .LBB2_5148
; %bb.5141:                             ;   in Loop: Header=BB2_4719 Depth=3
	v_cmp_ne_u32_e32 vcc, 0, v7
	v_mov_b32_e32 v39, 0
	s_and_saveexec_b64 s[74:75], vcc
	s_cbranch_execz .LBB2_5147
; %bb.5142:                             ;   in Loop: Header=BB2_4719 Depth=3
	v_bfe_u32 v7, v7, 23, 8
	v_sub_u32_e32 v9, 0x71, v7
	v_cmp_gt_u32_e32 vcc, s38, v7
	v_add_u32_e32 v8, 0xffffff81, v7
	v_cndmask_b32_e32 v9, 0, v9, vcc
	v_cmp_eq_u32_e32 vcc, 0, v7
	v_mov_b32_e32 v7, 0xffffff82
	v_cndmask_b32_e32 v7, v8, v7, vcc
	v_mov_b32_e32 v8, 0x70
	v_or_b32_e32 v12, 0x800000, v50
	v_cndmask_b32_e32 v13, v9, v8, vcc
	v_cndmask_b32_e32 v50, v12, v50, vcc
	v_add_u32_e32 v8, 21, v13
	v_lshlrev_b64 v[8:9], v8, -1
	v_add_u32_e32 v12, 20, v13
	v_lshrrev_b64 v[24:25], v13, v[50:51]
	v_not_b32_e32 v9, v9
	v_not_b32_e32 v8, v8
	v_lshlrev_b64 v[14:15], v12, 1
	v_lshrrev_b32_e32 v12, 23, v24
	v_and_b32_e32 v9, 0, v9
	v_and_b32_e32 v8, v50, v8
	v_add3_u32 v13, v13, v7, v12
	v_bfe_u32 v7, v24, 21, 1
	v_add_u32_e32 v7, -1, v7
	v_cmp_eq_u64_e32 vcc, v[8:9], v[14:15]
	v_cndmask_b32_e32 v7, 0, v7, vcc
	v_add_u32_e32 v7, v7, v24
	v_and_b32_e32 v7, 0x1fffff, v7
	v_add_co_u32_e32 v8, vcc, v7, v24
	v_add_u32_e32 v12, 14, v13
	v_addc_co_u32_e32 v9, vcc, 0, v25, vcc
	v_cmp_ne_u32_e32 vcc, 0, v12
                                        ; implicit-def: $vgpr7
	s_and_saveexec_b64 s[30:31], vcc
	s_xor_b64 s[30:31], exec, s[30:31]
; %bb.5143:                             ;   in Loop: Header=BB2_4719 Depth=3
	v_add_u32_e32 v7, 15, v13
	v_cmp_lt_u64_e32 vcc, s[56:57], v[8:9]
	v_cndmask_b32_e32 v7, v12, v7, vcc
	v_cndmask_b32_e64 v12, 0, 1, vcc
	v_lshrrev_b64 v[8:9], v12, v[8:9]
; %bb.5144:                             ;   in Loop: Header=BB2_4719 Depth=3
	s_andn2_saveexec_b64 vcc, s[30:31]
; %bb.5145:                             ;   in Loop: Header=BB2_4719 Depth=3
	v_bfe_u32 v7, v8, 23, 1
; %bb.5146:                             ;   in Loop: Header=BB2_4719 Depth=3
	s_or_b64 exec, exec, vcc
	v_lshrrev_b64 v[8:9], 21, v[8:9]
	v_cmp_gt_i32_e32 vcc, 32, v7
	v_cndmask_b32_e32 v9, 0, v9, vcc
	v_cndmask_b32_e32 v8, 3, v8, vcc
	v_cmp_eq_u32_e32 vcc, 0, v7
	v_min_i32_e32 v7, 31, v7
	v_cmp_eq_u64_e64 s[30:31], 0, v[8:9]
	v_lshlrev_b32_e32 v7, 2, v7
	v_and_or_b32 v7, v8, 3, v7
	s_and_b64 vcc, vcc, s[30:31]
	v_cndmask_b32_e64 v7, v7, 0, vcc
	v_or_b32_e32 v39, v7, v0
.LBB2_5147:                             ;   in Loop: Header=BB2_4719 Depth=3
	s_or_b64 exec, exec, s[74:75]
.LBB2_5148:                             ;   in Loop: Header=BB2_4719 Depth=3
	s_or_b64 exec, exec, s[72:73]
                                        ; implicit-def: $vgpr7
.LBB2_5149:                             ;   in Loop: Header=BB2_4719 Depth=3
	s_andn2_saveexec_b64 s[30:31], s[34:35]
; %bb.5150:                             ;   in Loop: Header=BB2_4719 Depth=3
	v_or_b32_sdwa v0, v7, s39 dst_sel:DWORD dst_unused:UNUSED_PAD src0_sel:BYTE_3 src1_sel:DWORD
	v_cmp_eq_u64_e32 vcc, 0, v[50:51]
	v_cndmask_b32_e32 v39, v0, v39, vcc
; %bb.5151:                             ;   in Loop: Header=BB2_4719 Depth=3
	s_or_b64 exec, exec, s[30:31]
	v_lshrrev_b16_e32 v50, 8, v42
	v_lshrrev_b16_e32 v8, 8, v10
	v_cmp_ne_u16_e64 s[30:31], 0, v50
	s_and_b64 vcc, exec, s[70:71]
	s_cbranch_vccz .LBB2_5169
; %bb.5152:                             ;   in Loop: Header=BB2_4719 Depth=3
	v_mov_b32_e32 v7, 0
	v_mov_b32_e32 v0, 0
	s_and_saveexec_b64 s[34:35], s[30:31]
	s_cbranch_execz .LBB2_5160
; %bb.5153:                             ;   in Loop: Header=BB2_4719 Depth=3
	v_cmp_ne_u16_e32 vcc, s97, v50
	v_bfrev_b32_e32 v0, 1
	s_and_saveexec_b64 s[72:73], vcc
	s_cbranch_execz .LBB2_5159
; %bb.5154:                             ;   in Loop: Header=BB2_4719 Depth=3
	v_and_b32_e32 v0, 0x7c, v50
	v_and_b32_e32 v9, 3, v50
	v_cmp_ne_u32_e32 vcc, s95, v0
                                        ; implicit-def: $vgpr0
	s_and_saveexec_b64 s[74:75], vcc
	s_xor_b64 s[74:75], exec, s[74:75]
	s_cbranch_execz .LBB2_5156
; %bb.5155:                             ;   in Loop: Header=BB2_4719 Depth=3
	v_ffbh_u32_e32 v12, v9
	v_min_u32_e32 v14, 32, v12
	v_subrev_u32_e32 v12, 29, v14
	v_bfe_u32 v0, v50, 2, 5
	v_lshlrev_b64 v[12:13], v12, v[50:51]
	v_sub_u32_e32 v13, 30, v14
	v_cmp_eq_u32_e32 vcc, 0, v0
	v_and_b32_e32 v12, 3, v12
	v_cndmask_b32_e32 v0, v0, v13, vcc
	v_bfrev_b32_e32 v13, 28
	v_cndmask_b32_e32 v9, v9, v12, vcc
	v_lshlrev_b32_e32 v12, 16, v42
	v_lshl_add_u32 v0, v0, 23, v13
	v_and_or_b32 v0, v12, s96, v0
	v_lshl_or_b32 v0, v9, 21, v0
                                        ; implicit-def: $vgpr9
.LBB2_5156:                             ;   in Loop: Header=BB2_4719 Depth=3
	s_andn2_saveexec_b64 s[74:75], s[74:75]
; %bb.5157:                             ;   in Loop: Header=BB2_4719 Depth=3
	v_cmp_lt_i16_e32 vcc, -1, v42
	v_mov_b32_e32 v0, 0xc7600000
	v_mov_b32_e32 v12, 0x47600000
	v_cndmask_b32_e32 v0, v0, v12, vcc
	v_cmp_eq_u32_e32 vcc, 0, v9
	v_mov_b32_e32 v9, 0x7f800001
	v_cndmask_b32_e32 v0, v9, v0, vcc
; %bb.5158:                             ;   in Loop: Header=BB2_4719 Depth=3
	s_or_b64 exec, exec, s[74:75]
.LBB2_5159:                             ;   in Loop: Header=BB2_4719 Depth=3
	s_or_b64 exec, exec, s[72:73]
.LBB2_5160:                             ;   in Loop: Header=BB2_4719 Depth=3
	s_or_b64 exec, exec, s[34:35]
	v_cmp_ne_u16_e32 vcc, 0, v8
	s_and_saveexec_b64 s[34:35], vcc
	s_cbranch_execz .LBB2_5168
; %bb.5161:                             ;   in Loop: Header=BB2_4719 Depth=3
	v_cmp_ne_u16_e32 vcc, s97, v8
	v_bfrev_b32_e32 v7, 1
	s_and_saveexec_b64 s[72:73], vcc
	s_cbranch_execz .LBB2_5167
; %bb.5162:                             ;   in Loop: Header=BB2_4719 Depth=3
	v_and_b32_e32 v7, 0x7c, v8
	v_and_b32_e32 v12, 3, v8
	v_cmp_ne_u32_e32 vcc, s95, v7
                                        ; implicit-def: $vgpr7
	s_and_saveexec_b64 s[74:75], vcc
	s_xor_b64 s[74:75], exec, s[74:75]
	s_cbranch_execz .LBB2_5164
; %bb.5163:                             ;   in Loop: Header=BB2_4719 Depth=3
	v_ffbh_u32_e32 v13, v12
	v_min_u32_e32 v13, 32, v13
	v_mov_b32_e32 v9, v51
	v_subrev_u32_e32 v14, 29, v13
	v_bfe_u32 v7, v8, 2, 5
	v_lshlrev_b64 v[14:15], v14, v[8:9]
	v_sub_u32_e32 v9, 30, v13
	v_and_b32_e32 v13, 3, v14
	v_cmp_eq_u32_e32 vcc, 0, v7
	v_cndmask_b32_e32 v7, v7, v9, vcc
	v_cndmask_b32_e32 v9, v12, v13, vcc
	v_bfrev_b32_e32 v13, 28
	v_lshlrev_b32_e32 v12, 16, v10
	v_lshl_add_u32 v7, v7, 23, v13
	v_and_or_b32 v7, v12, s96, v7
	v_lshl_or_b32 v7, v9, 21, v7
                                        ; implicit-def: $vgpr12
.LBB2_5164:                             ;   in Loop: Header=BB2_4719 Depth=3
	s_andn2_saveexec_b64 s[74:75], s[74:75]
; %bb.5165:                             ;   in Loop: Header=BB2_4719 Depth=3
	v_cmp_lt_i16_e32 vcc, -1, v10
	v_mov_b32_e32 v7, 0xc7600000
	v_mov_b32_e32 v9, 0x47600000
	v_cndmask_b32_e32 v7, v7, v9, vcc
	v_cmp_eq_u32_e32 vcc, 0, v12
	v_mov_b32_e32 v9, 0x7f800001
	v_cndmask_b32_e32 v7, v9, v7, vcc
; %bb.5166:                             ;   in Loop: Header=BB2_4719 Depth=3
	s_or_b64 exec, exec, s[74:75]
.LBB2_5167:                             ;   in Loop: Header=BB2_4719 Depth=3
	s_or_b64 exec, exec, s[72:73]
.LBB2_5168:                             ;   in Loop: Header=BB2_4719 Depth=3
	s_or_b64 exec, exec, s[34:35]
	v_max_f32_e32 v7, v7, v7
	v_max_f32_e32 v0, v0, v0
	v_max_f32_e32 v9, v0, v7
	s_branch .LBB2_5187
.LBB2_5169:                             ;   in Loop: Header=BB2_4719 Depth=3
                                        ; implicit-def: $vgpr9
	s_cbranch_execz .LBB2_5187
; %bb.5170:                             ;   in Loop: Header=BB2_4719 Depth=3
	v_mov_b32_e32 v7, 0
	v_mov_b32_e32 v0, 0
	s_and_saveexec_b64 s[34:35], s[30:31]
	s_cbranch_execz .LBB2_5178
; %bb.5171:                             ;   in Loop: Header=BB2_4719 Depth=3
	v_cmp_ne_u16_e32 vcc, s97, v50
	v_bfrev_b32_e32 v0, 1
	s_and_saveexec_b64 s[30:31], vcc
	s_cbranch_execz .LBB2_5177
; %bb.5172:                             ;   in Loop: Header=BB2_4719 Depth=3
	v_and_b32_e32 v0, 0x7c, v50
	v_and_b32_e32 v9, 3, v50
	v_cmp_ne_u32_e32 vcc, s95, v0
                                        ; implicit-def: $vgpr0
	s_and_saveexec_b64 s[72:73], vcc
	s_xor_b64 s[72:73], exec, s[72:73]
	s_cbranch_execz .LBB2_5174
; %bb.5173:                             ;   in Loop: Header=BB2_4719 Depth=3
	v_ffbh_u32_e32 v12, v9
	v_min_u32_e32 v14, 32, v12
	v_subrev_u32_e32 v12, 29, v14
	v_bfe_u32 v0, v50, 2, 5
	v_lshlrev_b64 v[12:13], v12, v[50:51]
	v_sub_u32_e32 v13, 30, v14
	v_cmp_eq_u32_e32 vcc, 0, v0
	v_and_b32_e32 v12, 3, v12
	v_cndmask_b32_e32 v0, v0, v13, vcc
	v_bfrev_b32_e32 v13, 28
	v_cndmask_b32_e32 v9, v9, v12, vcc
	v_lshlrev_b32_e32 v12, 16, v42
	v_lshl_add_u32 v0, v0, 23, v13
	v_and_or_b32 v0, v12, s96, v0
	v_lshl_or_b32 v0, v9, 21, v0
                                        ; implicit-def: $vgpr9
.LBB2_5174:                             ;   in Loop: Header=BB2_4719 Depth=3
	s_andn2_saveexec_b64 s[72:73], s[72:73]
; %bb.5175:                             ;   in Loop: Header=BB2_4719 Depth=3
	v_cmp_lt_i16_e32 vcc, -1, v42
	v_mov_b32_e32 v0, 0xc7600000
	v_mov_b32_e32 v12, 0x47600000
	v_cndmask_b32_e32 v0, v0, v12, vcc
	v_cmp_eq_u32_e32 vcc, 0, v9
	v_mov_b32_e32 v9, 0x7f800001
	v_cndmask_b32_e32 v0, v9, v0, vcc
; %bb.5176:                             ;   in Loop: Header=BB2_4719 Depth=3
	s_or_b64 exec, exec, s[72:73]
.LBB2_5177:                             ;   in Loop: Header=BB2_4719 Depth=3
	s_or_b64 exec, exec, s[30:31]
.LBB2_5178:                             ;   in Loop: Header=BB2_4719 Depth=3
	s_or_b64 exec, exec, s[34:35]
	v_cmp_ne_u16_e32 vcc, 0, v8
	s_and_saveexec_b64 s[30:31], vcc
	s_cbranch_execz .LBB2_5186
; %bb.5179:                             ;   in Loop: Header=BB2_4719 Depth=3
	v_cmp_ne_u16_e32 vcc, s97, v8
	v_bfrev_b32_e32 v7, 1
	s_and_saveexec_b64 s[34:35], vcc
	s_cbranch_execz .LBB2_5185
; %bb.5180:                             ;   in Loop: Header=BB2_4719 Depth=3
	v_and_b32_e32 v7, 0x7c, v8
	v_and_b32_e32 v12, 3, v8
	v_cmp_ne_u32_e32 vcc, s95, v7
                                        ; implicit-def: $vgpr7
	s_and_saveexec_b64 s[72:73], vcc
	s_xor_b64 s[72:73], exec, s[72:73]
	s_cbranch_execz .LBB2_5182
; %bb.5181:                             ;   in Loop: Header=BB2_4719 Depth=3
	v_ffbh_u32_e32 v13, v12
	v_min_u32_e32 v13, 32, v13
	v_mov_b32_e32 v9, v51
	v_subrev_u32_e32 v14, 29, v13
	v_bfe_u32 v7, v8, 2, 5
	v_lshlrev_b64 v[8:9], v14, v[8:9]
	v_sub_u32_e32 v9, 30, v13
	v_and_b32_e32 v8, 3, v8
	v_cmp_eq_u32_e32 vcc, 0, v7
	v_cndmask_b32_e32 v7, v7, v9, vcc
	v_cndmask_b32_e32 v8, v12, v8, vcc
	v_bfrev_b32_e32 v12, 28
	v_lshlrev_b32_e32 v9, 16, v10
	v_lshl_add_u32 v7, v7, 23, v12
	v_and_or_b32 v7, v9, s96, v7
	v_lshl_or_b32 v7, v8, 21, v7
                                        ; implicit-def: $vgpr12
.LBB2_5182:                             ;   in Loop: Header=BB2_4719 Depth=3
	s_andn2_saveexec_b64 s[72:73], s[72:73]
; %bb.5183:                             ;   in Loop: Header=BB2_4719 Depth=3
	v_cmp_lt_i16_e32 vcc, -1, v10
	v_mov_b32_e32 v7, 0xc7600000
	v_mov_b32_e32 v8, 0x47600000
	v_cndmask_b32_e32 v7, v7, v8, vcc
	v_cmp_eq_u32_e32 vcc, 0, v12
	v_mov_b32_e32 v8, 0x7f800001
	v_cndmask_b32_e32 v7, v8, v7, vcc
; %bb.5184:                             ;   in Loop: Header=BB2_4719 Depth=3
	s_or_b64 exec, exec, s[72:73]
.LBB2_5185:                             ;   in Loop: Header=BB2_4719 Depth=3
	s_or_b64 exec, exec, s[34:35]
.LBB2_5186:                             ;   in Loop: Header=BB2_4719 Depth=3
	s_or_b64 exec, exec, s[30:31]
	v_max_f32_e32 v7, v7, v7
	v_max_f32_e32 v0, v0, v0
	v_min_f32_e32 v9, v0, v7
.LBB2_5187:                             ;   in Loop: Header=BB2_4719 Depth=3
	v_and_b32_sdwa v0, v9, s97 dst_sel:DWORD dst_unused:UNUSED_PAD src0_sel:BYTE_3 src1_sel:DWORD
	v_and_b32_e32 v12, 0x7f800000, v9
	v_mov_b32_e32 v13, v51
	v_and_b32_e32 v50, 0x7fffff, v9
	v_or_b32_e32 v7, 0x7b, v0
	v_cmp_ne_u64_e32 vcc, s[52:53], v[12:13]
	s_and_saveexec_b64 s[30:31], vcc
	s_xor_b64 s[34:35], exec, s[30:31]
	s_cbranch_execz .LBB2_5197
; %bb.5188:                             ;   in Loop: Header=BB2_4719 Depth=3
	v_and_b32_e32 v12, 0x7fffffff, v9
	v_mov_b32_e32 v13, v51
	v_cmp_gt_u64_e32 vcc, s[54:55], v[12:13]
	s_and_saveexec_b64 s[72:73], vcc
	s_cbranch_execz .LBB2_5196
; %bb.5189:                             ;   in Loop: Header=BB2_4719 Depth=3
	v_cmp_ne_u32_e32 vcc, 0, v9
	v_mov_b32_e32 v7, 0
	s_and_saveexec_b64 s[74:75], vcc
	s_cbranch_execz .LBB2_5195
; %bb.5190:                             ;   in Loop: Header=BB2_4719 Depth=3
	v_bfe_u32 v7, v9, 23, 8
	v_sub_u32_e32 v9, 0x71, v7
	v_cmp_gt_u32_e32 vcc, s38, v7
	v_add_u32_e32 v8, 0xffffff81, v7
	v_cndmask_b32_e32 v9, 0, v9, vcc
	v_cmp_eq_u32_e32 vcc, 0, v7
	v_mov_b32_e32 v7, 0xffffff82
	v_cndmask_b32_e32 v7, v8, v7, vcc
	v_mov_b32_e32 v8, 0x70
	v_or_b32_e32 v12, 0x800000, v50
	v_cndmask_b32_e32 v13, v9, v8, vcc
	v_cndmask_b32_e32 v50, v12, v50, vcc
	v_add_u32_e32 v8, 21, v13
	v_lshlrev_b64 v[8:9], v8, -1
	v_add_u32_e32 v12, 20, v13
	v_lshrrev_b64 v[24:25], v13, v[50:51]
	v_not_b32_e32 v9, v9
	v_not_b32_e32 v8, v8
	v_lshlrev_b64 v[14:15], v12, 1
	v_lshrrev_b32_e32 v12, 23, v24
	v_and_b32_e32 v9, 0, v9
	v_and_b32_e32 v8, v50, v8
	v_add3_u32 v13, v13, v7, v12
	v_bfe_u32 v7, v24, 21, 1
	v_add_u32_e32 v7, -1, v7
	v_cmp_eq_u64_e32 vcc, v[8:9], v[14:15]
	v_cndmask_b32_e32 v7, 0, v7, vcc
	v_add_u32_e32 v7, v7, v24
	v_and_b32_e32 v7, 0x1fffff, v7
	v_add_co_u32_e32 v8, vcc, v7, v24
	v_add_u32_e32 v12, 14, v13
	v_addc_co_u32_e32 v9, vcc, 0, v25, vcc
	v_cmp_ne_u32_e32 vcc, 0, v12
                                        ; implicit-def: $vgpr7
	s_and_saveexec_b64 s[30:31], vcc
	s_xor_b64 s[30:31], exec, s[30:31]
; %bb.5191:                             ;   in Loop: Header=BB2_4719 Depth=3
	v_add_u32_e32 v7, 15, v13
	v_cmp_lt_u64_e32 vcc, s[56:57], v[8:9]
	v_cndmask_b32_e32 v7, v12, v7, vcc
	v_cndmask_b32_e64 v12, 0, 1, vcc
	v_lshrrev_b64 v[8:9], v12, v[8:9]
; %bb.5192:                             ;   in Loop: Header=BB2_4719 Depth=3
	s_andn2_saveexec_b64 vcc, s[30:31]
; %bb.5193:                             ;   in Loop: Header=BB2_4719 Depth=3
	v_bfe_u32 v7, v8, 23, 1
; %bb.5194:                             ;   in Loop: Header=BB2_4719 Depth=3
	s_or_b64 exec, exec, vcc
	v_lshrrev_b64 v[8:9], 21, v[8:9]
	v_cmp_gt_i32_e32 vcc, 32, v7
	v_cndmask_b32_e32 v9, 0, v9, vcc
	v_cndmask_b32_e32 v8, 3, v8, vcc
	v_cmp_eq_u32_e32 vcc, 0, v7
	v_min_i32_e32 v7, 31, v7
	v_cmp_eq_u64_e64 s[30:31], 0, v[8:9]
	v_lshlrev_b32_e32 v7, 2, v7
	v_and_or_b32 v7, v8, 3, v7
	s_and_b64 vcc, vcc, s[30:31]
	v_cndmask_b32_e64 v7, v7, 0, vcc
	v_or_b32_e32 v7, v7, v0
.LBB2_5195:                             ;   in Loop: Header=BB2_4719 Depth=3
	s_or_b64 exec, exec, s[74:75]
.LBB2_5196:                             ;   in Loop: Header=BB2_4719 Depth=3
	s_or_b64 exec, exec, s[72:73]
                                        ; implicit-def: $vgpr9
.LBB2_5197:                             ;   in Loop: Header=BB2_4719 Depth=3
	s_andn2_saveexec_b64 s[30:31], s[34:35]
; %bb.5198:                             ;   in Loop: Header=BB2_4719 Depth=3
	v_or_b32_sdwa v0, v9, s39 dst_sel:DWORD dst_unused:UNUSED_PAD src0_sel:BYTE_3 src1_sel:DWORD
	v_cmp_eq_u64_e32 vcc, 0, v[50:51]
	v_cndmask_b32_e32 v7, v0, v7, vcc
; %bb.5199:                             ;   in Loop: Header=BB2_4719 Depth=3
	s_or_b64 exec, exec, s[30:31]
	v_lshrrev_b32_e32 v12, 16, v42
	v_lshrrev_b32_e32 v8, 16, v10
	v_cmp_ne_u16_sdwa s[30:31], v12, v51 src0_sel:BYTE_0 src1_sel:DWORD
	s_and_b64 vcc, exec, s[70:71]
	s_cbranch_vccz .LBB2_5217
; %bb.5200:                             ;   in Loop: Header=BB2_4719 Depth=3
	v_mov_b32_e32 v9, 0
	v_mov_b32_e32 v0, 0
	s_and_saveexec_b64 s[34:35], s[30:31]
	s_cbranch_execz .LBB2_5208
; %bb.5201:                             ;   in Loop: Header=BB2_4719 Depth=3
	v_cmp_ne_u16_sdwa vcc, v12, s97 src0_sel:BYTE_0 src1_sel:DWORD
	v_bfrev_b32_e32 v0, 1
	s_and_saveexec_b64 s[72:73], vcc
	s_cbranch_execz .LBB2_5207
; %bb.5202:                             ;   in Loop: Header=BB2_4719 Depth=3
	v_and_b32_e32 v0, 0x7c0000, v42
	v_bfe_u32 v13, v42, 16, 2
	v_cmp_ne_u32_e32 vcc, s36, v0
                                        ; implicit-def: $vgpr0
	s_and_saveexec_b64 s[74:75], vcc
	s_xor_b64 s[74:75], exec, s[74:75]
	s_cbranch_execz .LBB2_5204
; %bb.5203:                             ;   in Loop: Header=BB2_4719 Depth=3
	v_ffbh_u32_e32 v14, v13
	v_min_u32_e32 v24, 32, v14
	v_subrev_u32_e32 v14, 29, v24
	v_bfe_u32 v0, v42, 18, 5
	v_lshlrev_b64 v[14:15], v14, v[12:13]
	v_sub_u32_e32 v15, 30, v24
	v_cmp_eq_u32_e32 vcc, 0, v0
	v_and_b32_e32 v14, 3, v14
	v_cndmask_b32_e32 v0, v0, v15, vcc
	v_bfrev_b32_e32 v15, 28
	v_cndmask_b32_e32 v13, v13, v14, vcc
	v_lshlrev_b32_e32 v14, 24, v12
	v_lshl_add_u32 v0, v0, 23, v15
	v_and_or_b32 v0, v14, s96, v0
	v_lshl_or_b32 v0, v13, 21, v0
                                        ; implicit-def: $vgpr13
.LBB2_5204:                             ;   in Loop: Header=BB2_4719 Depth=3
	s_andn2_saveexec_b64 s[74:75], s[74:75]
; %bb.5205:                             ;   in Loop: Header=BB2_4719 Depth=3
	v_mov_b32_e32 v0, -1
	v_cmp_gt_i16_sdwa vcc, sext(v12), v0 src0_sel:BYTE_0 src1_sel:DWORD
	v_mov_b32_e32 v0, 0xc7600000
	v_mov_b32_e32 v14, 0x47600000
	v_cndmask_b32_e32 v0, v0, v14, vcc
	v_cmp_eq_u32_e32 vcc, 0, v13
	v_mov_b32_e32 v13, 0x7f800001
	v_cndmask_b32_e32 v0, v13, v0, vcc
; %bb.5206:                             ;   in Loop: Header=BB2_4719 Depth=3
	s_or_b64 exec, exec, s[74:75]
.LBB2_5207:                             ;   in Loop: Header=BB2_4719 Depth=3
	s_or_b64 exec, exec, s[72:73]
.LBB2_5208:                             ;   in Loop: Header=BB2_4719 Depth=3
	s_or_b64 exec, exec, s[34:35]
	v_cmp_ne_u16_sdwa vcc, v8, v51 src0_sel:BYTE_0 src1_sel:DWORD
	s_and_saveexec_b64 s[34:35], vcc
	s_cbranch_execz .LBB2_5216
; %bb.5209:                             ;   in Loop: Header=BB2_4719 Depth=3
	v_cmp_ne_u16_sdwa vcc, v8, s97 src0_sel:BYTE_0 src1_sel:DWORD
	v_bfrev_b32_e32 v9, 1
	s_and_saveexec_b64 s[72:73], vcc
	s_cbranch_execz .LBB2_5215
; %bb.5210:                             ;   in Loop: Header=BB2_4719 Depth=3
	v_and_b32_e32 v9, 0x7c0000, v10
	v_bfe_u32 v13, v10, 16, 2
	v_cmp_ne_u32_e32 vcc, s36, v9
                                        ; implicit-def: $vgpr9
	s_and_saveexec_b64 s[74:75], vcc
	s_xor_b64 s[74:75], exec, s[74:75]
	s_cbranch_execz .LBB2_5212
; %bb.5211:                             ;   in Loop: Header=BB2_4719 Depth=3
	v_ffbh_u32_e32 v14, v13
	v_min_u32_e32 v24, 32, v14
	v_bfe_u32 v9, v10, 18, 5
	v_subrev_u32_e32 v14, 29, v24
	v_lshlrev_b64 v[14:15], v14, v[8:9]
	v_sub_u32_e32 v15, 30, v24
	v_cmp_eq_u32_e32 vcc, 0, v9
	v_and_b32_e32 v14, 3, v14
	v_cndmask_b32_e32 v9, v9, v15, vcc
	v_bfrev_b32_e32 v15, 28
	v_cndmask_b32_e32 v13, v13, v14, vcc
	v_lshlrev_b32_e32 v14, 24, v8
	v_lshl_add_u32 v9, v9, 23, v15
	v_and_or_b32 v9, v14, s96, v9
	v_lshl_or_b32 v9, v13, 21, v9
                                        ; implicit-def: $vgpr13
.LBB2_5212:                             ;   in Loop: Header=BB2_4719 Depth=3
	s_andn2_saveexec_b64 s[74:75], s[74:75]
; %bb.5213:                             ;   in Loop: Header=BB2_4719 Depth=3
	v_mov_b32_e32 v9, -1
	v_cmp_gt_i16_sdwa vcc, sext(v8), v9 src0_sel:BYTE_0 src1_sel:DWORD
	v_mov_b32_e32 v9, 0xc7600000
	v_mov_b32_e32 v14, 0x47600000
	v_cndmask_b32_e32 v9, v9, v14, vcc
	v_cmp_eq_u32_e32 vcc, 0, v13
	v_mov_b32_e32 v13, 0x7f800001
	v_cndmask_b32_e32 v9, v13, v9, vcc
; %bb.5214:                             ;   in Loop: Header=BB2_4719 Depth=3
	s_or_b64 exec, exec, s[74:75]
.LBB2_5215:                             ;   in Loop: Header=BB2_4719 Depth=3
	s_or_b64 exec, exec, s[72:73]
.LBB2_5216:                             ;   in Loop: Header=BB2_4719 Depth=3
	s_or_b64 exec, exec, s[34:35]
	v_max_f32_e32 v9, v9, v9
	v_max_f32_e32 v0, v0, v0
	;; [unrolled: 1-line block ×3, first 2 shown]
	s_branch .LBB2_5235
.LBB2_5217:                             ;   in Loop: Header=BB2_4719 Depth=3
                                        ; implicit-def: $vgpr9
	s_cbranch_execz .LBB2_5235
; %bb.5218:                             ;   in Loop: Header=BB2_4719 Depth=3
	v_mov_b32_e32 v9, 0
	v_mov_b32_e32 v0, 0
	s_and_saveexec_b64 s[34:35], s[30:31]
	s_cbranch_execz .LBB2_5226
; %bb.5219:                             ;   in Loop: Header=BB2_4719 Depth=3
	v_cmp_ne_u16_sdwa vcc, v12, s97 src0_sel:BYTE_0 src1_sel:DWORD
	v_bfrev_b32_e32 v0, 1
	s_and_saveexec_b64 s[30:31], vcc
	s_cbranch_execz .LBB2_5225
; %bb.5220:                             ;   in Loop: Header=BB2_4719 Depth=3
	v_and_b32_e32 v0, 0x7c0000, v42
	v_bfe_u32 v13, v42, 16, 2
	v_cmp_ne_u32_e32 vcc, s36, v0
                                        ; implicit-def: $vgpr0
	s_and_saveexec_b64 s[72:73], vcc
	s_xor_b64 s[72:73], exec, s[72:73]
	s_cbranch_execz .LBB2_5222
; %bb.5221:                             ;   in Loop: Header=BB2_4719 Depth=3
	v_ffbh_u32_e32 v14, v13
	v_min_u32_e32 v24, 32, v14
	v_subrev_u32_e32 v14, 29, v24
	v_bfe_u32 v0, v42, 18, 5
	v_lshlrev_b64 v[14:15], v14, v[12:13]
	v_sub_u32_e32 v15, 30, v24
	v_and_b32_e32 v14, 3, v14
	v_cmp_eq_u32_e32 vcc, 0, v0
	v_cndmask_b32_e32 v0, v0, v15, vcc
	v_cndmask_b32_e32 v13, v13, v14, vcc
	v_bfrev_b32_e32 v14, 28
	v_lshlrev_b32_e32 v12, 24, v12
	v_lshl_add_u32 v0, v0, 23, v14
	v_and_or_b32 v0, v12, s96, v0
	v_lshl_or_b32 v0, v13, 21, v0
                                        ; implicit-def: $vgpr13
                                        ; implicit-def: $vgpr12
.LBB2_5222:                             ;   in Loop: Header=BB2_4719 Depth=3
	s_andn2_saveexec_b64 s[72:73], s[72:73]
; %bb.5223:                             ;   in Loop: Header=BB2_4719 Depth=3
	v_mov_b32_e32 v0, -1
	v_cmp_gt_i16_sdwa vcc, sext(v12), v0 src0_sel:BYTE_0 src1_sel:DWORD
	v_mov_b32_e32 v0, 0xc7600000
	v_mov_b32_e32 v12, 0x47600000
	v_cndmask_b32_e32 v0, v0, v12, vcc
	v_cmp_eq_u32_e32 vcc, 0, v13
	v_mov_b32_e32 v12, 0x7f800001
	v_cndmask_b32_e32 v0, v12, v0, vcc
; %bb.5224:                             ;   in Loop: Header=BB2_4719 Depth=3
	s_or_b64 exec, exec, s[72:73]
.LBB2_5225:                             ;   in Loop: Header=BB2_4719 Depth=3
	s_or_b64 exec, exec, s[30:31]
.LBB2_5226:                             ;   in Loop: Header=BB2_4719 Depth=3
	s_or_b64 exec, exec, s[34:35]
	v_cmp_ne_u16_sdwa vcc, v8, v51 src0_sel:BYTE_0 src1_sel:DWORD
	s_and_saveexec_b64 s[30:31], vcc
	s_cbranch_execz .LBB2_5234
; %bb.5227:                             ;   in Loop: Header=BB2_4719 Depth=3
	v_cmp_ne_u16_sdwa vcc, v8, s97 src0_sel:BYTE_0 src1_sel:DWORD
	v_bfrev_b32_e32 v9, 1
	s_and_saveexec_b64 s[34:35], vcc
	s_cbranch_execz .LBB2_5233
; %bb.5228:                             ;   in Loop: Header=BB2_4719 Depth=3
	v_and_b32_e32 v9, 0x7c0000, v10
	v_bfe_u32 v12, v10, 16, 2
	v_cmp_ne_u32_e32 vcc, s36, v9
                                        ; implicit-def: $vgpr9
	s_and_saveexec_b64 s[72:73], vcc
	s_xor_b64 s[72:73], exec, s[72:73]
	s_cbranch_execz .LBB2_5230
; %bb.5229:                             ;   in Loop: Header=BB2_4719 Depth=3
	v_ffbh_u32_e32 v13, v12
	v_bfe_u32 v9, v10, 18, 5
	v_min_u32_e32 v13, 32, v13
	v_subrev_u32_e32 v14, 29, v13
	v_sub_u32_e32 v13, 30, v13
	v_cmp_eq_u32_e32 vcc, 0, v9
	v_lshlrev_b64 v[14:15], v14, v[8:9]
	v_cndmask_b32_e32 v9, v9, v13, vcc
	v_bfrev_b32_e32 v13, 28
	v_and_b32_e32 v14, 3, v14
	v_lshlrev_b32_e32 v8, 24, v8
	v_lshl_add_u32 v9, v9, 23, v13
	v_cndmask_b32_e32 v12, v12, v14, vcc
	v_and_or_b32 v8, v8, s96, v9
	v_lshl_or_b32 v9, v12, 21, v8
                                        ; implicit-def: $vgpr12
                                        ; implicit-def: $vgpr8
.LBB2_5230:                             ;   in Loop: Header=BB2_4719 Depth=3
	s_andn2_saveexec_b64 s[72:73], s[72:73]
; %bb.5231:                             ;   in Loop: Header=BB2_4719 Depth=3
	v_mov_b32_e32 v9, -1
	v_cmp_gt_i16_sdwa vcc, sext(v8), v9 src0_sel:BYTE_0 src1_sel:DWORD
	v_mov_b32_e32 v8, 0xc7600000
	v_mov_b32_e32 v9, 0x47600000
	v_cndmask_b32_e32 v8, v8, v9, vcc
	v_cmp_eq_u32_e32 vcc, 0, v12
	v_mov_b32_e32 v9, 0x7f800001
	v_cndmask_b32_e32 v9, v9, v8, vcc
; %bb.5232:                             ;   in Loop: Header=BB2_4719 Depth=3
	s_or_b64 exec, exec, s[72:73]
.LBB2_5233:                             ;   in Loop: Header=BB2_4719 Depth=3
	s_or_b64 exec, exec, s[34:35]
.LBB2_5234:                             ;   in Loop: Header=BB2_4719 Depth=3
	s_or_b64 exec, exec, s[30:31]
	v_max_f32_e32 v8, v9, v9
	v_max_f32_e32 v0, v0, v0
	v_min_f32_e32 v9, v0, v8
.LBB2_5235:                             ;   in Loop: Header=BB2_4719 Depth=3
	v_and_b32_sdwa v0, v9, s97 dst_sel:DWORD dst_unused:UNUSED_PAD src0_sel:BYTE_3 src1_sel:DWORD
	v_and_b32_e32 v12, 0x7f800000, v9
	v_mov_b32_e32 v13, v51
	v_and_b32_e32 v50, 0x7fffff, v9
	v_or_b32_e32 v30, 0x7b, v0
	v_cmp_ne_u64_e32 vcc, s[52:53], v[12:13]
	s_and_saveexec_b64 s[30:31], vcc
	s_xor_b64 s[34:35], exec, s[30:31]
	s_cbranch_execz .LBB2_5245
; %bb.5236:                             ;   in Loop: Header=BB2_4719 Depth=3
	v_and_b32_e32 v12, 0x7fffffff, v9
	v_mov_b32_e32 v13, v51
	v_cmp_gt_u64_e32 vcc, s[54:55], v[12:13]
	s_and_saveexec_b64 s[72:73], vcc
	s_cbranch_execz .LBB2_5244
; %bb.5237:                             ;   in Loop: Header=BB2_4719 Depth=3
	v_cmp_ne_u32_e32 vcc, 0, v9
	v_mov_b32_e32 v30, 0
	s_and_saveexec_b64 s[74:75], vcc
	s_cbranch_execz .LBB2_5243
; %bb.5238:                             ;   in Loop: Header=BB2_4719 Depth=3
	v_bfe_u32 v8, v9, 23, 8
	v_sub_u32_e32 v12, 0x71, v8
	v_cmp_gt_u32_e32 vcc, s38, v8
	v_add_u32_e32 v9, 0xffffff81, v8
	v_cndmask_b32_e32 v12, 0, v12, vcc
	v_cmp_eq_u32_e32 vcc, 0, v8
	v_mov_b32_e32 v8, 0xffffff82
	v_cndmask_b32_e32 v14, v9, v8, vcc
	v_mov_b32_e32 v8, 0x70
	v_or_b32_e32 v13, 0x800000, v50
	v_cndmask_b32_e32 v12, v12, v8, vcc
	v_cndmask_b32_e32 v50, v13, v50, vcc
	v_add_u32_e32 v8, 21, v12
	v_lshlrev_b64 v[8:9], v8, -1
	v_add_u32_e32 v13, 20, v12
	v_lshrrev_b64 v[52:53], v12, v[50:51]
	v_not_b32_e32 v9, v9
	v_not_b32_e32 v8, v8
	v_lshlrev_b64 v[24:25], v13, 1
	v_lshrrev_b32_e32 v13, 23, v52
	v_and_b32_e32 v9, 0, v9
	v_and_b32_e32 v8, v50, v8
	v_add3_u32 v14, v12, v14, v13
	v_bfe_u32 v12, v52, 21, 1
	v_add_u32_e32 v12, -1, v12
	v_cmp_eq_u64_e32 vcc, v[8:9], v[24:25]
	v_cndmask_b32_e32 v8, 0, v12, vcc
	v_add_u32_e32 v8, v8, v52
	v_and_b32_e32 v8, 0x1fffff, v8
	v_add_co_u32_e32 v8, vcc, v8, v52
	v_add_u32_e32 v13, 14, v14
	v_addc_co_u32_e32 v9, vcc, 0, v53, vcc
	v_cmp_ne_u32_e32 vcc, 0, v13
                                        ; implicit-def: $vgpr12
	s_and_saveexec_b64 s[30:31], vcc
	s_xor_b64 s[30:31], exec, s[30:31]
; %bb.5239:                             ;   in Loop: Header=BB2_4719 Depth=3
	v_add_u32_e32 v12, 15, v14
	v_cmp_lt_u64_e32 vcc, s[56:57], v[8:9]
	v_cndmask_b32_e32 v12, v13, v12, vcc
	v_cndmask_b32_e64 v13, 0, 1, vcc
	v_lshrrev_b64 v[8:9], v13, v[8:9]
; %bb.5240:                             ;   in Loop: Header=BB2_4719 Depth=3
	s_andn2_saveexec_b64 vcc, s[30:31]
; %bb.5241:                             ;   in Loop: Header=BB2_4719 Depth=3
	v_bfe_u32 v12, v8, 23, 1
; %bb.5242:                             ;   in Loop: Header=BB2_4719 Depth=3
	s_or_b64 exec, exec, vcc
	v_lshrrev_b64 v[8:9], 21, v[8:9]
	v_cmp_gt_i32_e32 vcc, 32, v12
	v_cndmask_b32_e32 v9, 0, v9, vcc
	v_cndmask_b32_e32 v8, 3, v8, vcc
	v_cmp_eq_u64_e64 s[30:31], 0, v[8:9]
	v_min_i32_e32 v9, 31, v12
	v_cmp_eq_u32_e32 vcc, 0, v12
	v_lshlrev_b32_e32 v9, 2, v9
	v_and_or_b32 v8, v8, 3, v9
	s_and_b64 vcc, vcc, s[30:31]
	v_cndmask_b32_e64 v8, v8, 0, vcc
	v_or_b32_e32 v30, v8, v0
.LBB2_5243:                             ;   in Loop: Header=BB2_4719 Depth=3
	s_or_b64 exec, exec, s[74:75]
.LBB2_5244:                             ;   in Loop: Header=BB2_4719 Depth=3
	s_or_b64 exec, exec, s[72:73]
                                        ; implicit-def: $vgpr9
.LBB2_5245:                             ;   in Loop: Header=BB2_4719 Depth=3
	s_andn2_saveexec_b64 s[30:31], s[34:35]
; %bb.5246:                             ;   in Loop: Header=BB2_4719 Depth=3
	v_or_b32_sdwa v0, v9, s39 dst_sel:DWORD dst_unused:UNUSED_PAD src0_sel:BYTE_3 src1_sel:DWORD
	v_cmp_eq_u64_e32 vcc, 0, v[50:51]
	v_cndmask_b32_e32 v30, v0, v30, vcc
; %bb.5247:                             ;   in Loop: Header=BB2_4719 Depth=3
	s_or_b64 exec, exec, s[30:31]
	v_lshrrev_b32_e32 v12, 24, v42
	v_lshrrev_b32_e32 v8, 24, v10
	v_cmp_lt_u32_e64 s[30:31], s43, v42
	s_and_b64 vcc, exec, s[70:71]
	s_cbranch_vccz .LBB2_5265
; %bb.5248:                             ;   in Loop: Header=BB2_4719 Depth=3
	v_mov_b32_e32 v9, 0
	v_mov_b32_e32 v0, 0
	s_and_saveexec_b64 s[34:35], s[30:31]
	s_cbranch_execz .LBB2_5256
; %bb.5249:                             ;   in Loop: Header=BB2_4719 Depth=3
	v_cmp_ne_u32_e32 vcc, s97, v12
	v_bfrev_b32_e32 v0, 1
	s_and_saveexec_b64 s[72:73], vcc
	s_cbranch_execz .LBB2_5255
; %bb.5250:                             ;   in Loop: Header=BB2_4719 Depth=3
	v_and_b32_e32 v0, 0x7c000000, v42
	v_bfe_u32 v13, v42, 24, 2
	v_cmp_ne_u32_e32 vcc, s37, v0
                                        ; implicit-def: $vgpr0
	s_and_saveexec_b64 s[74:75], vcc
	s_xor_b64 s[74:75], exec, s[74:75]
	s_cbranch_execz .LBB2_5252
; %bb.5251:                             ;   in Loop: Header=BB2_4719 Depth=3
	v_ffbh_u32_e32 v14, v13
	v_min_u32_e32 v24, 32, v14
	v_subrev_u32_e32 v14, 29, v24
	v_bfe_u32 v0, v42, 26, 5
	v_lshlrev_b64 v[14:15], v14, v[12:13]
	v_sub_u32_e32 v15, 30, v24
	v_and_b32_e32 v14, 3, v14
	v_cmp_eq_u32_e32 vcc, 0, v0
	v_cndmask_b32_e32 v0, v0, v15, vcc
	v_cndmask_b32_e32 v13, v13, v14, vcc
	v_bfrev_b32_e32 v14, 28
	v_lshl_add_u32 v0, v0, 23, v14
	v_and_or_b32 v0, v42, s96, v0
	v_lshl_or_b32 v0, v13, 21, v0
                                        ; implicit-def: $vgpr13
.LBB2_5252:                             ;   in Loop: Header=BB2_4719 Depth=3
	s_andn2_saveexec_b64 s[74:75], s[74:75]
; %bb.5253:                             ;   in Loop: Header=BB2_4719 Depth=3
	v_cmp_lt_i32_e32 vcc, -1, v42
	v_mov_b32_e32 v0, 0xc7600000
	v_mov_b32_e32 v14, 0x47600000
	v_cndmask_b32_e32 v0, v0, v14, vcc
	v_cmp_eq_u32_e32 vcc, 0, v13
	v_mov_b32_e32 v13, 0x7f800001
	v_cndmask_b32_e32 v0, v13, v0, vcc
; %bb.5254:                             ;   in Loop: Header=BB2_4719 Depth=3
	s_or_b64 exec, exec, s[74:75]
.LBB2_5255:                             ;   in Loop: Header=BB2_4719 Depth=3
	s_or_b64 exec, exec, s[72:73]
.LBB2_5256:                             ;   in Loop: Header=BB2_4719 Depth=3
	s_or_b64 exec, exec, s[34:35]
	v_cmp_lt_u32_e32 vcc, s43, v10
	s_and_saveexec_b64 s[34:35], vcc
	s_cbranch_execz .LBB2_5264
; %bb.5257:                             ;   in Loop: Header=BB2_4719 Depth=3
	v_cmp_ne_u32_e32 vcc, s97, v8
	v_bfrev_b32_e32 v9, 1
	s_and_saveexec_b64 s[72:73], vcc
	s_cbranch_execz .LBB2_5263
; %bb.5258:                             ;   in Loop: Header=BB2_4719 Depth=3
	v_and_b32_e32 v9, 0x7c000000, v10
	v_bfe_u32 v13, v10, 24, 2
	v_cmp_ne_u32_e32 vcc, s37, v9
                                        ; implicit-def: $vgpr9
	s_and_saveexec_b64 s[74:75], vcc
	s_xor_b64 s[74:75], exec, s[74:75]
	s_cbranch_execz .LBB2_5260
; %bb.5259:                             ;   in Loop: Header=BB2_4719 Depth=3
	v_ffbh_u32_e32 v14, v13
	v_min_u32_e32 v24, 32, v14
	v_bfe_u32 v9, v10, 26, 5
	v_subrev_u32_e32 v14, 29, v24
	v_lshlrev_b64 v[14:15], v14, v[8:9]
	v_sub_u32_e32 v15, 30, v24
	v_and_b32_e32 v14, 3, v14
	v_cmp_eq_u32_e32 vcc, 0, v9
	v_cndmask_b32_e32 v9, v9, v15, vcc
	v_cndmask_b32_e32 v13, v13, v14, vcc
	v_bfrev_b32_e32 v14, 28
	v_lshl_add_u32 v9, v9, 23, v14
	v_and_or_b32 v9, v10, s96, v9
	v_lshl_or_b32 v9, v13, 21, v9
                                        ; implicit-def: $vgpr13
.LBB2_5260:                             ;   in Loop: Header=BB2_4719 Depth=3
	s_andn2_saveexec_b64 s[74:75], s[74:75]
; %bb.5261:                             ;   in Loop: Header=BB2_4719 Depth=3
	v_cmp_lt_i32_e32 vcc, -1, v10
	v_mov_b32_e32 v9, 0xc7600000
	v_mov_b32_e32 v14, 0x47600000
	v_cndmask_b32_e32 v9, v9, v14, vcc
	v_cmp_eq_u32_e32 vcc, 0, v13
	v_mov_b32_e32 v13, 0x7f800001
	v_cndmask_b32_e32 v9, v13, v9, vcc
; %bb.5262:                             ;   in Loop: Header=BB2_4719 Depth=3
	s_or_b64 exec, exec, s[74:75]
.LBB2_5263:                             ;   in Loop: Header=BB2_4719 Depth=3
	s_or_b64 exec, exec, s[72:73]
.LBB2_5264:                             ;   in Loop: Header=BB2_4719 Depth=3
	s_or_b64 exec, exec, s[34:35]
	v_max_f32_e32 v9, v9, v9
	v_max_f32_e32 v0, v0, v0
	v_max_f32_e32 v9, v0, v9
	s_branch .LBB2_5283
.LBB2_5265:                             ;   in Loop: Header=BB2_4719 Depth=3
                                        ; implicit-def: $vgpr9
	s_cbranch_execz .LBB2_5283
; %bb.5266:                             ;   in Loop: Header=BB2_4719 Depth=3
	v_mov_b32_e32 v9, 0
	v_mov_b32_e32 v0, 0
	s_and_saveexec_b64 s[34:35], s[30:31]
	s_cbranch_execz .LBB2_5274
; %bb.5267:                             ;   in Loop: Header=BB2_4719 Depth=3
	v_cmp_ne_u32_e32 vcc, s97, v12
	v_bfrev_b32_e32 v0, 1
	s_and_saveexec_b64 s[30:31], vcc
	s_cbranch_execz .LBB2_5273
; %bb.5268:                             ;   in Loop: Header=BB2_4719 Depth=3
	v_and_b32_e32 v0, 0x7c000000, v42
	v_bfe_u32 v13, v42, 24, 2
	v_cmp_ne_u32_e32 vcc, s37, v0
                                        ; implicit-def: $vgpr0
	s_and_saveexec_b64 s[72:73], vcc
	s_xor_b64 s[72:73], exec, s[72:73]
	s_cbranch_execz .LBB2_5270
; %bb.5269:                             ;   in Loop: Header=BB2_4719 Depth=3
	v_ffbh_u32_e32 v14, v13
	v_min_u32_e32 v24, 32, v14
	v_subrev_u32_e32 v14, 29, v24
	v_bfe_u32 v0, v42, 26, 5
	v_lshlrev_b64 v[14:15], v14, v[12:13]
	v_sub_u32_e32 v12, 30, v24
	v_and_b32_e32 v14, 3, v14
	v_cmp_eq_u32_e32 vcc, 0, v0
	v_cndmask_b32_e32 v0, v0, v12, vcc
	v_cndmask_b32_e32 v12, v13, v14, vcc
	v_bfrev_b32_e32 v13, 28
	v_lshl_add_u32 v0, v0, 23, v13
	v_and_or_b32 v0, v42, s96, v0
	v_lshl_or_b32 v0, v12, 21, v0
                                        ; implicit-def: $vgpr13
.LBB2_5270:                             ;   in Loop: Header=BB2_4719 Depth=3
	s_andn2_saveexec_b64 s[72:73], s[72:73]
; %bb.5271:                             ;   in Loop: Header=BB2_4719 Depth=3
	v_cmp_lt_i32_e32 vcc, -1, v42
	v_mov_b32_e32 v0, 0xc7600000
	v_mov_b32_e32 v12, 0x47600000
	v_cndmask_b32_e32 v0, v0, v12, vcc
	v_cmp_eq_u32_e32 vcc, 0, v13
	v_mov_b32_e32 v12, 0x7f800001
	v_cndmask_b32_e32 v0, v12, v0, vcc
; %bb.5272:                             ;   in Loop: Header=BB2_4719 Depth=3
	s_or_b64 exec, exec, s[72:73]
.LBB2_5273:                             ;   in Loop: Header=BB2_4719 Depth=3
	s_or_b64 exec, exec, s[30:31]
.LBB2_5274:                             ;   in Loop: Header=BB2_4719 Depth=3
	s_or_b64 exec, exec, s[34:35]
	v_cmp_lt_u32_e32 vcc, s43, v10
	s_and_saveexec_b64 s[30:31], vcc
	s_cbranch_execz .LBB2_5282
; %bb.5275:                             ;   in Loop: Header=BB2_4719 Depth=3
	v_cmp_ne_u32_e32 vcc, s97, v8
	v_bfrev_b32_e32 v9, 1
	s_and_saveexec_b64 s[34:35], vcc
	s_cbranch_execz .LBB2_5281
; %bb.5276:                             ;   in Loop: Header=BB2_4719 Depth=3
	v_and_b32_e32 v9, 0x7c000000, v10
	v_bfe_u32 v12, v10, 24, 2
	v_cmp_ne_u32_e32 vcc, s37, v9
                                        ; implicit-def: $vgpr9
	s_and_saveexec_b64 s[72:73], vcc
	s_xor_b64 s[72:73], exec, s[72:73]
	s_cbranch_execz .LBB2_5278
; %bb.5277:                             ;   in Loop: Header=BB2_4719 Depth=3
	v_ffbh_u32_e32 v9, v12
	v_min_u32_e32 v14, 32, v9
	v_subrev_u32_e32 v9, 29, v14
	v_bfe_u32 v13, v10, 26, 5
	v_lshlrev_b64 v[8:9], v9, v[8:9]
	v_sub_u32_e32 v9, 30, v14
	v_and_b32_e32 v8, 3, v8
	v_cmp_eq_u32_e32 vcc, 0, v13
	v_cndmask_b32_e32 v9, v13, v9, vcc
	v_cndmask_b32_e32 v8, v12, v8, vcc
	v_bfrev_b32_e32 v12, 28
	v_lshl_add_u32 v9, v9, 23, v12
	v_and_or_b32 v9, v10, s96, v9
	v_lshl_or_b32 v9, v8, 21, v9
                                        ; implicit-def: $vgpr12
.LBB2_5278:                             ;   in Loop: Header=BB2_4719 Depth=3
	s_andn2_saveexec_b64 s[72:73], s[72:73]
; %bb.5279:                             ;   in Loop: Header=BB2_4719 Depth=3
	v_cmp_lt_i32_e32 vcc, -1, v10
	v_mov_b32_e32 v8, 0xc7600000
	v_mov_b32_e32 v9, 0x47600000
	v_cndmask_b32_e32 v8, v8, v9, vcc
	v_cmp_eq_u32_e32 vcc, 0, v12
	v_mov_b32_e32 v9, 0x7f800001
	v_cndmask_b32_e32 v9, v9, v8, vcc
; %bb.5280:                             ;   in Loop: Header=BB2_4719 Depth=3
	s_or_b64 exec, exec, s[72:73]
.LBB2_5281:                             ;   in Loop: Header=BB2_4719 Depth=3
	s_or_b64 exec, exec, s[34:35]
.LBB2_5282:                             ;   in Loop: Header=BB2_4719 Depth=3
	s_or_b64 exec, exec, s[30:31]
	v_max_f32_e32 v8, v9, v9
	v_max_f32_e32 v0, v0, v0
	v_min_f32_e32 v9, v0, v8
.LBB2_5283:                             ;   in Loop: Header=BB2_4719 Depth=3
	v_and_b32_sdwa v12, v9, s97 dst_sel:DWORD dst_unused:UNUSED_PAD src0_sel:BYTE_3 src1_sel:DWORD
	v_and_b32_e32 v14, 0x7f800000, v9
	v_mov_b32_e32 v15, v51
	v_and_b32_e32 v50, 0x7fffff, v9
	v_or_b32_e32 v0, 0x7b, v12
	v_cmp_ne_u64_e32 vcc, s[52:53], v[14:15]
	s_and_saveexec_b64 s[30:31], vcc
	s_xor_b64 s[34:35], exec, s[30:31]
	s_cbranch_execz .LBB2_5293
; %bb.5284:                             ;   in Loop: Header=BB2_4719 Depth=3
	v_and_b32_e32 v14, 0x7fffffff, v9
	v_mov_b32_e32 v15, v51
	v_cmp_gt_u64_e32 vcc, s[54:55], v[14:15]
	s_and_saveexec_b64 s[72:73], vcc
	s_cbranch_execz .LBB2_5292
; %bb.5285:                             ;   in Loop: Header=BB2_4719 Depth=3
	v_cmp_ne_u32_e32 vcc, 0, v9
	v_mov_b32_e32 v0, 0
	s_and_saveexec_b64 s[74:75], vcc
	s_cbranch_execz .LBB2_5291
; %bb.5286:                             ;   in Loop: Header=BB2_4719 Depth=3
	v_bfe_u32 v0, v9, 23, 8
	v_sub_u32_e32 v9, 0x71, v0
	v_cmp_gt_u32_e32 vcc, s38, v0
	v_add_u32_e32 v8, 0xffffff81, v0
	v_cndmask_b32_e32 v9, 0, v9, vcc
	v_cmp_eq_u32_e32 vcc, 0, v0
	v_mov_b32_e32 v0, 0xffffff82
	v_cndmask_b32_e32 v0, v8, v0, vcc
	v_mov_b32_e32 v8, 0x70
	v_or_b32_e32 v13, 0x800000, v50
	v_cndmask_b32_e32 v14, v9, v8, vcc
	v_cndmask_b32_e32 v50, v13, v50, vcc
	v_add_u32_e32 v8, 21, v14
	v_lshlrev_b64 v[8:9], v8, -1
	v_add_u32_e32 v13, 20, v14
	v_lshrrev_b64 v[52:53], v14, v[50:51]
	v_not_b32_e32 v9, v9
	v_not_b32_e32 v8, v8
	v_lshlrev_b64 v[24:25], v13, 1
	v_lshrrev_b32_e32 v13, 23, v52
	v_and_b32_e32 v9, 0, v9
	v_and_b32_e32 v8, v50, v8
	v_add3_u32 v14, v14, v0, v13
	v_bfe_u32 v0, v52, 21, 1
	v_add_u32_e32 v0, -1, v0
	v_cmp_eq_u64_e32 vcc, v[8:9], v[24:25]
	v_cndmask_b32_e32 v0, 0, v0, vcc
	v_add_u32_e32 v0, v0, v52
	v_and_b32_e32 v0, 0x1fffff, v0
	v_add_co_u32_e32 v8, vcc, v0, v52
	v_add_u32_e32 v13, 14, v14
	v_addc_co_u32_e32 v9, vcc, 0, v53, vcc
	v_cmp_ne_u32_e32 vcc, 0, v13
                                        ; implicit-def: $vgpr0
	s_and_saveexec_b64 s[30:31], vcc
	s_xor_b64 s[30:31], exec, s[30:31]
; %bb.5287:                             ;   in Loop: Header=BB2_4719 Depth=3
	v_add_u32_e32 v0, 15, v14
	v_cmp_lt_u64_e32 vcc, s[56:57], v[8:9]
	v_cndmask_b32_e32 v0, v13, v0, vcc
	v_cndmask_b32_e64 v13, 0, 1, vcc
	v_lshrrev_b64 v[8:9], v13, v[8:9]
; %bb.5288:                             ;   in Loop: Header=BB2_4719 Depth=3
	s_andn2_saveexec_b64 vcc, s[30:31]
; %bb.5289:                             ;   in Loop: Header=BB2_4719 Depth=3
	v_bfe_u32 v0, v8, 23, 1
; %bb.5290:                             ;   in Loop: Header=BB2_4719 Depth=3
	s_or_b64 exec, exec, vcc
	v_lshrrev_b64 v[8:9], 21, v[8:9]
	v_cmp_gt_i32_e32 vcc, 32, v0
	v_cndmask_b32_e32 v9, 0, v9, vcc
	v_cndmask_b32_e32 v8, 3, v8, vcc
	v_cmp_eq_u32_e32 vcc, 0, v0
	v_min_i32_e32 v0, 31, v0
	v_cmp_eq_u64_e64 s[30:31], 0, v[8:9]
	v_lshlrev_b32_e32 v0, 2, v0
	v_and_or_b32 v0, v8, 3, v0
	s_and_b64 vcc, vcc, s[30:31]
	v_cndmask_b32_e64 v0, v0, 0, vcc
	v_or_b32_e32 v0, v0, v12
.LBB2_5291:                             ;   in Loop: Header=BB2_4719 Depth=3
	s_or_b64 exec, exec, s[74:75]
.LBB2_5292:                             ;   in Loop: Header=BB2_4719 Depth=3
	s_or_b64 exec, exec, s[72:73]
                                        ; implicit-def: $vgpr9
.LBB2_5293:                             ;   in Loop: Header=BB2_4719 Depth=3
	s_andn2_saveexec_b64 s[30:31], s[34:35]
; %bb.5294:                             ;   in Loop: Header=BB2_4719 Depth=3
	v_or_b32_sdwa v8, v9, s39 dst_sel:DWORD dst_unused:UNUSED_PAD src0_sel:BYTE_3 src1_sel:DWORD
	v_cmp_eq_u64_e32 vcc, 0, v[50:51]
	v_cndmask_b32_e32 v0, v8, v0, vcc
; %bb.5295:                             ;   in Loop: Header=BB2_4719 Depth=3
	s_or_b64 exec, exec, s[30:31]
	v_mov_b32_e32 v50, v43
	v_mov_b32_e32 v8, v11
	;; [unrolled: 1-line block ×3, first 2 shown]
	v_cmp_ne_u16_sdwa s[30:31], v43, v51 src0_sel:BYTE_0 src1_sel:DWORD
	s_and_b64 vcc, exec, s[70:71]
	s_cbranch_vccz .LBB2_5313
; %bb.5296:                             ;   in Loop: Header=BB2_4719 Depth=3
	v_mov_b32_e32 v13, 0
	v_mov_b32_e32 v12, 0
	s_and_saveexec_b64 s[34:35], s[30:31]
	s_cbranch_execz .LBB2_5304
; %bb.5297:                             ;   in Loop: Header=BB2_4719 Depth=3
	v_cmp_ne_u16_sdwa vcc, v43, s97 src0_sel:BYTE_0 src1_sel:DWORD
	v_bfrev_b32_e32 v12, 1
	s_and_saveexec_b64 s[72:73], vcc
	s_cbranch_execz .LBB2_5303
; %bb.5298:                             ;   in Loop: Header=BB2_4719 Depth=3
	v_and_b32_e32 v12, 0x7c, v43
	v_and_b32_e32 v14, 3, v43
	v_cmp_ne_u32_e32 vcc, s95, v12
                                        ; implicit-def: $vgpr12
	s_and_saveexec_b64 s[74:75], vcc
	s_xor_b64 s[74:75], exec, s[74:75]
	s_cbranch_execz .LBB2_5300
; %bb.5299:                             ;   in Loop: Header=BB2_4719 Depth=3
	v_ffbh_u32_e32 v15, v14
	v_min_u32_e32 v15, 32, v15
	v_subrev_u32_e32 v24, 29, v15
	v_bfe_u32 v12, v43, 2, 5
	v_lshlrev_b64 v[24:25], v24, v[50:51]
	v_sub_u32_e32 v15, 30, v15
	v_and_b32_e32 v24, 3, v24
	v_cmp_eq_u32_e32 vcc, 0, v12
	v_cndmask_b32_e32 v12, v12, v15, vcc
	v_cndmask_b32_e32 v14, v14, v24, vcc
	v_bfrev_b32_e32 v24, 28
	v_lshlrev_b32_e32 v15, 24, v43
	v_lshl_add_u32 v12, v12, 23, v24
	v_and_or_b32 v12, v15, s96, v12
	v_lshl_or_b32 v12, v14, 21, v12
                                        ; implicit-def: $vgpr14
.LBB2_5300:                             ;   in Loop: Header=BB2_4719 Depth=3
	s_andn2_saveexec_b64 s[74:75], s[74:75]
; %bb.5301:                             ;   in Loop: Header=BB2_4719 Depth=3
	v_mov_b32_e32 v12, -1
	v_cmp_gt_i16_sdwa vcc, sext(v43), v12 src0_sel:BYTE_0 src1_sel:DWORD
	v_mov_b32_e32 v12, 0xc7600000
	v_mov_b32_e32 v15, 0x47600000
	v_cndmask_b32_e32 v12, v12, v15, vcc
	v_cmp_eq_u32_e32 vcc, 0, v14
	v_mov_b32_e32 v14, 0x7f800001
	v_cndmask_b32_e32 v12, v14, v12, vcc
; %bb.5302:                             ;   in Loop: Header=BB2_4719 Depth=3
	s_or_b64 exec, exec, s[74:75]
.LBB2_5303:                             ;   in Loop: Header=BB2_4719 Depth=3
	s_or_b64 exec, exec, s[72:73]
.LBB2_5304:                             ;   in Loop: Header=BB2_4719 Depth=3
	s_or_b64 exec, exec, s[34:35]
	v_cmp_ne_u16_sdwa vcc, v11, v51 src0_sel:BYTE_0 src1_sel:DWORD
	s_and_saveexec_b64 s[34:35], vcc
	s_cbranch_execz .LBB2_5312
; %bb.5305:                             ;   in Loop: Header=BB2_4719 Depth=3
	v_cmp_ne_u16_sdwa vcc, v11, s97 src0_sel:BYTE_0 src1_sel:DWORD
	v_bfrev_b32_e32 v13, 1
	s_and_saveexec_b64 s[72:73], vcc
	s_cbranch_execz .LBB2_5311
; %bb.5306:                             ;   in Loop: Header=BB2_4719 Depth=3
	v_and_b32_e32 v13, 0x7c, v11
	v_and_b32_e32 v14, 3, v11
	v_cmp_ne_u32_e32 vcc, s95, v13
                                        ; implicit-def: $vgpr13
	s_and_saveexec_b64 s[74:75], vcc
	s_xor_b64 s[74:75], exec, s[74:75]
	s_cbranch_execz .LBB2_5308
; %bb.5307:                             ;   in Loop: Header=BB2_4719 Depth=3
	v_ffbh_u32_e32 v15, v14
	v_min_u32_e32 v15, 32, v15
	v_subrev_u32_e32 v24, 29, v15
	v_bfe_u32 v13, v11, 2, 5
	v_lshlrev_b64 v[24:25], v24, v[8:9]
	v_sub_u32_e32 v15, 30, v15
	v_and_b32_e32 v24, 3, v24
	v_cmp_eq_u32_e32 vcc, 0, v13
	v_cndmask_b32_e32 v13, v13, v15, vcc
	v_cndmask_b32_e32 v14, v14, v24, vcc
	v_bfrev_b32_e32 v24, 28
	v_lshlrev_b32_e32 v15, 24, v11
	v_lshl_add_u32 v13, v13, 23, v24
	v_and_or_b32 v13, v15, s96, v13
	v_lshl_or_b32 v13, v14, 21, v13
                                        ; implicit-def: $vgpr14
.LBB2_5308:                             ;   in Loop: Header=BB2_4719 Depth=3
	s_andn2_saveexec_b64 s[74:75], s[74:75]
; %bb.5309:                             ;   in Loop: Header=BB2_4719 Depth=3
	v_mov_b32_e32 v13, -1
	v_cmp_gt_i16_sdwa vcc, sext(v11), v13 src0_sel:BYTE_0 src1_sel:DWORD
	v_mov_b32_e32 v13, 0xc7600000
	v_mov_b32_e32 v15, 0x47600000
	v_cndmask_b32_e32 v13, v13, v15, vcc
	v_cmp_eq_u32_e32 vcc, 0, v14
	v_mov_b32_e32 v14, 0x7f800001
	v_cndmask_b32_e32 v13, v14, v13, vcc
; %bb.5310:                             ;   in Loop: Header=BB2_4719 Depth=3
	s_or_b64 exec, exec, s[74:75]
.LBB2_5311:                             ;   in Loop: Header=BB2_4719 Depth=3
	s_or_b64 exec, exec, s[72:73]
.LBB2_5312:                             ;   in Loop: Header=BB2_4719 Depth=3
	s_or_b64 exec, exec, s[34:35]
	v_max_f32_e32 v13, v13, v13
	v_max_f32_e32 v12, v12, v12
	;; [unrolled: 1-line block ×3, first 2 shown]
	s_branch .LBB2_5331
.LBB2_5313:                             ;   in Loop: Header=BB2_4719 Depth=3
                                        ; implicit-def: $vgpr14
	s_cbranch_execz .LBB2_5331
; %bb.5314:                             ;   in Loop: Header=BB2_4719 Depth=3
	v_mov_b32_e32 v13, 0
	v_mov_b32_e32 v12, 0
	s_and_saveexec_b64 s[34:35], s[30:31]
	s_cbranch_execz .LBB2_5322
; %bb.5315:                             ;   in Loop: Header=BB2_4719 Depth=3
	v_cmp_ne_u16_sdwa vcc, v43, s97 src0_sel:BYTE_0 src1_sel:DWORD
	v_bfrev_b32_e32 v12, 1
	s_and_saveexec_b64 s[30:31], vcc
	s_cbranch_execz .LBB2_5321
; %bb.5316:                             ;   in Loop: Header=BB2_4719 Depth=3
	v_and_b32_e32 v12, 0x7c, v43
	v_and_b32_e32 v14, 3, v43
	v_cmp_ne_u32_e32 vcc, s95, v12
                                        ; implicit-def: $vgpr12
	s_and_saveexec_b64 s[72:73], vcc
	s_xor_b64 s[72:73], exec, s[72:73]
	s_cbranch_execz .LBB2_5318
; %bb.5317:                             ;   in Loop: Header=BB2_4719 Depth=3
	v_ffbh_u32_e32 v15, v14
	v_min_u32_e32 v15, 32, v15
	v_subrev_u32_e32 v24, 29, v15
	v_bfe_u32 v12, v43, 2, 5
	v_lshlrev_b64 v[24:25], v24, v[50:51]
	v_sub_u32_e32 v15, 30, v15
	v_and_b32_e32 v24, 3, v24
	v_cmp_eq_u32_e32 vcc, 0, v12
	v_cndmask_b32_e32 v12, v12, v15, vcc
	v_cndmask_b32_e32 v14, v14, v24, vcc
	v_bfrev_b32_e32 v24, 28
	v_lshlrev_b32_e32 v15, 24, v43
	v_lshl_add_u32 v12, v12, 23, v24
	v_and_or_b32 v12, v15, s96, v12
	v_lshl_or_b32 v12, v14, 21, v12
                                        ; implicit-def: $vgpr14
.LBB2_5318:                             ;   in Loop: Header=BB2_4719 Depth=3
	s_andn2_saveexec_b64 s[72:73], s[72:73]
; %bb.5319:                             ;   in Loop: Header=BB2_4719 Depth=3
	v_mov_b32_e32 v12, -1
	v_cmp_gt_i16_sdwa vcc, sext(v43), v12 src0_sel:BYTE_0 src1_sel:DWORD
	v_mov_b32_e32 v12, 0xc7600000
	v_mov_b32_e32 v15, 0x47600000
	v_cndmask_b32_e32 v12, v12, v15, vcc
	v_cmp_eq_u32_e32 vcc, 0, v14
	v_mov_b32_e32 v14, 0x7f800001
	v_cndmask_b32_e32 v12, v14, v12, vcc
; %bb.5320:                             ;   in Loop: Header=BB2_4719 Depth=3
	s_or_b64 exec, exec, s[72:73]
.LBB2_5321:                             ;   in Loop: Header=BB2_4719 Depth=3
	s_or_b64 exec, exec, s[30:31]
.LBB2_5322:                             ;   in Loop: Header=BB2_4719 Depth=3
	s_or_b64 exec, exec, s[34:35]
	v_cmp_ne_u16_sdwa vcc, v11, v51 src0_sel:BYTE_0 src1_sel:DWORD
	s_and_saveexec_b64 s[30:31], vcc
	s_cbranch_execz .LBB2_5330
; %bb.5323:                             ;   in Loop: Header=BB2_4719 Depth=3
	v_cmp_ne_u16_sdwa vcc, v11, s97 src0_sel:BYTE_0 src1_sel:DWORD
	v_bfrev_b32_e32 v13, 1
	s_and_saveexec_b64 s[34:35], vcc
	s_cbranch_execz .LBB2_5329
; %bb.5324:                             ;   in Loop: Header=BB2_4719 Depth=3
	v_and_b32_e32 v13, 0x7c, v11
	v_and_b32_e32 v14, 3, v11
	v_cmp_ne_u32_e32 vcc, s95, v13
                                        ; implicit-def: $vgpr13
	s_and_saveexec_b64 s[72:73], vcc
	s_xor_b64 s[72:73], exec, s[72:73]
	s_cbranch_execz .LBB2_5326
; %bb.5325:                             ;   in Loop: Header=BB2_4719 Depth=3
	v_ffbh_u32_e32 v15, v14
	v_min_u32_e32 v15, 32, v15
	v_subrev_u32_e32 v24, 29, v15
	v_bfe_u32 v13, v11, 2, 5
	v_lshlrev_b64 v[24:25], v24, v[8:9]
	v_sub_u32_e32 v9, 30, v15
	v_and_b32_e32 v15, 3, v24
	v_cmp_eq_u32_e32 vcc, 0, v13
	v_cndmask_b32_e32 v9, v13, v9, vcc
	v_cndmask_b32_e32 v13, v14, v15, vcc
	v_bfrev_b32_e32 v15, 28
	v_lshlrev_b32_e32 v14, 24, v11
	v_lshl_add_u32 v9, v9, 23, v15
	v_and_or_b32 v9, v14, s96, v9
	v_lshl_or_b32 v13, v13, 21, v9
                                        ; implicit-def: $vgpr14
.LBB2_5326:                             ;   in Loop: Header=BB2_4719 Depth=3
	s_andn2_saveexec_b64 s[72:73], s[72:73]
; %bb.5327:                             ;   in Loop: Header=BB2_4719 Depth=3
	v_mov_b32_e32 v9, -1
	v_cmp_gt_i16_sdwa vcc, sext(v11), v9 src0_sel:BYTE_0 src1_sel:DWORD
	v_mov_b32_e32 v9, 0xc7600000
	v_mov_b32_e32 v13, 0x47600000
	v_cndmask_b32_e32 v9, v9, v13, vcc
	v_cmp_eq_u32_e32 vcc, 0, v14
	v_mov_b32_e32 v13, 0x7f800001
	v_cndmask_b32_e32 v13, v13, v9, vcc
; %bb.5328:                             ;   in Loop: Header=BB2_4719 Depth=3
	s_or_b64 exec, exec, s[72:73]
.LBB2_5329:                             ;   in Loop: Header=BB2_4719 Depth=3
	s_or_b64 exec, exec, s[34:35]
.LBB2_5330:                             ;   in Loop: Header=BB2_4719 Depth=3
	s_or_b64 exec, exec, s[30:31]
	v_max_f32_e32 v9, v13, v13
	v_max_f32_e32 v12, v12, v12
	v_min_f32_e32 v14, v12, v9
.LBB2_5331:                             ;   in Loop: Header=BB2_4719 Depth=3
	v_and_b32_sdwa v9, v14, s97 dst_sel:DWORD dst_unused:UNUSED_PAD src0_sel:BYTE_3 src1_sel:DWORD
	v_and_b32_e32 v24, 0x7f800000, v14
	v_mov_b32_e32 v25, v51
	v_and_b32_e32 v12, 0x7fffff, v14
	v_mov_b32_e32 v13, v51
	v_or_b32_e32 v52, 0x7b, v9
	v_cmp_ne_u64_e32 vcc, s[52:53], v[24:25]
	s_and_saveexec_b64 s[30:31], vcc
	s_xor_b64 s[34:35], exec, s[30:31]
	s_cbranch_execz .LBB2_5341
; %bb.5332:                             ;   in Loop: Header=BB2_4719 Depth=3
	v_and_b32_e32 v24, 0x7fffffff, v14
	v_mov_b32_e32 v25, v51
	v_cmp_gt_u64_e32 vcc, s[54:55], v[24:25]
	s_and_saveexec_b64 s[72:73], vcc
	s_cbranch_execz .LBB2_5340
; %bb.5333:                             ;   in Loop: Header=BB2_4719 Depth=3
	v_cmp_ne_u32_e32 vcc, 0, v14
	v_mov_b32_e32 v52, 0
	s_and_saveexec_b64 s[74:75], vcc
	s_cbranch_execz .LBB2_5339
; %bb.5334:                             ;   in Loop: Header=BB2_4719 Depth=3
	v_bfe_u32 v14, v14, 23, 8
	v_sub_u32_e32 v24, 0x71, v14
	v_cmp_gt_u32_e32 vcc, s38, v14
	v_add_u32_e32 v15, 0xffffff81, v14
	v_cndmask_b32_e32 v24, 0, v24, vcc
	v_cmp_eq_u32_e32 vcc, 0, v14
	v_mov_b32_e32 v14, 0xffffff82
	v_cndmask_b32_e32 v52, v15, v14, vcc
	v_mov_b32_e32 v14, 0x70
	v_cndmask_b32_e32 v53, v24, v14, vcc
	v_add_u32_e32 v14, 21, v53
	v_or_b32_e32 v25, 0x800000, v12
	v_lshlrev_b64 v[14:15], v14, -1
	v_cndmask_b32_e32 v12, v25, v12, vcc
	v_not_b32_e32 v14, v14
	v_and_b32_e32 v24, v12, v14
	v_add_u32_e32 v14, 20, v53
	v_lshrrev_b64 v[12:13], v53, v[12:13]
	v_not_b32_e32 v15, v15
	v_lshlrev_b64 v[54:55], v14, 1
	v_lshrrev_b32_e32 v14, 23, v12
	v_and_b32_e32 v25, 0, v15
	v_add3_u32 v52, v53, v52, v14
	v_bfe_u32 v14, v12, 21, 1
	v_add_u32_e32 v14, -1, v14
	v_cmp_eq_u64_e32 vcc, v[24:25], v[54:55]
	v_cndmask_b32_e32 v14, 0, v14, vcc
	v_add_u32_e32 v14, v14, v12
	v_and_b32_e32 v14, 0x1fffff, v14
	v_add_co_u32_e32 v12, vcc, v14, v12
	v_add_u32_e32 v15, 14, v52
	v_addc_co_u32_e32 v13, vcc, 0, v13, vcc
	v_cmp_ne_u32_e32 vcc, 0, v15
                                        ; implicit-def: $vgpr14
	s_and_saveexec_b64 s[30:31], vcc
	s_xor_b64 s[30:31], exec, s[30:31]
; %bb.5335:                             ;   in Loop: Header=BB2_4719 Depth=3
	v_add_u32_e32 v14, 15, v52
	v_cmp_lt_u64_e32 vcc, s[56:57], v[12:13]
	v_cndmask_b32_e32 v14, v15, v14, vcc
	v_cndmask_b32_e64 v15, 0, 1, vcc
	v_lshrrev_b64 v[12:13], v15, v[12:13]
; %bb.5336:                             ;   in Loop: Header=BB2_4719 Depth=3
	s_andn2_saveexec_b64 vcc, s[30:31]
; %bb.5337:                             ;   in Loop: Header=BB2_4719 Depth=3
	v_bfe_u32 v14, v12, 23, 1
; %bb.5338:                             ;   in Loop: Header=BB2_4719 Depth=3
	s_or_b64 exec, exec, vcc
	v_lshrrev_b64 v[12:13], 21, v[12:13]
	v_cmp_gt_i32_e32 vcc, 32, v14
	v_cndmask_b32_e32 v13, 0, v13, vcc
	v_cndmask_b32_e32 v12, 3, v12, vcc
	v_cmp_eq_u64_e64 s[30:31], 0, v[12:13]
	v_min_i32_e32 v13, 31, v14
	v_cmp_eq_u32_e32 vcc, 0, v14
	v_lshlrev_b32_e32 v13, 2, v13
	v_and_or_b32 v12, v12, 3, v13
	s_and_b64 vcc, vcc, s[30:31]
	v_cndmask_b32_e64 v12, v12, 0, vcc
	v_or_b32_e32 v52, v12, v9
.LBB2_5339:                             ;   in Loop: Header=BB2_4719 Depth=3
	s_or_b64 exec, exec, s[74:75]
.LBB2_5340:                             ;   in Loop: Header=BB2_4719 Depth=3
	s_or_b64 exec, exec, s[72:73]
                                        ; implicit-def: $vgpr14
                                        ; implicit-def: $vgpr12_vgpr13
.LBB2_5341:                             ;   in Loop: Header=BB2_4719 Depth=3
	s_andn2_saveexec_b64 s[30:31], s[34:35]
; %bb.5342:                             ;   in Loop: Header=BB2_4719 Depth=3
	v_or_b32_sdwa v9, v14, s39 dst_sel:DWORD dst_unused:UNUSED_PAD src0_sel:BYTE_3 src1_sel:DWORD
	v_cmp_eq_u64_e32 vcc, 0, v[12:13]
	v_cndmask_b32_e32 v52, v9, v52, vcc
; %bb.5343:                             ;   in Loop: Header=BB2_4719 Depth=3
	s_or_b64 exec, exec, s[30:31]
	v_lshrrev_b16_e32 v14, 8, v50
	v_lshrrev_b16_e32 v12, 8, v8
	v_cmp_ne_u16_e64 s[30:31], 0, v14
	s_and_b64 vcc, exec, s[70:71]
	s_cbranch_vccz .LBB2_5361
; %bb.5344:                             ;   in Loop: Header=BB2_4719 Depth=3
	v_mov_b32_e32 v13, 0
	v_mov_b32_e32 v9, 0
	s_and_saveexec_b64 s[34:35], s[30:31]
	s_cbranch_execz .LBB2_5352
; %bb.5345:                             ;   in Loop: Header=BB2_4719 Depth=3
	v_cmp_ne_u16_e32 vcc, s97, v14
	v_bfrev_b32_e32 v9, 1
	s_and_saveexec_b64 s[72:73], vcc
	s_cbranch_execz .LBB2_5351
; %bb.5346:                             ;   in Loop: Header=BB2_4719 Depth=3
	v_and_b32_e32 v9, 0x7c, v14
	v_and_b32_e32 v53, 3, v14
	v_cmp_ne_u32_e32 vcc, s95, v9
                                        ; implicit-def: $vgpr9
	s_and_saveexec_b64 s[74:75], vcc
	s_xor_b64 s[74:75], exec, s[74:75]
	s_cbranch_execz .LBB2_5348
; %bb.5347:                             ;   in Loop: Header=BB2_4719 Depth=3
	v_ffbh_u32_e32 v24, v53
	v_min_u32_e32 v54, 32, v24
	v_mov_b32_e32 v15, v51
	v_bfe_u32 v9, v14, 2, 5
	v_subrev_u32_e32 v24, 29, v54
	v_lshlrev_b64 v[24:25], v24, v[14:15]
	v_sub_u32_e32 v15, 30, v54
	v_cmp_eq_u32_e32 vcc, 0, v9
	v_and_b32_e32 v24, 3, v24
	v_cndmask_b32_e32 v9, v9, v15, vcc
	v_bfrev_b32_e32 v25, 28
	v_cndmask_b32_e32 v15, v53, v24, vcc
	v_lshlrev_b32_e32 v24, 16, v50
	v_lshl_add_u32 v9, v9, 23, v25
	v_and_or_b32 v9, v24, s96, v9
	v_lshl_or_b32 v9, v15, 21, v9
                                        ; implicit-def: $vgpr53
.LBB2_5348:                             ;   in Loop: Header=BB2_4719 Depth=3
	s_andn2_saveexec_b64 s[74:75], s[74:75]
; %bb.5349:                             ;   in Loop: Header=BB2_4719 Depth=3
	v_cmp_lt_i16_e32 vcc, -1, v50
	v_mov_b32_e32 v9, 0xc7600000
	v_mov_b32_e32 v15, 0x47600000
	v_cndmask_b32_e32 v9, v9, v15, vcc
	v_cmp_eq_u32_e32 vcc, 0, v53
	v_mov_b32_e32 v15, 0x7f800001
	v_cndmask_b32_e32 v9, v15, v9, vcc
; %bb.5350:                             ;   in Loop: Header=BB2_4719 Depth=3
	s_or_b64 exec, exec, s[74:75]
.LBB2_5351:                             ;   in Loop: Header=BB2_4719 Depth=3
	s_or_b64 exec, exec, s[72:73]
.LBB2_5352:                             ;   in Loop: Header=BB2_4719 Depth=3
	s_or_b64 exec, exec, s[34:35]
	v_cmp_ne_u16_e32 vcc, 0, v12
	s_and_saveexec_b64 s[34:35], vcc
	s_cbranch_execz .LBB2_5360
; %bb.5353:                             ;   in Loop: Header=BB2_4719 Depth=3
	v_cmp_ne_u16_e32 vcc, s97, v12
	v_bfrev_b32_e32 v13, 1
	s_and_saveexec_b64 s[72:73], vcc
	s_cbranch_execz .LBB2_5359
; %bb.5354:                             ;   in Loop: Header=BB2_4719 Depth=3
	v_and_b32_e32 v13, 0x7c, v12
	v_and_b32_e32 v15, 3, v12
	v_cmp_ne_u32_e32 vcc, s95, v13
                                        ; implicit-def: $vgpr13
	s_and_saveexec_b64 s[74:75], vcc
	s_xor_b64 s[74:75], exec, s[74:75]
	s_cbranch_execz .LBB2_5356
; %bb.5355:                             ;   in Loop: Header=BB2_4719 Depth=3
	v_ffbh_u32_e32 v24, v15
	v_min_u32_e32 v54, 32, v24
	v_mov_b32_e32 v13, v51
	v_bfe_u32 v53, v12, 2, 5
	v_subrev_u32_e32 v24, 29, v54
	v_lshlrev_b64 v[24:25], v24, v[12:13]
	v_sub_u32_e32 v13, 30, v54
	v_cmp_eq_u32_e32 vcc, 0, v53
	v_and_b32_e32 v24, 3, v24
	v_cndmask_b32_e32 v13, v53, v13, vcc
	v_bfrev_b32_e32 v25, 28
	v_cndmask_b32_e32 v15, v15, v24, vcc
	v_lshlrev_b32_e32 v24, 16, v8
	v_lshl_add_u32 v13, v13, 23, v25
	v_and_or_b32 v13, v24, s96, v13
	v_lshl_or_b32 v13, v15, 21, v13
                                        ; implicit-def: $vgpr15
.LBB2_5356:                             ;   in Loop: Header=BB2_4719 Depth=3
	s_andn2_saveexec_b64 s[74:75], s[74:75]
; %bb.5357:                             ;   in Loop: Header=BB2_4719 Depth=3
	v_cmp_lt_i16_e32 vcc, -1, v8
	v_mov_b32_e32 v13, 0xc7600000
	v_mov_b32_e32 v24, 0x47600000
	v_cndmask_b32_e32 v13, v13, v24, vcc
	v_cmp_eq_u32_e32 vcc, 0, v15
	v_mov_b32_e32 v15, 0x7f800001
	v_cndmask_b32_e32 v13, v15, v13, vcc
; %bb.5358:                             ;   in Loop: Header=BB2_4719 Depth=3
	s_or_b64 exec, exec, s[74:75]
.LBB2_5359:                             ;   in Loop: Header=BB2_4719 Depth=3
	s_or_b64 exec, exec, s[72:73]
.LBB2_5360:                             ;   in Loop: Header=BB2_4719 Depth=3
	s_or_b64 exec, exec, s[34:35]
	v_max_f32_e32 v13, v13, v13
	v_max_f32_e32 v9, v9, v9
	;; [unrolled: 1-line block ×3, first 2 shown]
	s_branch .LBB2_5379
.LBB2_5361:                             ;   in Loop: Header=BB2_4719 Depth=3
                                        ; implicit-def: $vgpr9
	s_cbranch_execz .LBB2_5379
; %bb.5362:                             ;   in Loop: Header=BB2_4719 Depth=3
	v_mov_b32_e32 v13, 0
	v_mov_b32_e32 v15, 0
	s_and_saveexec_b64 s[34:35], s[30:31]
	s_cbranch_execz .LBB2_5370
; %bb.5363:                             ;   in Loop: Header=BB2_4719 Depth=3
	v_cmp_ne_u16_e32 vcc, s97, v14
	v_bfrev_b32_e32 v15, 1
	s_and_saveexec_b64 s[30:31], vcc
	s_cbranch_execz .LBB2_5369
; %bb.5364:                             ;   in Loop: Header=BB2_4719 Depth=3
	v_and_b32_e32 v15, 0x7c, v14
	v_and_b32_e32 v9, 3, v14
	v_cmp_ne_u32_e32 vcc, s95, v15
                                        ; implicit-def: $vgpr15
	s_and_saveexec_b64 s[72:73], vcc
	s_xor_b64 s[72:73], exec, s[72:73]
	s_cbranch_execz .LBB2_5366
; %bb.5365:                             ;   in Loop: Header=BB2_4719 Depth=3
	v_ffbh_u32_e32 v25, v9
	v_min_u32_e32 v25, 32, v25
	v_mov_b32_e32 v15, v51
	v_subrev_u32_e32 v53, 29, v25
	v_bfe_u32 v24, v14, 2, 5
	v_lshlrev_b64 v[14:15], v53, v[14:15]
	v_sub_u32_e32 v15, 30, v25
	v_cmp_eq_u32_e32 vcc, 0, v24
	v_and_b32_e32 v14, 3, v14
	v_cndmask_b32_e32 v15, v24, v15, vcc
	v_bfrev_b32_e32 v24, 28
	v_cndmask_b32_e32 v9, v9, v14, vcc
	v_lshlrev_b32_e32 v14, 16, v50
	v_lshl_add_u32 v15, v15, 23, v24
	v_and_or_b32 v14, v14, s96, v15
	v_lshl_or_b32 v15, v9, 21, v14
                                        ; implicit-def: $vgpr9
.LBB2_5366:                             ;   in Loop: Header=BB2_4719 Depth=3
	s_andn2_saveexec_b64 s[72:73], s[72:73]
; %bb.5367:                             ;   in Loop: Header=BB2_4719 Depth=3
	v_cmp_lt_i16_e32 vcc, -1, v50
	v_mov_b32_e32 v14, 0xc7600000
	v_mov_b32_e32 v15, 0x47600000
	v_cndmask_b32_e32 v14, v14, v15, vcc
	v_cmp_eq_u32_e32 vcc, 0, v9
	v_mov_b32_e32 v9, 0x7f800001
	v_cndmask_b32_e32 v15, v9, v14, vcc
; %bb.5368:                             ;   in Loop: Header=BB2_4719 Depth=3
	s_or_b64 exec, exec, s[72:73]
.LBB2_5369:                             ;   in Loop: Header=BB2_4719 Depth=3
	s_or_b64 exec, exec, s[30:31]
.LBB2_5370:                             ;   in Loop: Header=BB2_4719 Depth=3
	s_or_b64 exec, exec, s[34:35]
	v_cmp_ne_u16_e32 vcc, 0, v12
	s_and_saveexec_b64 s[30:31], vcc
	s_cbranch_execz .LBB2_5378
; %bb.5371:                             ;   in Loop: Header=BB2_4719 Depth=3
	v_cmp_ne_u16_e32 vcc, s97, v12
	v_bfrev_b32_e32 v13, 1
	s_and_saveexec_b64 s[34:35], vcc
	s_cbranch_execz .LBB2_5377
; %bb.5372:                             ;   in Loop: Header=BB2_4719 Depth=3
	v_and_b32_e32 v9, 0x7c, v12
	v_and_b32_e32 v14, 3, v12
	v_cmp_ne_u32_e32 vcc, s95, v9
                                        ; implicit-def: $vgpr13
	s_and_saveexec_b64 s[72:73], vcc
	s_xor_b64 s[72:73], exec, s[72:73]
	s_cbranch_execz .LBB2_5374
; %bb.5373:                             ;   in Loop: Header=BB2_4719 Depth=3
	v_ffbh_u32_e32 v24, v14
	v_min_u32_e32 v24, 32, v24
	v_mov_b32_e32 v13, v51
	v_subrev_u32_e32 v25, 29, v24
	v_bfe_u32 v9, v12, 2, 5
	v_lshlrev_b64 v[12:13], v25, v[12:13]
	v_sub_u32_e32 v13, 30, v24
	v_cmp_eq_u32_e32 vcc, 0, v9
	v_cndmask_b32_e32 v9, v9, v13, vcc
	v_bfrev_b32_e32 v13, 28
	v_and_b32_e32 v12, 3, v12
	v_lshlrev_b32_e32 v8, 16, v8
	v_lshl_add_u32 v9, v9, 23, v13
	v_cndmask_b32_e32 v12, v14, v12, vcc
	v_and_or_b32 v8, v8, s96, v9
	v_lshl_or_b32 v13, v12, 21, v8
                                        ; implicit-def: $vgpr14
                                        ; implicit-def: $vgpr8_vgpr9
.LBB2_5374:                             ;   in Loop: Header=BB2_4719 Depth=3
	s_andn2_saveexec_b64 s[72:73], s[72:73]
; %bb.5375:                             ;   in Loop: Header=BB2_4719 Depth=3
	v_cmp_lt_i16_e32 vcc, -1, v8
	v_mov_b32_e32 v8, 0xc7600000
	v_mov_b32_e32 v9, 0x47600000
	v_cndmask_b32_e32 v8, v8, v9, vcc
	v_cmp_eq_u32_e32 vcc, 0, v14
	v_mov_b32_e32 v9, 0x7f800001
	v_cndmask_b32_e32 v13, v9, v8, vcc
; %bb.5376:                             ;   in Loop: Header=BB2_4719 Depth=3
	s_or_b64 exec, exec, s[72:73]
.LBB2_5377:                             ;   in Loop: Header=BB2_4719 Depth=3
	s_or_b64 exec, exec, s[34:35]
.LBB2_5378:                             ;   in Loop: Header=BB2_4719 Depth=3
	s_or_b64 exec, exec, s[30:31]
	v_max_f32_e32 v8, v13, v13
	v_max_f32_e32 v9, v15, v15
	v_min_f32_e32 v9, v9, v8
.LBB2_5379:                             ;   in Loop: Header=BB2_4719 Depth=3
	v_and_b32_sdwa v12, v9, s97 dst_sel:DWORD dst_unused:UNUSED_PAD src0_sel:BYTE_3 src1_sel:DWORD
	v_and_b32_e32 v14, 0x7f800000, v9
	v_mov_b32_e32 v15, v51
	v_and_b32_e32 v50, 0x7fffff, v9
	v_or_b32_e32 v13, 0x7b, v12
	v_cmp_ne_u64_e32 vcc, s[52:53], v[14:15]
	s_and_saveexec_b64 s[30:31], vcc
	s_xor_b64 s[34:35], exec, s[30:31]
	s_cbranch_execz .LBB2_5389
; %bb.5380:                             ;   in Loop: Header=BB2_4719 Depth=3
	v_and_b32_e32 v14, 0x7fffffff, v9
	v_mov_b32_e32 v15, v51
	v_cmp_gt_u64_e32 vcc, s[54:55], v[14:15]
	s_and_saveexec_b64 s[72:73], vcc
	s_cbranch_execz .LBB2_5388
; %bb.5381:                             ;   in Loop: Header=BB2_4719 Depth=3
	v_cmp_ne_u32_e32 vcc, 0, v9
	v_mov_b32_e32 v13, 0
	s_and_saveexec_b64 s[74:75], vcc
	s_cbranch_execz .LBB2_5387
; %bb.5382:                             ;   in Loop: Header=BB2_4719 Depth=3
	v_bfe_u32 v8, v9, 23, 8
	v_sub_u32_e32 v13, 0x71, v8
	v_cmp_gt_u32_e32 vcc, s38, v8
	v_add_u32_e32 v9, 0xffffff81, v8
	v_cndmask_b32_e32 v13, 0, v13, vcc
	v_cmp_eq_u32_e32 vcc, 0, v8
	v_mov_b32_e32 v8, 0xffffff82
	v_cndmask_b32_e32 v15, v9, v8, vcc
	v_mov_b32_e32 v8, 0x70
	v_or_b32_e32 v14, 0x800000, v50
	v_cndmask_b32_e32 v13, v13, v8, vcc
	v_cndmask_b32_e32 v50, v14, v50, vcc
	v_add_u32_e32 v8, 21, v13
	v_lshlrev_b64 v[8:9], v8, -1
	v_add_u32_e32 v14, 20, v13
	v_lshrrev_b64 v[54:55], v13, v[50:51]
	v_not_b32_e32 v9, v9
	v_not_b32_e32 v8, v8
	v_lshlrev_b64 v[24:25], v14, 1
	v_lshrrev_b32_e32 v14, 23, v54
	v_and_b32_e32 v9, 0, v9
	v_and_b32_e32 v8, v50, v8
	v_add3_u32 v15, v13, v15, v14
	v_bfe_u32 v13, v54, 21, 1
	v_add_u32_e32 v13, -1, v13
	v_cmp_eq_u64_e32 vcc, v[8:9], v[24:25]
	v_cndmask_b32_e32 v8, 0, v13, vcc
	v_add_u32_e32 v8, v8, v54
	v_and_b32_e32 v8, 0x1fffff, v8
	v_add_co_u32_e32 v8, vcc, v8, v54
	v_add_u32_e32 v14, 14, v15
	v_addc_co_u32_e32 v9, vcc, 0, v55, vcc
	v_cmp_ne_u32_e32 vcc, 0, v14
                                        ; implicit-def: $vgpr13
	s_and_saveexec_b64 s[30:31], vcc
	s_xor_b64 s[30:31], exec, s[30:31]
; %bb.5383:                             ;   in Loop: Header=BB2_4719 Depth=3
	v_add_u32_e32 v13, 15, v15
	v_cmp_lt_u64_e32 vcc, s[56:57], v[8:9]
	v_cndmask_b32_e32 v13, v14, v13, vcc
	v_cndmask_b32_e64 v14, 0, 1, vcc
	v_lshrrev_b64 v[8:9], v14, v[8:9]
; %bb.5384:                             ;   in Loop: Header=BB2_4719 Depth=3
	s_andn2_saveexec_b64 vcc, s[30:31]
; %bb.5385:                             ;   in Loop: Header=BB2_4719 Depth=3
	v_bfe_u32 v13, v8, 23, 1
; %bb.5386:                             ;   in Loop: Header=BB2_4719 Depth=3
	s_or_b64 exec, exec, vcc
	v_lshrrev_b64 v[8:9], 21, v[8:9]
	v_cmp_gt_i32_e32 vcc, 32, v13
	v_cndmask_b32_e32 v9, 0, v9, vcc
	v_cndmask_b32_e32 v8, 3, v8, vcc
	v_cmp_eq_u64_e64 s[30:31], 0, v[8:9]
	v_min_i32_e32 v9, 31, v13
	v_cmp_eq_u32_e32 vcc, 0, v13
	v_lshlrev_b32_e32 v9, 2, v9
	v_and_or_b32 v8, v8, 3, v9
	s_and_b64 vcc, vcc, s[30:31]
	v_cndmask_b32_e64 v8, v8, 0, vcc
	v_or_b32_e32 v13, v8, v12
.LBB2_5387:                             ;   in Loop: Header=BB2_4719 Depth=3
	s_or_b64 exec, exec, s[74:75]
.LBB2_5388:                             ;   in Loop: Header=BB2_4719 Depth=3
	s_or_b64 exec, exec, s[72:73]
                                        ; implicit-def: $vgpr9
.LBB2_5389:                             ;   in Loop: Header=BB2_4719 Depth=3
	s_andn2_saveexec_b64 s[30:31], s[34:35]
; %bb.5390:                             ;   in Loop: Header=BB2_4719 Depth=3
	v_or_b32_sdwa v8, v9, s39 dst_sel:DWORD dst_unused:UNUSED_PAD src0_sel:BYTE_3 src1_sel:DWORD
	v_cmp_eq_u64_e32 vcc, 0, v[50:51]
	v_cndmask_b32_e32 v13, v8, v13, vcc
; %bb.5391:                             ;   in Loop: Header=BB2_4719 Depth=3
	s_or_b64 exec, exec, s[30:31]
	v_lshrrev_b32_e32 v12, 16, v43
	v_lshrrev_b32_e32 v8, 16, v11
	v_cmp_ne_u16_sdwa s[30:31], v12, v51 src0_sel:BYTE_0 src1_sel:DWORD
	s_and_b64 vcc, exec, s[70:71]
	s_cbranch_vccz .LBB2_5409
; %bb.5392:                             ;   in Loop: Header=BB2_4719 Depth=3
	v_mov_b32_e32 v14, 0
	v_mov_b32_e32 v9, 0
	s_and_saveexec_b64 s[34:35], s[30:31]
	s_cbranch_execz .LBB2_5400
; %bb.5393:                             ;   in Loop: Header=BB2_4719 Depth=3
	v_cmp_ne_u16_sdwa vcc, v12, s97 src0_sel:BYTE_0 src1_sel:DWORD
	v_bfrev_b32_e32 v9, 1
	s_and_saveexec_b64 s[72:73], vcc
	s_cbranch_execz .LBB2_5399
; %bb.5394:                             ;   in Loop: Header=BB2_4719 Depth=3
	v_and_b32_e32 v9, 0x7c0000, v43
	v_bfe_u32 v15, v43, 16, 2
	v_cmp_ne_u32_e32 vcc, s36, v9
                                        ; implicit-def: $vgpr9
	s_and_saveexec_b64 s[74:75], vcc
	s_xor_b64 s[74:75], exec, s[74:75]
	s_cbranch_execz .LBB2_5396
; %bb.5395:                             ;   in Loop: Header=BB2_4719 Depth=3
	v_ffbh_u32_e32 v24, v15
	v_min_u32_e32 v50, 32, v24
	v_subrev_u32_e32 v24, 29, v50
	v_bfe_u32 v9, v43, 18, 5
	v_lshlrev_b64 v[24:25], v24, v[12:13]
	v_sub_u32_e32 v25, 30, v50
	v_cmp_eq_u32_e32 vcc, 0, v9
	v_and_b32_e32 v24, 3, v24
	v_cndmask_b32_e32 v9, v9, v25, vcc
	v_bfrev_b32_e32 v25, 28
	v_cndmask_b32_e32 v15, v15, v24, vcc
	v_lshlrev_b32_e32 v24, 24, v12
	v_lshl_add_u32 v9, v9, 23, v25
	v_and_or_b32 v9, v24, s96, v9
	v_lshl_or_b32 v9, v15, 21, v9
                                        ; implicit-def: $vgpr15
.LBB2_5396:                             ;   in Loop: Header=BB2_4719 Depth=3
	s_andn2_saveexec_b64 s[74:75], s[74:75]
; %bb.5397:                             ;   in Loop: Header=BB2_4719 Depth=3
	v_mov_b32_e32 v9, -1
	v_cmp_gt_i16_sdwa vcc, sext(v12), v9 src0_sel:BYTE_0 src1_sel:DWORD
	v_mov_b32_e32 v9, 0xc7600000
	v_mov_b32_e32 v24, 0x47600000
	v_cndmask_b32_e32 v9, v9, v24, vcc
	v_cmp_eq_u32_e32 vcc, 0, v15
	v_mov_b32_e32 v15, 0x7f800001
	v_cndmask_b32_e32 v9, v15, v9, vcc
; %bb.5398:                             ;   in Loop: Header=BB2_4719 Depth=3
	s_or_b64 exec, exec, s[74:75]
.LBB2_5399:                             ;   in Loop: Header=BB2_4719 Depth=3
	s_or_b64 exec, exec, s[72:73]
.LBB2_5400:                             ;   in Loop: Header=BB2_4719 Depth=3
	s_or_b64 exec, exec, s[34:35]
	v_cmp_ne_u16_sdwa vcc, v8, v51 src0_sel:BYTE_0 src1_sel:DWORD
	s_and_saveexec_b64 s[34:35], vcc
	s_cbranch_execz .LBB2_5408
; %bb.5401:                             ;   in Loop: Header=BB2_4719 Depth=3
	v_cmp_ne_u16_sdwa vcc, v8, s97 src0_sel:BYTE_0 src1_sel:DWORD
	v_bfrev_b32_e32 v14, 1
	s_and_saveexec_b64 s[72:73], vcc
	s_cbranch_execz .LBB2_5407
; %bb.5402:                             ;   in Loop: Header=BB2_4719 Depth=3
	v_and_b32_e32 v14, 0x7c0000, v11
	v_bfe_u32 v15, v11, 16, 2
	v_cmp_ne_u32_e32 vcc, s36, v14
                                        ; implicit-def: $vgpr14
	s_and_saveexec_b64 s[74:75], vcc
	s_xor_b64 s[74:75], exec, s[74:75]
	s_cbranch_execz .LBB2_5404
; %bb.5403:                             ;   in Loop: Header=BB2_4719 Depth=3
	v_ffbh_u32_e32 v24, v15
	v_min_u32_e32 v50, 32, v24
	v_subrev_u32_e32 v24, 29, v50
	v_bfe_u32 v14, v11, 18, 5
	v_lshlrev_b64 v[24:25], v24, v[8:9]
	v_sub_u32_e32 v25, 30, v50
	v_cmp_eq_u32_e32 vcc, 0, v14
	v_and_b32_e32 v24, 3, v24
	v_cndmask_b32_e32 v14, v14, v25, vcc
	v_bfrev_b32_e32 v25, 28
	v_cndmask_b32_e32 v15, v15, v24, vcc
	v_lshlrev_b32_e32 v24, 24, v8
	v_lshl_add_u32 v14, v14, 23, v25
	v_and_or_b32 v14, v24, s96, v14
	v_lshl_or_b32 v14, v15, 21, v14
                                        ; implicit-def: $vgpr15
.LBB2_5404:                             ;   in Loop: Header=BB2_4719 Depth=3
	s_andn2_saveexec_b64 s[74:75], s[74:75]
; %bb.5405:                             ;   in Loop: Header=BB2_4719 Depth=3
	v_mov_b32_e32 v14, -1
	v_cmp_gt_i16_sdwa vcc, sext(v8), v14 src0_sel:BYTE_0 src1_sel:DWORD
	v_mov_b32_e32 v14, 0xc7600000
	v_mov_b32_e32 v24, 0x47600000
	v_cndmask_b32_e32 v14, v14, v24, vcc
	v_cmp_eq_u32_e32 vcc, 0, v15
	v_mov_b32_e32 v15, 0x7f800001
	v_cndmask_b32_e32 v14, v15, v14, vcc
; %bb.5406:                             ;   in Loop: Header=BB2_4719 Depth=3
	s_or_b64 exec, exec, s[74:75]
.LBB2_5407:                             ;   in Loop: Header=BB2_4719 Depth=3
	s_or_b64 exec, exec, s[72:73]
.LBB2_5408:                             ;   in Loop: Header=BB2_4719 Depth=3
	s_or_b64 exec, exec, s[34:35]
	v_max_f32_e32 v14, v14, v14
	v_max_f32_e32 v9, v9, v9
	;; [unrolled: 1-line block ×3, first 2 shown]
	s_branch .LBB2_5427
.LBB2_5409:                             ;   in Loop: Header=BB2_4719 Depth=3
                                        ; implicit-def: $vgpr9
	s_cbranch_execz .LBB2_5427
; %bb.5410:                             ;   in Loop: Header=BB2_4719 Depth=3
	v_mov_b32_e32 v14, 0
	v_mov_b32_e32 v9, 0
	s_and_saveexec_b64 s[34:35], s[30:31]
	s_cbranch_execz .LBB2_5418
; %bb.5411:                             ;   in Loop: Header=BB2_4719 Depth=3
	v_cmp_ne_u16_sdwa vcc, v12, s97 src0_sel:BYTE_0 src1_sel:DWORD
	v_bfrev_b32_e32 v9, 1
	s_and_saveexec_b64 s[30:31], vcc
	s_cbranch_execz .LBB2_5417
; %bb.5412:                             ;   in Loop: Header=BB2_4719 Depth=3
	v_and_b32_e32 v9, 0x7c0000, v43
	v_bfe_u32 v15, v43, 16, 2
	v_cmp_ne_u32_e32 vcc, s36, v9
                                        ; implicit-def: $vgpr9
	s_and_saveexec_b64 s[72:73], vcc
	s_xor_b64 s[72:73], exec, s[72:73]
	s_cbranch_execz .LBB2_5414
; %bb.5413:                             ;   in Loop: Header=BB2_4719 Depth=3
	v_ffbh_u32_e32 v24, v15
	v_min_u32_e32 v50, 32, v24
	v_subrev_u32_e32 v24, 29, v50
	v_bfe_u32 v9, v43, 18, 5
	v_lshlrev_b64 v[24:25], v24, v[12:13]
	v_sub_u32_e32 v25, 30, v50
	v_and_b32_e32 v24, 3, v24
	v_cmp_eq_u32_e32 vcc, 0, v9
	v_cndmask_b32_e32 v9, v9, v25, vcc
	v_cndmask_b32_e32 v15, v15, v24, vcc
	v_bfrev_b32_e32 v24, 28
	v_lshlrev_b32_e32 v12, 24, v12
	v_lshl_add_u32 v9, v9, 23, v24
	v_and_or_b32 v9, v12, s96, v9
	v_lshl_or_b32 v9, v15, 21, v9
                                        ; implicit-def: $vgpr15
                                        ; implicit-def: $vgpr12
.LBB2_5414:                             ;   in Loop: Header=BB2_4719 Depth=3
	s_andn2_saveexec_b64 s[72:73], s[72:73]
; %bb.5415:                             ;   in Loop: Header=BB2_4719 Depth=3
	v_mov_b32_e32 v9, -1
	v_cmp_gt_i16_sdwa vcc, sext(v12), v9 src0_sel:BYTE_0 src1_sel:DWORD
	v_mov_b32_e32 v9, 0xc7600000
	v_mov_b32_e32 v12, 0x47600000
	v_cndmask_b32_e32 v9, v9, v12, vcc
	v_cmp_eq_u32_e32 vcc, 0, v15
	v_mov_b32_e32 v12, 0x7f800001
	v_cndmask_b32_e32 v9, v12, v9, vcc
; %bb.5416:                             ;   in Loop: Header=BB2_4719 Depth=3
	s_or_b64 exec, exec, s[72:73]
.LBB2_5417:                             ;   in Loop: Header=BB2_4719 Depth=3
	s_or_b64 exec, exec, s[30:31]
.LBB2_5418:                             ;   in Loop: Header=BB2_4719 Depth=3
	s_or_b64 exec, exec, s[34:35]
	v_cmp_ne_u16_sdwa vcc, v8, v51 src0_sel:BYTE_0 src1_sel:DWORD
	s_and_saveexec_b64 s[30:31], vcc
	s_cbranch_execz .LBB2_5426
; %bb.5419:                             ;   in Loop: Header=BB2_4719 Depth=3
	v_cmp_ne_u16_sdwa vcc, v8, s97 src0_sel:BYTE_0 src1_sel:DWORD
	v_bfrev_b32_e32 v14, 1
	s_and_saveexec_b64 s[34:35], vcc
	s_cbranch_execz .LBB2_5425
; %bb.5420:                             ;   in Loop: Header=BB2_4719 Depth=3
	v_and_b32_e32 v14, 0x7c0000, v11
	v_bfe_u32 v12, v11, 16, 2
	v_cmp_ne_u32_e32 vcc, s36, v14
                                        ; implicit-def: $vgpr14
	s_and_saveexec_b64 s[72:73], vcc
	s_xor_b64 s[72:73], exec, s[72:73]
	s_cbranch_execz .LBB2_5422
; %bb.5421:                             ;   in Loop: Header=BB2_4719 Depth=3
	v_ffbh_u32_e32 v14, v12
	v_min_u32_e32 v25, 32, v14
	v_subrev_u32_e32 v14, 29, v25
	v_bfe_u32 v24, v11, 18, 5
	v_lshlrev_b64 v[14:15], v14, v[8:9]
	v_sub_u32_e32 v15, 30, v25
	v_and_b32_e32 v14, 3, v14
	v_cmp_eq_u32_e32 vcc, 0, v24
	v_cndmask_b32_e32 v15, v24, v15, vcc
	v_cndmask_b32_e32 v12, v12, v14, vcc
	v_bfrev_b32_e32 v14, 28
	v_lshlrev_b32_e32 v8, 24, v8
	v_lshl_add_u32 v14, v15, 23, v14
	v_and_or_b32 v8, v8, s96, v14
	v_lshl_or_b32 v14, v12, 21, v8
                                        ; implicit-def: $vgpr12
                                        ; implicit-def: $vgpr8
.LBB2_5422:                             ;   in Loop: Header=BB2_4719 Depth=3
	s_andn2_saveexec_b64 s[72:73], s[72:73]
; %bb.5423:                             ;   in Loop: Header=BB2_4719 Depth=3
	v_mov_b32_e32 v14, -1
	v_cmp_gt_i16_sdwa vcc, sext(v8), v14 src0_sel:BYTE_0 src1_sel:DWORD
	v_mov_b32_e32 v8, 0xc7600000
	v_mov_b32_e32 v14, 0x47600000
	v_cndmask_b32_e32 v8, v8, v14, vcc
	v_cmp_eq_u32_e32 vcc, 0, v12
	v_mov_b32_e32 v12, 0x7f800001
	v_cndmask_b32_e32 v14, v12, v8, vcc
; %bb.5424:                             ;   in Loop: Header=BB2_4719 Depth=3
	s_or_b64 exec, exec, s[72:73]
.LBB2_5425:                             ;   in Loop: Header=BB2_4719 Depth=3
	s_or_b64 exec, exec, s[34:35]
.LBB2_5426:                             ;   in Loop: Header=BB2_4719 Depth=3
	s_or_b64 exec, exec, s[30:31]
	v_max_f32_e32 v8, v14, v14
	v_max_f32_e32 v9, v9, v9
	v_min_f32_e32 v9, v9, v8
.LBB2_5427:                             ;   in Loop: Header=BB2_4719 Depth=3
	v_and_b32_sdwa v12, v9, s97 dst_sel:DWORD dst_unused:UNUSED_PAD src0_sel:BYTE_3 src1_sel:DWORD
	v_and_b32_e32 v24, 0x7f800000, v9
	v_mov_b32_e32 v25, v51
	v_and_b32_e32 v50, 0x7fffff, v9
	v_or_b32_e32 v14, 0x7b, v12
	v_cmp_ne_u64_e32 vcc, s[52:53], v[24:25]
	s_and_saveexec_b64 s[30:31], vcc
	s_xor_b64 s[34:35], exec, s[30:31]
	s_cbranch_execz .LBB2_5437
; %bb.5428:                             ;   in Loop: Header=BB2_4719 Depth=3
	v_and_b32_e32 v24, 0x7fffffff, v9
	v_mov_b32_e32 v25, v51
	v_cmp_gt_u64_e32 vcc, s[54:55], v[24:25]
	s_and_saveexec_b64 s[72:73], vcc
	s_cbranch_execz .LBB2_5436
; %bb.5429:                             ;   in Loop: Header=BB2_4719 Depth=3
	v_cmp_ne_u32_e32 vcc, 0, v9
	v_mov_b32_e32 v14, 0
	s_and_saveexec_b64 s[74:75], vcc
	s_cbranch_execz .LBB2_5435
; %bb.5430:                             ;   in Loop: Header=BB2_4719 Depth=3
	v_bfe_u32 v8, v9, 23, 8
	v_sub_u32_e32 v14, 0x71, v8
	v_cmp_gt_u32_e32 vcc, s38, v8
	v_add_u32_e32 v9, 0xffffff81, v8
	v_cndmask_b32_e32 v14, 0, v14, vcc
	v_cmp_eq_u32_e32 vcc, 0, v8
	v_mov_b32_e32 v8, 0xffffff82
	v_cndmask_b32_e32 v24, v9, v8, vcc
	v_mov_b32_e32 v8, 0x70
	v_or_b32_e32 v15, 0x800000, v50
	v_cndmask_b32_e32 v14, v14, v8, vcc
	v_cndmask_b32_e32 v50, v15, v50, vcc
	v_add_u32_e32 v8, 21, v14
	v_lshlrev_b64 v[8:9], v8, -1
	v_add_u32_e32 v15, 20, v14
	v_lshrrev_b64 v[40:41], v14, v[50:51]
	v_not_b32_e32 v9, v9
	v_not_b32_e32 v8, v8
	v_lshlrev_b64 v[54:55], v15, 1
	v_lshrrev_b32_e32 v15, 23, v40
	v_and_b32_e32 v9, 0, v9
	v_and_b32_e32 v8, v50, v8
	v_add3_u32 v24, v14, v24, v15
	v_bfe_u32 v14, v40, 21, 1
	v_add_u32_e32 v14, -1, v14
	v_cmp_eq_u64_e32 vcc, v[8:9], v[54:55]
	v_cndmask_b32_e32 v8, 0, v14, vcc
	v_add_u32_e32 v8, v8, v40
	v_and_b32_e32 v8, 0x1fffff, v8
	v_add_co_u32_e32 v8, vcc, v8, v40
	v_add_u32_e32 v15, 14, v24
	v_addc_co_u32_e32 v9, vcc, 0, v41, vcc
	v_cmp_ne_u32_e32 vcc, 0, v15
                                        ; implicit-def: $vgpr14
	s_and_saveexec_b64 s[30:31], vcc
	s_xor_b64 s[30:31], exec, s[30:31]
; %bb.5431:                             ;   in Loop: Header=BB2_4719 Depth=3
	v_add_u32_e32 v14, 15, v24
	v_cmp_lt_u64_e32 vcc, s[56:57], v[8:9]
	v_cndmask_b32_e32 v14, v15, v14, vcc
	v_cndmask_b32_e64 v15, 0, 1, vcc
	v_lshrrev_b64 v[8:9], v15, v[8:9]
; %bb.5432:                             ;   in Loop: Header=BB2_4719 Depth=3
	s_andn2_saveexec_b64 vcc, s[30:31]
; %bb.5433:                             ;   in Loop: Header=BB2_4719 Depth=3
	v_bfe_u32 v14, v8, 23, 1
; %bb.5434:                             ;   in Loop: Header=BB2_4719 Depth=3
	s_or_b64 exec, exec, vcc
	v_lshrrev_b64 v[8:9], 21, v[8:9]
	v_cmp_gt_i32_e32 vcc, 32, v14
	v_cndmask_b32_e32 v9, 0, v9, vcc
	v_cndmask_b32_e32 v8, 3, v8, vcc
	v_cmp_eq_u64_e64 s[30:31], 0, v[8:9]
	v_min_i32_e32 v9, 31, v14
	v_cmp_eq_u32_e32 vcc, 0, v14
	v_lshlrev_b32_e32 v9, 2, v9
	v_and_or_b32 v8, v8, 3, v9
	s_and_b64 vcc, vcc, s[30:31]
	v_cndmask_b32_e64 v8, v8, 0, vcc
	v_or_b32_e32 v14, v8, v12
.LBB2_5435:                             ;   in Loop: Header=BB2_4719 Depth=3
	s_or_b64 exec, exec, s[74:75]
.LBB2_5436:                             ;   in Loop: Header=BB2_4719 Depth=3
	s_or_b64 exec, exec, s[72:73]
                                        ; implicit-def: $vgpr9
.LBB2_5437:                             ;   in Loop: Header=BB2_4719 Depth=3
	s_andn2_saveexec_b64 s[30:31], s[34:35]
; %bb.5438:                             ;   in Loop: Header=BB2_4719 Depth=3
	v_or_b32_sdwa v8, v9, s39 dst_sel:DWORD dst_unused:UNUSED_PAD src0_sel:BYTE_3 src1_sel:DWORD
	v_cmp_eq_u64_e32 vcc, 0, v[50:51]
	v_cndmask_b32_e32 v14, v8, v14, vcc
; %bb.5439:                             ;   in Loop: Header=BB2_4719 Depth=3
	s_or_b64 exec, exec, s[30:31]
	v_lshrrev_b32_e32 v12, 24, v43
	v_lshrrev_b32_e32 v8, 24, v11
	v_cmp_lt_u64_e64 s[30:31], s[42:43], v[42:43]
	s_and_b64 vcc, exec, s[70:71]
	s_cbranch_vccz .LBB2_5457
; %bb.5440:                             ;   in Loop: Header=BB2_4719 Depth=3
	v_mov_b32_e32 v15, 0
	v_mov_b32_e32 v9, 0
	s_and_saveexec_b64 s[34:35], s[30:31]
	s_cbranch_execz .LBB2_5448
; %bb.5441:                             ;   in Loop: Header=BB2_4719 Depth=3
	v_cmp_ne_u32_e32 vcc, s97, v12
	v_bfrev_b32_e32 v9, 1
	s_and_saveexec_b64 s[72:73], vcc
	s_cbranch_execz .LBB2_5447
; %bb.5442:                             ;   in Loop: Header=BB2_4719 Depth=3
	v_and_b32_e32 v9, 0x7c000000, v43
	v_bfe_u32 v24, v43, 24, 2
	v_cmp_ne_u32_e32 vcc, s37, v9
                                        ; implicit-def: $vgpr9
	s_and_saveexec_b64 s[74:75], vcc
	s_xor_b64 s[74:75], exec, s[74:75]
	s_cbranch_execz .LBB2_5444
; %bb.5443:                             ;   in Loop: Header=BB2_4719 Depth=3
	v_ffbh_u32_e32 v25, v24
	v_bfe_u32 v9, v43, 26, 5
	v_min_u32_e32 v25, 32, v25
	v_subrev_u32_e32 v50, 29, v25
	v_sub_u32_e32 v25, 30, v25
	v_cmp_eq_u32_e32 vcc, 0, v9
	v_lshlrev_b64 v[54:55], v50, v[12:13]
	v_cndmask_b32_e32 v9, v9, v25, vcc
	v_bfrev_b32_e32 v25, 28
	v_and_b32_e32 v50, 3, v54
	v_lshl_add_u32 v9, v9, 23, v25
	v_cndmask_b32_e32 v24, v24, v50, vcc
	v_and_or_b32 v9, v43, s96, v9
	v_lshl_or_b32 v9, v24, 21, v9
                                        ; implicit-def: $vgpr24
.LBB2_5444:                             ;   in Loop: Header=BB2_4719 Depth=3
	s_andn2_saveexec_b64 s[74:75], s[74:75]
; %bb.5445:                             ;   in Loop: Header=BB2_4719 Depth=3
	v_cmp_lt_i64_e32 vcc, -1, v[42:43]
	v_mov_b32_e32 v9, 0xc7600000
	v_mov_b32_e32 v25, 0x47600000
	v_cndmask_b32_e32 v9, v9, v25, vcc
	v_cmp_eq_u32_e32 vcc, 0, v24
	v_mov_b32_e32 v24, 0x7f800001
	v_cndmask_b32_e32 v9, v24, v9, vcc
; %bb.5446:                             ;   in Loop: Header=BB2_4719 Depth=3
	s_or_b64 exec, exec, s[74:75]
.LBB2_5447:                             ;   in Loop: Header=BB2_4719 Depth=3
	s_or_b64 exec, exec, s[72:73]
.LBB2_5448:                             ;   in Loop: Header=BB2_4719 Depth=3
	s_or_b64 exec, exec, s[34:35]
	v_cmp_lt_u64_e32 vcc, s[42:43], v[10:11]
	s_and_saveexec_b64 s[34:35], vcc
	s_cbranch_execz .LBB2_5456
; %bb.5449:                             ;   in Loop: Header=BB2_4719 Depth=3
	v_cmp_ne_u32_e32 vcc, s97, v8
	v_bfrev_b32_e32 v15, 1
	s_and_saveexec_b64 s[72:73], vcc
	s_cbranch_execz .LBB2_5455
; %bb.5450:                             ;   in Loop: Header=BB2_4719 Depth=3
	v_and_b32_e32 v15, 0x7c000000, v11
	v_bfe_u32 v24, v11, 24, 2
	v_cmp_ne_u32_e32 vcc, s37, v15
                                        ; implicit-def: $vgpr15
	s_and_saveexec_b64 s[74:75], vcc
	s_xor_b64 s[74:75], exec, s[74:75]
	s_cbranch_execz .LBB2_5452
; %bb.5451:                             ;   in Loop: Header=BB2_4719 Depth=3
	v_ffbh_u32_e32 v25, v24
	v_bfe_u32 v15, v11, 26, 5
	v_min_u32_e32 v25, 32, v25
	v_subrev_u32_e32 v50, 29, v25
	v_sub_u32_e32 v25, 30, v25
	v_cmp_eq_u32_e32 vcc, 0, v15
	v_lshlrev_b64 v[54:55], v50, v[8:9]
	v_cndmask_b32_e32 v15, v15, v25, vcc
	v_bfrev_b32_e32 v25, 28
	v_and_b32_e32 v50, 3, v54
	v_lshl_add_u32 v15, v15, 23, v25
	v_cndmask_b32_e32 v24, v24, v50, vcc
	v_and_or_b32 v15, v11, s96, v15
	v_lshl_or_b32 v15, v24, 21, v15
                                        ; implicit-def: $vgpr24
.LBB2_5452:                             ;   in Loop: Header=BB2_4719 Depth=3
	s_andn2_saveexec_b64 s[74:75], s[74:75]
; %bb.5453:                             ;   in Loop: Header=BB2_4719 Depth=3
	v_cmp_lt_i64_e32 vcc, -1, v[10:11]
	v_mov_b32_e32 v15, 0xc7600000
	v_mov_b32_e32 v25, 0x47600000
	v_cndmask_b32_e32 v15, v15, v25, vcc
	v_cmp_eq_u32_e32 vcc, 0, v24
	v_mov_b32_e32 v24, 0x7f800001
	v_cndmask_b32_e32 v15, v24, v15, vcc
; %bb.5454:                             ;   in Loop: Header=BB2_4719 Depth=3
	s_or_b64 exec, exec, s[74:75]
.LBB2_5455:                             ;   in Loop: Header=BB2_4719 Depth=3
	s_or_b64 exec, exec, s[72:73]
.LBB2_5456:                             ;   in Loop: Header=BB2_4719 Depth=3
	s_or_b64 exec, exec, s[34:35]
	v_max_f32_e32 v15, v15, v15
	v_max_f32_e32 v9, v9, v9
	;; [unrolled: 1-line block ×3, first 2 shown]
	s_branch .LBB2_5475
.LBB2_5457:                             ;   in Loop: Header=BB2_4719 Depth=3
                                        ; implicit-def: $vgpr9
	s_cbranch_execz .LBB2_5475
; %bb.5458:                             ;   in Loop: Header=BB2_4719 Depth=3
	v_mov_b32_e32 v15, 0
	v_mov_b32_e32 v9, 0
	s_and_saveexec_b64 s[34:35], s[30:31]
	s_cbranch_execz .LBB2_5466
; %bb.5459:                             ;   in Loop: Header=BB2_4719 Depth=3
	v_cmp_ne_u32_e32 vcc, s97, v12
	v_bfrev_b32_e32 v9, 1
	s_and_saveexec_b64 s[30:31], vcc
	s_cbranch_execz .LBB2_5465
; %bb.5460:                             ;   in Loop: Header=BB2_4719 Depth=3
	v_and_b32_e32 v9, 0x7c000000, v43
	v_bfe_u32 v24, v43, 24, 2
	v_cmp_ne_u32_e32 vcc, s37, v9
                                        ; implicit-def: $vgpr9
	s_and_saveexec_b64 s[72:73], vcc
	s_xor_b64 s[72:73], exec, s[72:73]
	s_cbranch_execz .LBB2_5462
; %bb.5461:                             ;   in Loop: Header=BB2_4719 Depth=3
	v_ffbh_u32_e32 v25, v24
	v_min_u32_e32 v25, 32, v25
	v_subrev_u32_e32 v50, 29, v25
	v_bfe_u32 v9, v43, 26, 5
	v_lshlrev_b64 v[54:55], v50, v[12:13]
	v_sub_u32_e32 v12, 30, v25
	v_and_b32_e32 v25, 3, v54
	v_cmp_eq_u32_e32 vcc, 0, v9
	v_cndmask_b32_e32 v9, v9, v12, vcc
	v_cndmask_b32_e32 v12, v24, v25, vcc
	v_bfrev_b32_e32 v24, 28
	v_lshl_add_u32 v9, v9, 23, v24
	v_and_or_b32 v9, v43, s96, v9
	v_lshl_or_b32 v9, v12, 21, v9
                                        ; implicit-def: $vgpr24
                                        ; implicit-def: $vgpr42_vgpr43
.LBB2_5462:                             ;   in Loop: Header=BB2_4719 Depth=3
	s_andn2_saveexec_b64 s[72:73], s[72:73]
; %bb.5463:                             ;   in Loop: Header=BB2_4719 Depth=3
	v_cmp_lt_i64_e32 vcc, -1, v[42:43]
	v_mov_b32_e32 v9, 0xc7600000
	v_mov_b32_e32 v12, 0x47600000
	v_cndmask_b32_e32 v9, v9, v12, vcc
	v_cmp_eq_u32_e32 vcc, 0, v24
	v_mov_b32_e32 v12, 0x7f800001
	v_cndmask_b32_e32 v9, v12, v9, vcc
; %bb.5464:                             ;   in Loop: Header=BB2_4719 Depth=3
	s_or_b64 exec, exec, s[72:73]
.LBB2_5465:                             ;   in Loop: Header=BB2_4719 Depth=3
	s_or_b64 exec, exec, s[30:31]
.LBB2_5466:                             ;   in Loop: Header=BB2_4719 Depth=3
	s_or_b64 exec, exec, s[34:35]
	v_cmp_lt_u64_e32 vcc, s[42:43], v[10:11]
	s_and_saveexec_b64 s[30:31], vcc
	s_cbranch_execz .LBB2_5474
; %bb.5467:                             ;   in Loop: Header=BB2_4719 Depth=3
	v_cmp_ne_u32_e32 vcc, s97, v8
	v_bfrev_b32_e32 v15, 1
	s_and_saveexec_b64 s[34:35], vcc
	s_cbranch_execz .LBB2_5473
; %bb.5468:                             ;   in Loop: Header=BB2_4719 Depth=3
	v_and_b32_e32 v15, 0x7c000000, v11
	v_bfe_u32 v12, v11, 24, 2
	v_cmp_ne_u32_e32 vcc, s37, v15
                                        ; implicit-def: $vgpr15
	s_and_saveexec_b64 s[72:73], vcc
	s_xor_b64 s[72:73], exec, s[72:73]
	s_cbranch_execz .LBB2_5470
; %bb.5469:                             ;   in Loop: Header=BB2_4719 Depth=3
	v_ffbh_u32_e32 v15, v12
	v_min_u32_e32 v15, 32, v15
	v_subrev_u32_e32 v24, 29, v15
	v_bfe_u32 v10, v11, 26, 5
	v_lshlrev_b64 v[24:25], v24, v[8:9]
	v_sub_u32_e32 v8, 30, v15
	v_and_b32_e32 v15, 3, v24
	v_cmp_eq_u32_e32 vcc, 0, v10
	v_cndmask_b32_e32 v8, v10, v8, vcc
	v_cndmask_b32_e32 v10, v12, v15, vcc
	v_bfrev_b32_e32 v12, 28
	v_lshl_add_u32 v8, v8, 23, v12
	v_and_or_b32 v8, v11, s96, v8
	v_lshl_or_b32 v15, v10, 21, v8
                                        ; implicit-def: $vgpr12
                                        ; implicit-def: $vgpr10_vgpr11
.LBB2_5470:                             ;   in Loop: Header=BB2_4719 Depth=3
	s_andn2_saveexec_b64 s[72:73], s[72:73]
; %bb.5471:                             ;   in Loop: Header=BB2_4719 Depth=3
	v_cmp_lt_i64_e32 vcc, -1, v[10:11]
	v_mov_b32_e32 v8, 0xc7600000
	v_mov_b32_e32 v10, 0x47600000
	v_cndmask_b32_e32 v8, v8, v10, vcc
	v_cmp_eq_u32_e32 vcc, 0, v12
	v_mov_b32_e32 v10, 0x7f800001
	v_cndmask_b32_e32 v15, v10, v8, vcc
; %bb.5472:                             ;   in Loop: Header=BB2_4719 Depth=3
	s_or_b64 exec, exec, s[72:73]
.LBB2_5473:                             ;   in Loop: Header=BB2_4719 Depth=3
	s_or_b64 exec, exec, s[34:35]
.LBB2_5474:                             ;   in Loop: Header=BB2_4719 Depth=3
	s_or_b64 exec, exec, s[30:31]
	v_max_f32_e32 v8, v15, v15
	v_max_f32_e32 v9, v9, v9
	v_min_f32_e32 v9, v9, v8
.LBB2_5475:                             ;   in Loop: Header=BB2_4719 Depth=3
	v_and_b32_sdwa v10, v9, s97 dst_sel:DWORD dst_unused:UNUSED_PAD src0_sel:BYTE_3 src1_sel:DWORD
	v_and_b32_e32 v24, 0x7f800000, v9
	v_mov_b32_e32 v25, v51
	v_and_b32_e32 v50, 0x7fffff, v9
	v_or_b32_e32 v11, 0x7b, v10
	v_cmp_ne_u64_e32 vcc, s[52:53], v[24:25]
	s_and_saveexec_b64 s[30:31], vcc
	s_xor_b64 s[34:35], exec, s[30:31]
	s_cbranch_execz .LBB2_5485
; %bb.5476:                             ;   in Loop: Header=BB2_4719 Depth=3
	v_and_b32_e32 v24, 0x7fffffff, v9
	v_mov_b32_e32 v25, v51
	v_cmp_gt_u64_e32 vcc, s[54:55], v[24:25]
	s_and_saveexec_b64 s[72:73], vcc
	s_cbranch_execz .LBB2_5484
; %bb.5477:                             ;   in Loop: Header=BB2_4719 Depth=3
	v_cmp_ne_u32_e32 vcc, 0, v9
	v_mov_b32_e32 v11, 0
	s_and_saveexec_b64 s[74:75], vcc
	s_cbranch_execz .LBB2_5483
; %bb.5478:                             ;   in Loop: Header=BB2_4719 Depth=3
	v_bfe_u32 v8, v9, 23, 8
	v_sub_u32_e32 v11, 0x71, v8
	v_cmp_gt_u32_e32 vcc, s38, v8
	v_add_u32_e32 v9, 0xffffff81, v8
	v_cndmask_b32_e32 v11, 0, v11, vcc
	v_cmp_eq_u32_e32 vcc, 0, v8
	v_mov_b32_e32 v8, 0xffffff82
	v_cndmask_b32_e32 v15, v9, v8, vcc
	v_mov_b32_e32 v8, 0x70
	v_or_b32_e32 v12, 0x800000, v50
	v_cndmask_b32_e32 v11, v11, v8, vcc
	v_cndmask_b32_e32 v50, v12, v50, vcc
	v_add_u32_e32 v8, 21, v11
	v_lshlrev_b64 v[8:9], v8, -1
	v_add_u32_e32 v12, 20, v11
	v_lshrrev_b64 v[54:55], v11, v[50:51]
	v_not_b32_e32 v9, v9
	v_not_b32_e32 v8, v8
	v_lshlrev_b64 v[24:25], v12, 1
	v_lshrrev_b32_e32 v12, 23, v54
	v_and_b32_e32 v9, 0, v9
	v_and_b32_e32 v8, v50, v8
	v_add3_u32 v15, v11, v15, v12
	v_bfe_u32 v11, v54, 21, 1
	v_add_u32_e32 v11, -1, v11
	v_cmp_eq_u64_e32 vcc, v[8:9], v[24:25]
	v_cndmask_b32_e32 v8, 0, v11, vcc
	v_add_u32_e32 v8, v8, v54
	v_and_b32_e32 v8, 0x1fffff, v8
	v_add_co_u32_e32 v8, vcc, v8, v54
	v_add_u32_e32 v12, 14, v15
	v_addc_co_u32_e32 v9, vcc, 0, v55, vcc
	v_cmp_ne_u32_e32 vcc, 0, v12
                                        ; implicit-def: $vgpr11
	s_and_saveexec_b64 s[30:31], vcc
	s_xor_b64 s[30:31], exec, s[30:31]
; %bb.5479:                             ;   in Loop: Header=BB2_4719 Depth=3
	v_add_u32_e32 v11, 15, v15
	v_cmp_lt_u64_e32 vcc, s[56:57], v[8:9]
	v_cndmask_b32_e32 v11, v12, v11, vcc
	v_cndmask_b32_e64 v12, 0, 1, vcc
	v_lshrrev_b64 v[8:9], v12, v[8:9]
; %bb.5480:                             ;   in Loop: Header=BB2_4719 Depth=3
	s_andn2_saveexec_b64 vcc, s[30:31]
; %bb.5481:                             ;   in Loop: Header=BB2_4719 Depth=3
	v_bfe_u32 v11, v8, 23, 1
; %bb.5482:                             ;   in Loop: Header=BB2_4719 Depth=3
	s_or_b64 exec, exec, vcc
	v_lshrrev_b64 v[8:9], 21, v[8:9]
	v_cmp_gt_i32_e32 vcc, 32, v11
	v_cndmask_b32_e32 v9, 0, v9, vcc
	v_cndmask_b32_e32 v8, 3, v8, vcc
	v_cmp_eq_u64_e64 s[30:31], 0, v[8:9]
	v_min_i32_e32 v9, 31, v11
	v_lshlrev_b32_e32 v9, 2, v9
	v_cmp_eq_u32_e32 vcc, 0, v11
	v_and_b32_e32 v9, 0xfc, v9
	v_and_or_b32 v8, v8, 3, v9
	s_and_b64 vcc, vcc, s[30:31]
	v_cndmask_b32_e64 v8, v8, 0, vcc
	v_or_b32_e32 v11, v8, v10
.LBB2_5483:                             ;   in Loop: Header=BB2_4719 Depth=3
	s_or_b64 exec, exec, s[74:75]
.LBB2_5484:                             ;   in Loop: Header=BB2_4719 Depth=3
	s_or_b64 exec, exec, s[72:73]
                                        ; implicit-def: $vgpr9
.LBB2_5485:                             ;   in Loop: Header=BB2_4719 Depth=3
	s_andn2_saveexec_b64 s[30:31], s[34:35]
; %bb.5486:                             ;   in Loop: Header=BB2_4719 Depth=3
	v_or_b32_sdwa v8, v9, s39 dst_sel:DWORD dst_unused:UNUSED_PAD src0_sel:BYTE_3 src1_sel:DWORD
	v_cmp_eq_u64_e32 vcc, 0, v[50:51]
	v_cndmask_b32_e32 v11, v8, v11, vcc
; %bb.5487:                             ;   in Loop: Header=BB2_4719 Depth=3
	s_or_b64 exec, exec, s[30:31]
	v_lshlrev_b32_e32 v8, 16, v27
	v_lshlrev_b32_e32 v9, 8, v26
	v_perm_b32 v8, v31, v8, s81
	v_perm_b32 v9, v9, v38, s9
	v_or_b32_e32 v9, v8, v9
	v_and_b32_e32 v8, 0xff, v36
	v_lshlrev_b32_e32 v12, 8, v29
	v_lshlrev_b32_e32 v10, 24, v37
	;; [unrolled: 1-line block ×3, first 2 shown]
	v_perm_b32 v12, v12, v28, s9
	v_or3_b32 v8, v10, v8, v12
	v_and_b32_e32 v10, 0xff, v30
	v_lshlrev_b32_e32 v7, 8, v7
	v_lshlrev_b32_e32 v0, 24, v0
	;; [unrolled: 1-line block ×3, first 2 shown]
	v_perm_b32 v7, v7, v39, s9
	v_or3_b32 v10, v0, v10, v7
	v_lshlrev_b32_e32 v0, 8, v13
	v_lshlrev_b32_e32 v7, 16, v14
	v_perm_b32 v0, v0, v52, s9
	v_perm_b32 v7, v11, v7, s81
	v_or_b32_e32 v11, v7, v0
	s_mov_b64 s[34:35], 0
	s_mov_b64 s[72:73], -1
.LBB2_5488:                             ;   Parent Loop BB2_47 Depth=1
                                        ;     Parent Loop BB2_3056 Depth=2
                                        ;       Parent Loop BB2_4719 Depth=3
                                        ; =>      This Inner Loop Header: Depth=4
	s_cmp_eq_u32 s34, 0
	s_cselect_b64 s[30:31], -1, 0
	s_cmp_eq_u32 s34, 1
	s_cselect_b64 s[34:35], -1, 0
	v_cndmask_b32_e64 v12, v4, v16, s[34:35]
	v_cndmask_b32_e64 v13, v5, v17, s[34:35]
	v_add_co_u32_e32 v0, vcc, 0x400, v12
	v_addc_co_u32_e32 v7, vcc, 0, v13, vcc
	v_cndmask_b32_e64 v17, v17, v7, s[34:35]
	v_cndmask_b32_e64 v16, v16, v0, s[34:35]
	;; [unrolled: 1-line block ×4, first 2 shown]
	s_mov_b64 s[34:35], 1
	s_andn2_b64 vcc, exec, s[72:73]
	s_mov_b64 s[72:73], 0
	global_store_dwordx4 v[12:13], v[8:11], off glc slc
	s_cbranch_vccz .LBB2_5488
; %bb.5489:                             ;   in Loop: Header=BB2_4719 Depth=3
	v_accvgpr_read_b32 v0, a42
	v_add_co_u32_e32 v18, vcc, v18, v0
	v_accvgpr_read_b32 v7, a43
	v_addc_co_u32_e32 v19, vcc, v19, v7, vcc
	v_add_co_u32_e32 v20, vcc, v20, v0
	v_addc_co_u32_e32 v21, vcc, v21, v7, vcc
	v_accvgpr_read_b32 v0, a32
	v_add_co_u32_e32 v4, vcc, v4, v0
	v_accvgpr_read_b32 v7, a33
	v_addc_co_u32_e32 v5, vcc, v5, v7, vcc
	v_add_co_u32_e32 v16, vcc, v16, v0
	v_accvgpr_read_b32 v0, a28
	v_addc_co_u32_e32 v17, vcc, v17, v7, vcc
	v_sub_u32_e32 v23, v23, v0
	v_cmp_gt_i32_e32 vcc, 16, v23
	s_or_b64 s[68:69], vcc, s[68:69]
	v_sub_u32_e32 v6, v6, v44
	s_andn2_b64 exec, exec, s[68:69]
	s_cbranch_execnz .LBB2_4719
; %bb.5490:                             ;   in Loop: Header=BB2_3056 Depth=2
	s_or_b64 exec, exec, s[68:69]
	v_accvgpr_read_b32 v43, a7
	v_accvgpr_read_b32 v40, a3
	;; [unrolled: 1-line block ×4, first 2 shown]
.LBB2_5491:                             ;   in Loop: Header=BB2_3056 Depth=2
	s_or_b64 exec, exec, s[66:67]
	buffer_load_dword v0, off, s[0:3], s33 offset:172 ; 4-byte Folded Reload
	s_mov_b64 s[30:31], 0
	v_mov_b32_e32 v7, 0
                                        ; implicit-def: $vgpr31
	s_waitcnt vmcnt(0)
	v_and_b32_e32 v4, 15, v0
	v_cndmask_b32_e64 v30, v22, v4, s[28:29]
	v_cmp_ne_u32_e32 vcc, 0, v30
                                        ; implicit-def: $vgpr0
	s_and_saveexec_b64 s[34:35], vcc
	s_cbranch_execz .LBB2_5493
; %bb.5492:                             ;   in Loop: Header=BB2_3056 Depth=2
	v_sub_u32_e32 v0, v22, v4
	v_cndmask_b32_e64 v0, 0, v0, s[28:29]
	v_cmp_lt_i32_e32 vcc, 0, v6
	v_add3_u32 v7, v3, v1, v0
	v_cndmask_b32_e32 v0, 0, v44, vcc
	v_sub_u32_e32 v0, v0, v6
	v_lshl_add_u32 v31, v0, 6, v2
	v_ashrrev_i32_e32 v0, 31, v31
	v_lshrrev_b32_e32 v0, 26, v0
	v_add_u32_e32 v0, v31, v0
	s_mov_b64 s[30:31], exec
	v_ashrrev_i32_e32 v0, 6, v0
.LBB2_5493:                             ;   in Loop: Header=BB2_3056 Depth=2
	s_or_b64 exec, exec, s[34:35]
	s_and_b64 s[28:29], s[30:31], exec
.LBB2_5494:                             ;   in Loop: Header=BB2_3056 Depth=2
	s_or_b64 exec, exec, s[64:65]
	s_and_saveexec_b64 s[64:65], s[28:29]
	s_cbranch_execz .LBB2_3128
.LBB2_5495:                             ;   in Loop: Header=BB2_3056 Depth=2
	s_waitcnt vmcnt(0)
	v_ashrrev_i32_e32 v1, 31, v30
	v_add_u32_sdwa v1, v30, v1 dst_sel:DWORD dst_unused:UNUSED_PAD src0_sel:DWORD src1_sel:BYTE_3
	v_ashrrev_i32_e32 v3, 8, v1
	v_sub_u32_e32 v1, v3, v0
	v_ashrrev_i32_e32 v2, 31, v31
	v_cmp_lt_i32_e32 vcc, 0, v1
	v_lshrrev_b32_e32 v2, 26, v2
	s_and_saveexec_b64 s[34:35], vcc
	s_cbranch_execz .LBB2_5707
; %bb.5496:                             ;   in Loop: Header=BB2_3056 Depth=2
	s_trap 2
	ds_read_b128 v[8:11], v0
	v_add_u32_e32 v4, v31, v2
	v_and_b32_e32 v4, 0xffffffc0, v4
	v_sub_u32_e32 v4, v31, v4
	v_lshlrev_b32_e32 v0, 8, v0
	v_add3_u32 v0, v7, v4, v0
	v_ashrrev_i32_e32 v6, 31, v0
	s_waitcnt lgkmcnt(0)
	v_add_co_u32_e32 v4, vcc, v8, v0
	v_addc_co_u32_e32 v5, vcc, v9, v6, vcc
	v_add_co_u32_e32 v8, vcc, v10, v0
	v_addc_co_u32_e32 v9, vcc, v11, v6, vcc
	s_bitcmp1_b32 s82, 0
	s_mov_b64 s[66:67], 0
	s_cselect_b64 s[68:69], -1, 0
	v_pk_mov_b32 v[10:11], v[4:5], v[4:5] op_sel:[0,1]
	v_pk_mov_b32 v[12:13], v[8:9], v[8:9] op_sel:[0,1]
	s_branch .LBB2_5498
.LBB2_5497:                             ;   in Loop: Header=BB2_5498 Depth=3
	s_or_b64 exec, exec, s[28:29]
	flat_store_byte v[10:11], v0 glc slc
	flat_store_byte v[10:11], v6 offset:64 glc slc
	flat_store_byte v[10:11], v19 offset:128 glc slc
	;; [unrolled: 1-line block ×3, first 2 shown]
	flat_store_byte v[12:13], v0 glc slc
	flat_store_byte v[12:13], v6 offset:64 glc slc
	flat_store_byte v[12:13], v19 offset:128 glc slc
	;; [unrolled: 1-line block ×3, first 2 shown]
	v_accvgpr_read_b32 v0, a46
	v_add_co_u32_e32 v4, vcc, v4, v0
	v_accvgpr_read_b32 v6, a47
	v_addc_co_u32_e32 v5, vcc, v5, v6, vcc
	v_add_co_u32_e32 v8, vcc, v8, v0
	v_addc_co_u32_e32 v9, vcc, v9, v6, vcc
	v_add_co_u32_e32 v10, vcc, v10, v0
	v_addc_co_u32_e32 v11, vcc, v11, v6, vcc
	v_sub_u32_e32 v1, v1, v44
	v_cmp_gt_i32_e32 vcc, 1, v1
	s_or_b64 s[66:67], vcc, s[66:67]
	v_add_co_u32_e32 v12, vcc, v12, v0
	v_addc_co_u32_e32 v13, vcc, v13, v6, vcc
	s_andn2_b64 exec, exec, s[66:67]
	s_cbranch_execz .LBB2_5706
.LBB2_5498:                             ;   Parent Loop BB2_47 Depth=1
                                        ;     Parent Loop BB2_3056 Depth=2
                                        ; =>    This Inner Loop Header: Depth=3
	flat_load_ubyte v6, v[4:5] glc slc
	flat_load_sbyte v26, v[4:5] offset:64 glc slc
	flat_load_sbyte v20, v[4:5] offset:128 glc slc
	;; [unrolled: 1-line block ×3, first 2 shown]
	flat_load_sbyte v28, v[8:9] glc slc
	flat_load_sbyte v22, v[8:9] offset:64 glc slc
	flat_load_sbyte v18, v[8:9] offset:128 glc slc
	;; [unrolled: 1-line block ×3, first 2 shown]
	s_and_b64 vcc, exec, s[68:69]
	s_waitcnt vmcnt(0) lgkmcnt(0)
	v_bfe_i32 v50, v6, 0, 8
	v_and_b32_e32 v0, 0xffff, v6
	v_cmp_ne_u16_e64 s[28:29], 0, v6
	s_cbranch_vccz .LBB2_5516
; %bb.5499:                             ;   in Loop: Header=BB2_5498 Depth=3
	v_mov_b32_e32 v15, 0
	v_mov_b32_e32 v6, 0
	s_and_saveexec_b64 s[30:31], s[28:29]
	s_cbranch_execz .LBB2_5507
; %bb.5500:                             ;   in Loop: Header=BB2_5498 Depth=3
	v_cmp_ne_u16_e32 vcc, s94, v50
	v_bfrev_b32_e32 v6, 1
	s_and_saveexec_b64 s[70:71], vcc
	s_cbranch_execz .LBB2_5506
; %bb.5501:                             ;   in Loop: Header=BB2_5498 Depth=3
	v_and_b32_e32 v6, 0x7c, v0
	v_and_b32_e32 v17, 3, v0
	v_cmp_ne_u32_e32 vcc, s95, v6
                                        ; implicit-def: $vgpr6
	s_and_saveexec_b64 s[72:73], vcc
	s_xor_b64 s[72:73], exec, s[72:73]
	s_cbranch_execz .LBB2_5503
; %bb.5502:                             ;   in Loop: Header=BB2_5498 Depth=3
	v_ffbh_u32_e32 v21, v17
	v_bfe_u32 v6, v0, 2, 5
	v_min_u32_e32 v21, 32, v21
	v_subrev_u32_e32 v23, 29, v21
	v_sub_u32_e32 v21, 30, v21
	v_cmp_eq_u32_e32 vcc, 0, v6
	v_lshlrev_b64 v[24:25], v23, v[50:51]
	v_cndmask_b32_e32 v6, v6, v21, vcc
	v_bfrev_b32_e32 v21, 28
	v_bfe_i32 v19, v50, 0, 16
	v_and_b32_e32 v23, 3, v24
	v_lshl_add_u32 v6, v6, 23, v21
	v_cndmask_b32_e32 v17, v17, v23, vcc
	v_and_or_b32 v6, v19, s96, v6
	v_lshl_or_b32 v6, v17, 21, v6
                                        ; implicit-def: $vgpr17
.LBB2_5503:                             ;   in Loop: Header=BB2_5498 Depth=3
	s_andn2_saveexec_b64 s[72:73], s[72:73]
; %bb.5504:                             ;   in Loop: Header=BB2_5498 Depth=3
	v_cmp_lt_i16_e32 vcc, -1, v50
	v_mov_b32_e32 v6, 0xc7600000
	v_mov_b32_e32 v19, 0x47600000
	v_cndmask_b32_e32 v6, v6, v19, vcc
	v_cmp_eq_u32_e32 vcc, 0, v17
	v_mov_b32_e32 v17, 0x7f800001
	v_cndmask_b32_e32 v6, v17, v6, vcc
; %bb.5505:                             ;   in Loop: Header=BB2_5498 Depth=3
	s_or_b64 exec, exec, s[72:73]
.LBB2_5506:                             ;   in Loop: Header=BB2_5498 Depth=3
	s_or_b64 exec, exec, s[70:71]
.LBB2_5507:                             ;   in Loop: Header=BB2_5498 Depth=3
	s_or_b64 exec, exec, s[30:31]
	v_cmp_ne_u16_e32 vcc, 0, v28
	s_and_saveexec_b64 s[30:31], vcc
	s_cbranch_execz .LBB2_5515
; %bb.5508:                             ;   in Loop: Header=BB2_5498 Depth=3
	v_cmp_ne_u16_e32 vcc, s94, v28
	v_bfrev_b32_e32 v15, 1
	s_and_saveexec_b64 s[70:71], vcc
	s_cbranch_execz .LBB2_5514
; %bb.5509:                             ;   in Loop: Header=BB2_5498 Depth=3
	v_and_b32_e32 v15, 0x7c, v28
	v_and_b32_e32 v17, 3, v28
	v_cmp_ne_u32_e32 vcc, s95, v15
                                        ; implicit-def: $vgpr15
	s_and_saveexec_b64 s[72:73], vcc
	s_xor_b64 s[72:73], exec, s[72:73]
	s_cbranch_execz .LBB2_5511
; %bb.5510:                             ;   in Loop: Header=BB2_5498 Depth=3
	v_and_b32_e32 v15, 0xff, v28
	v_ffbh_u32_e32 v21, v17
	v_bfe_u32 v15, v15, 2, 5
	v_min_u32_e32 v21, 32, v21
	v_mov_b32_e32 v29, v51
	v_subrev_u32_e32 v23, 29, v21
	v_sub_u32_e32 v21, 30, v21
	v_cmp_eq_u32_e32 vcc, 0, v15
	v_lshlrev_b64 v[24:25], v23, v[28:29]
	v_cndmask_b32_e32 v15, v15, v21, vcc
	v_bfrev_b32_e32 v21, 28
	v_bfe_i32 v19, v28, 0, 16
	v_and_b32_e32 v23, 3, v24
	v_lshl_add_u32 v15, v15, 23, v21
	v_cndmask_b32_e32 v17, v17, v23, vcc
	v_and_or_b32 v15, v19, s96, v15
	v_lshl_or_b32 v15, v17, 21, v15
                                        ; implicit-def: $vgpr17
.LBB2_5511:                             ;   in Loop: Header=BB2_5498 Depth=3
	s_andn2_saveexec_b64 s[72:73], s[72:73]
; %bb.5512:                             ;   in Loop: Header=BB2_5498 Depth=3
	v_cmp_lt_i16_e32 vcc, -1, v28
	v_mov_b32_e32 v15, 0xc7600000
	v_mov_b32_e32 v19, 0x47600000
	v_cndmask_b32_e32 v15, v15, v19, vcc
	v_cmp_eq_u32_e32 vcc, 0, v17
	v_mov_b32_e32 v17, 0x7f800001
	v_cndmask_b32_e32 v15, v17, v15, vcc
; %bb.5513:                             ;   in Loop: Header=BB2_5498 Depth=3
	s_or_b64 exec, exec, s[72:73]
.LBB2_5514:                             ;   in Loop: Header=BB2_5498 Depth=3
	s_or_b64 exec, exec, s[70:71]
.LBB2_5515:                             ;   in Loop: Header=BB2_5498 Depth=3
	s_or_b64 exec, exec, s[30:31]
	v_max_f32_e32 v15, v15, v15
	v_max_f32_e32 v6, v6, v6
	;; [unrolled: 1-line block ×3, first 2 shown]
	s_branch .LBB2_5534
.LBB2_5516:                             ;   in Loop: Header=BB2_5498 Depth=3
                                        ; implicit-def: $vgpr15
	s_cbranch_execz .LBB2_5534
; %bb.5517:                             ;   in Loop: Header=BB2_5498 Depth=3
	v_mov_b32_e32 v15, 0
	v_mov_b32_e32 v6, 0
	s_and_saveexec_b64 s[30:31], s[28:29]
	s_cbranch_execz .LBB2_5525
; %bb.5518:                             ;   in Loop: Header=BB2_5498 Depth=3
	v_cmp_ne_u16_e32 vcc, s94, v50
	v_bfrev_b32_e32 v6, 1
	s_and_saveexec_b64 s[28:29], vcc
	s_cbranch_execz .LBB2_5524
; %bb.5519:                             ;   in Loop: Header=BB2_5498 Depth=3
	v_and_b32_e32 v6, 0x7c, v0
	v_and_b32_e32 v17, 3, v0
	v_cmp_ne_u32_e32 vcc, s95, v6
                                        ; implicit-def: $vgpr6
	s_and_saveexec_b64 s[70:71], vcc
	s_xor_b64 s[70:71], exec, s[70:71]
	s_cbranch_execz .LBB2_5521
; %bb.5520:                             ;   in Loop: Header=BB2_5498 Depth=3
	v_ffbh_u32_e32 v19, v17
	v_bfe_u32 v0, v0, 2, 5
	v_min_u32_e32 v19, 32, v19
	v_subrev_u32_e32 v21, 29, v19
	v_sub_u32_e32 v19, 30, v19
	v_cmp_eq_u32_e32 vcc, 0, v0
	v_lshlrev_b64 v[24:25], v21, v[50:51]
	v_cndmask_b32_e32 v0, v0, v19, vcc
	v_bfrev_b32_e32 v19, 28
	v_bfe_i32 v6, v50, 0, 16
	v_and_b32_e32 v21, 3, v24
	v_lshl_add_u32 v0, v0, 23, v19
	v_cndmask_b32_e32 v17, v17, v21, vcc
	v_and_or_b32 v0, v6, s96, v0
	v_lshl_or_b32 v6, v17, 21, v0
                                        ; implicit-def: $vgpr17
.LBB2_5521:                             ;   in Loop: Header=BB2_5498 Depth=3
	s_andn2_saveexec_b64 s[70:71], s[70:71]
; %bb.5522:                             ;   in Loop: Header=BB2_5498 Depth=3
	v_cmp_lt_i16_e32 vcc, -1, v50
	v_mov_b32_e32 v0, 0xc7600000
	v_mov_b32_e32 v6, 0x47600000
	v_cndmask_b32_e32 v0, v0, v6, vcc
	v_cmp_eq_u32_e32 vcc, 0, v17
	v_mov_b32_e32 v6, 0x7f800001
	v_cndmask_b32_e32 v6, v6, v0, vcc
; %bb.5523:                             ;   in Loop: Header=BB2_5498 Depth=3
	s_or_b64 exec, exec, s[70:71]
.LBB2_5524:                             ;   in Loop: Header=BB2_5498 Depth=3
	s_or_b64 exec, exec, s[28:29]
.LBB2_5525:                             ;   in Loop: Header=BB2_5498 Depth=3
	s_or_b64 exec, exec, s[30:31]
	v_cmp_ne_u16_e32 vcc, 0, v28
	s_and_saveexec_b64 s[28:29], vcc
	s_cbranch_execz .LBB2_5533
; %bb.5526:                             ;   in Loop: Header=BB2_5498 Depth=3
	v_cmp_ne_u16_e32 vcc, s94, v28
	v_bfrev_b32_e32 v15, 1
	s_and_saveexec_b64 s[30:31], vcc
	s_cbranch_execz .LBB2_5532
; %bb.5527:                             ;   in Loop: Header=BB2_5498 Depth=3
	v_and_b32_e32 v15, 0x7c, v28
	v_and_b32_e32 v0, 3, v28
	v_cmp_ne_u32_e32 vcc, s95, v15
                                        ; implicit-def: $vgpr15
	s_and_saveexec_b64 s[70:71], vcc
	s_xor_b64 s[70:71], exec, s[70:71]
	s_cbranch_execz .LBB2_5529
; %bb.5528:                             ;   in Loop: Header=BB2_5498 Depth=3
	v_and_b32_e32 v15, 0xff, v28
	v_ffbh_u32_e32 v19, v0
	v_bfe_u32 v15, v15, 2, 5
	v_min_u32_e32 v19, 32, v19
	v_mov_b32_e32 v29, v51
	v_subrev_u32_e32 v21, 29, v19
	v_sub_u32_e32 v19, 30, v19
	v_cmp_eq_u32_e32 vcc, 0, v15
	v_lshlrev_b64 v[24:25], v21, v[28:29]
	v_cndmask_b32_e32 v15, v15, v19, vcc
	v_bfrev_b32_e32 v19, 28
	v_bfe_i32 v17, v28, 0, 16
	v_and_b32_e32 v21, 3, v24
	v_lshl_add_u32 v15, v15, 23, v19
	v_cndmask_b32_e32 v0, v0, v21, vcc
	v_and_or_b32 v15, v17, s96, v15
	v_lshl_or_b32 v15, v0, 21, v15
                                        ; implicit-def: $vgpr0
                                        ; implicit-def: $vgpr28
.LBB2_5529:                             ;   in Loop: Header=BB2_5498 Depth=3
	s_andn2_saveexec_b64 s[70:71], s[70:71]
; %bb.5530:                             ;   in Loop: Header=BB2_5498 Depth=3
	v_cmp_lt_i16_e32 vcc, -1, v28
	v_mov_b32_e32 v15, 0xc7600000
	v_mov_b32_e32 v17, 0x47600000
	v_cndmask_b32_e32 v15, v15, v17, vcc
	v_cmp_eq_u32_e32 vcc, 0, v0
	v_mov_b32_e32 v0, 0x7f800001
	v_cndmask_b32_e32 v15, v0, v15, vcc
; %bb.5531:                             ;   in Loop: Header=BB2_5498 Depth=3
	s_or_b64 exec, exec, s[70:71]
.LBB2_5532:                             ;   in Loop: Header=BB2_5498 Depth=3
	s_or_b64 exec, exec, s[30:31]
.LBB2_5533:                             ;   in Loop: Header=BB2_5498 Depth=3
	s_or_b64 exec, exec, s[28:29]
	v_max_f32_e32 v0, v15, v15
	v_max_f32_e32 v6, v6, v6
	v_min_f32_e32 v15, v6, v0
.LBB2_5534:                             ;   in Loop: Header=BB2_5498 Depth=3
	v_and_b32_sdwa v6, v15, s97 dst_sel:DWORD dst_unused:UNUSED_PAD src0_sel:BYTE_3 src1_sel:DWORD
	v_and_b32_e32 v24, 0x7f800000, v15
	v_mov_b32_e32 v25, v51
	v_and_b32_e32 v50, 0x7fffff, v15
	v_or_b32_e32 v0, 0x7b, v6
	v_cmp_ne_u64_e32 vcc, s[52:53], v[24:25]
	s_and_saveexec_b64 s[28:29], vcc
	s_xor_b64 s[30:31], exec, s[28:29]
	s_cbranch_execz .LBB2_5548
; %bb.5535:                             ;   in Loop: Header=BB2_5498 Depth=3
	v_and_b32_e32 v24, 0x7fffffff, v15
	v_mov_b32_e32 v25, v51
	v_cmp_gt_u64_e32 vcc, s[54:55], v[24:25]
	s_and_saveexec_b64 s[28:29], vcc
	s_xor_b64 s[70:71], exec, s[28:29]
	s_cbranch_execz .LBB2_5547
; %bb.5536:                             ;   in Loop: Header=BB2_5498 Depth=3
	v_cmp_ne_u32_e32 vcc, 0, v15
	v_mov_b32_e32 v0, 0
	s_and_saveexec_b64 s[72:73], vcc
	s_cbranch_execz .LBB2_5546
; %bb.5537:                             ;   in Loop: Header=BB2_5498 Depth=3
	v_bfe_u32 v0, v15, 23, 8
	v_sub_u32_e32 v17, 0x71, v0
	v_cmp_gt_u32_e32 vcc, s38, v0
	v_add_u32_e32 v15, 0xffffff81, v0
	v_cndmask_b32_e32 v17, 0, v17, vcc
	v_cmp_eq_u32_e32 vcc, 0, v0
	v_mov_b32_e32 v0, 0xffffff82
	v_cndmask_b32_e32 v0, v15, v0, vcc
	v_mov_b32_e32 v15, 0x70
	v_cndmask_b32_e32 v15, v17, v15, vcc
	v_add_u32_e32 v17, 21, v15
	v_or_b32_e32 v19, 0x800000, v50
	v_lshlrev_b64 v[24:25], v17, -1
	v_cndmask_b32_e32 v50, v19, v50, vcc
	v_not_b32_e32 v17, v25
	v_and_b32_e32 v25, 0, v17
	v_add_u32_e32 v17, 20, v15
	v_lshrrev_b64 v[36:37], v15, v[50:51]
	v_not_b32_e32 v19, v24
	v_lshlrev_b64 v[28:29], v17, 1
	v_lshrrev_b32_e32 v17, 23, v36
	v_and_b32_e32 v24, v50, v19
	v_add3_u32 v17, v15, v0, v17
	v_bfe_u32 v15, v36, 21, 1
	v_add_u32_e32 v15, -1, v15
	v_cmp_eq_u64_e32 vcc, v[24:25], v[28:29]
	v_cndmask_b32_e32 v15, 0, v15, vcc
	v_add_u32_e32 v15, v15, v36
	v_and_b32_e32 v15, 0x1fffff, v15
	v_add_co_u32_e32 v28, vcc, v15, v36
	v_add_u32_e32 v0, 14, v17
	v_addc_co_u32_e32 v29, vcc, 0, v37, vcc
	v_cmp_ne_u32_e32 vcc, 0, v0
                                        ; implicit-def: $vgpr15
	s_and_saveexec_b64 s[28:29], vcc
	s_xor_b64 s[28:29], exec, s[28:29]
; %bb.5538:                             ;   in Loop: Header=BB2_5498 Depth=3
	v_add_u32_e32 v15, 15, v17
	v_cmp_lt_u64_e32 vcc, s[56:57], v[28:29]
	v_cndmask_b32_e32 v15, v0, v15, vcc
	v_cndmask_b32_e64 v0, 0, 1, vcc
	v_lshrrev_b64 v[28:29], v0, v[28:29]
; %bb.5539:                             ;   in Loop: Header=BB2_5498 Depth=3
	s_andn2_saveexec_b64 s[28:29], s[28:29]
; %bb.5540:                             ;   in Loop: Header=BB2_5498 Depth=3
	v_bfe_u32 v15, v28, 23, 1
; %bb.5541:                             ;   in Loop: Header=BB2_5498 Depth=3
	s_or_b64 exec, exec, s[28:29]
	v_lshrrev_b64 v[24:25], 21, v[28:29]
	v_cmp_gt_i32_e32 vcc, 32, v15
	v_cndmask_b32_e32 v29, 0, v25, vcc
	v_cndmask_b32_e32 v28, 3, v24, vcc
	v_cmp_ne_u32_e32 vcc, 0, v15
	v_cmp_ne_u64_e64 s[28:29], 0, v[28:29]
	s_or_b64 s[28:29], vcc, s[28:29]
                                        ; implicit-def: $vgpr0
	s_and_saveexec_b64 vcc, s[28:29]
	s_xor_b64 s[28:29], exec, vcc
; %bb.5542:                             ;   in Loop: Header=BB2_5498 Depth=3
	v_min_i32_e32 v0, 31, v15
	v_lshl_or_b32 v0, v0, 2, v6
	v_and_or_b32 v0, v28, 3, v0
                                        ; implicit-def: $vgpr6
; %bb.5543:                             ;   in Loop: Header=BB2_5498 Depth=3
	s_andn2_saveexec_b64 s[28:29], s[28:29]
; %bb.5544:                             ;   in Loop: Header=BB2_5498 Depth=3
	v_mov_b32_e32 v0, v6
; %bb.5545:                             ;   in Loop: Header=BB2_5498 Depth=3
	s_or_b64 exec, exec, s[28:29]
.LBB2_5546:                             ;   in Loop: Header=BB2_5498 Depth=3
	s_or_b64 exec, exec, s[72:73]
.LBB2_5547:                             ;   in Loop: Header=BB2_5498 Depth=3
	s_andn2_saveexec_b64 s[28:29], s[70:71]
	s_or_b64 exec, exec, s[28:29]
                                        ; implicit-def: $vgpr15
.LBB2_5548:                             ;   in Loop: Header=BB2_5498 Depth=3
	s_andn2_saveexec_b64 s[28:29], s[30:31]
; %bb.5549:                             ;   in Loop: Header=BB2_5498 Depth=3
	v_or_b32_sdwa v6, v15, s39 dst_sel:DWORD dst_unused:UNUSED_PAD src0_sel:BYTE_3 src1_sel:DWORD
	v_cmp_eq_u64_e32 vcc, 0, v[50:51]
	v_cndmask_b32_e32 v0, v6, v0, vcc
; %bb.5550:                             ;   in Loop: Header=BB2_5498 Depth=3
	s_or_b64 exec, exec, s[28:29]
	v_cndmask_b32_e64 v15, 0, 1, s[68:69]
	v_and_b32_e32 v6, 0xff, v26
	v_cmp_ne_u32_e64 s[28:29], 1, v15
	s_andn2_b64 vcc, exec, s[68:69]
	v_cmp_ne_u16_e64 s[30:31], 0, v26
	s_cbranch_vccnz .LBB2_5568
; %bb.5551:                             ;   in Loop: Header=BB2_5498 Depth=3
	v_mov_b32_e32 v17, 0
	v_mov_b32_e32 v15, 0
	s_and_saveexec_b64 s[70:71], s[30:31]
	s_cbranch_execz .LBB2_5559
; %bb.5552:                             ;   in Loop: Header=BB2_5498 Depth=3
	v_cmp_ne_u16_e32 vcc, s94, v26
	v_bfrev_b32_e32 v15, 1
	s_and_saveexec_b64 s[72:73], vcc
	s_cbranch_execz .LBB2_5558
; %bb.5553:                             ;   in Loop: Header=BB2_5498 Depth=3
	v_and_b32_e32 v15, 0x7c, v6
	v_and_b32_e32 v19, 3, v6
	v_cmp_ne_u32_e32 vcc, s95, v15
                                        ; implicit-def: $vgpr15
	s_and_saveexec_b64 s[74:75], vcc
	s_xor_b64 s[74:75], exec, s[74:75]
	s_cbranch_execz .LBB2_5555
; %bb.5554:                             ;   in Loop: Header=BB2_5498 Depth=3
	v_ffbh_u32_e32 v23, v19
	v_bfe_u32 v15, v6, 2, 5
	v_min_u32_e32 v23, 32, v23
	v_mov_b32_e32 v27, v51
	v_subrev_u32_e32 v24, 29, v23
	v_sub_u32_e32 v23, 30, v23
	v_cmp_eq_u32_e32 vcc, 0, v15
	v_lshlrev_b64 v[24:25], v24, v[26:27]
	v_cndmask_b32_e32 v15, v15, v23, vcc
	v_bfrev_b32_e32 v23, 28
	v_bfe_i32 v21, v26, 0, 16
	v_and_b32_e32 v24, 3, v24
	v_lshl_add_u32 v15, v15, 23, v23
	v_cndmask_b32_e32 v19, v19, v24, vcc
	v_and_or_b32 v15, v21, s96, v15
	v_lshl_or_b32 v15, v19, 21, v15
                                        ; implicit-def: $vgpr19
.LBB2_5555:                             ;   in Loop: Header=BB2_5498 Depth=3
	s_andn2_saveexec_b64 s[74:75], s[74:75]
; %bb.5556:                             ;   in Loop: Header=BB2_5498 Depth=3
	v_cmp_lt_i16_e32 vcc, -1, v26
	v_mov_b32_e32 v15, 0xc7600000
	v_mov_b32_e32 v21, 0x47600000
	v_cndmask_b32_e32 v15, v15, v21, vcc
	v_cmp_eq_u32_e32 vcc, 0, v19
	v_mov_b32_e32 v19, 0x7f800001
	v_cndmask_b32_e32 v15, v19, v15, vcc
; %bb.5557:                             ;   in Loop: Header=BB2_5498 Depth=3
	s_or_b64 exec, exec, s[74:75]
.LBB2_5558:                             ;   in Loop: Header=BB2_5498 Depth=3
	s_or_b64 exec, exec, s[72:73]
.LBB2_5559:                             ;   in Loop: Header=BB2_5498 Depth=3
	s_or_b64 exec, exec, s[70:71]
	v_cmp_ne_u16_e32 vcc, 0, v22
	s_and_saveexec_b64 s[70:71], vcc
	s_cbranch_execz .LBB2_5567
; %bb.5560:                             ;   in Loop: Header=BB2_5498 Depth=3
	v_cmp_ne_u16_e32 vcc, s94, v22
	v_bfrev_b32_e32 v17, 1
	s_and_saveexec_b64 s[72:73], vcc
	s_cbranch_execz .LBB2_5566
; %bb.5561:                             ;   in Loop: Header=BB2_5498 Depth=3
	v_and_b32_e32 v17, 0x7c, v22
	v_and_b32_e32 v19, 3, v22
	v_cmp_ne_u32_e32 vcc, s95, v17
                                        ; implicit-def: $vgpr17
	s_and_saveexec_b64 s[74:75], vcc
	s_xor_b64 s[74:75], exec, s[74:75]
	s_cbranch_execz .LBB2_5563
; %bb.5562:                             ;   in Loop: Header=BB2_5498 Depth=3
	v_ffbh_u32_e32 v24, v19
	v_and_b32_e32 v17, 0xff, v22
	v_min_u32_e32 v27, 32, v24
	v_mov_b32_e32 v23, v51
	v_bfe_u32 v17, v17, 2, 5
	v_subrev_u32_e32 v24, 29, v27
	v_lshlrev_b64 v[24:25], v24, v[22:23]
	v_sub_u32_e32 v23, 30, v27
	v_cmp_eq_u32_e32 vcc, 0, v17
	v_cndmask_b32_e32 v17, v17, v23, vcc
	v_bfrev_b32_e32 v23, 28
	v_bfe_i32 v21, v22, 0, 16
	v_and_b32_e32 v24, 3, v24
	v_lshl_add_u32 v17, v17, 23, v23
	v_cndmask_b32_e32 v19, v19, v24, vcc
	v_and_or_b32 v17, v21, s96, v17
	v_lshl_or_b32 v17, v19, 21, v17
                                        ; implicit-def: $vgpr19
.LBB2_5563:                             ;   in Loop: Header=BB2_5498 Depth=3
	s_andn2_saveexec_b64 s[74:75], s[74:75]
; %bb.5564:                             ;   in Loop: Header=BB2_5498 Depth=3
	v_cmp_lt_i16_e32 vcc, -1, v22
	v_mov_b32_e32 v17, 0xc7600000
	v_mov_b32_e32 v21, 0x47600000
	v_cndmask_b32_e32 v17, v17, v21, vcc
	v_cmp_eq_u32_e32 vcc, 0, v19
	v_mov_b32_e32 v19, 0x7f800001
	v_cndmask_b32_e32 v17, v19, v17, vcc
; %bb.5565:                             ;   in Loop: Header=BB2_5498 Depth=3
	s_or_b64 exec, exec, s[74:75]
.LBB2_5566:                             ;   in Loop: Header=BB2_5498 Depth=3
	s_or_b64 exec, exec, s[72:73]
.LBB2_5567:                             ;   in Loop: Header=BB2_5498 Depth=3
	s_or_b64 exec, exec, s[70:71]
	v_max_f32_e32 v17, v17, v17
	v_max_f32_e32 v15, v15, v15
	;; [unrolled: 1-line block ×3, first 2 shown]
	s_branch .LBB2_5586
.LBB2_5568:                             ;   in Loop: Header=BB2_5498 Depth=3
                                        ; implicit-def: $vgpr17
	s_cbranch_execz .LBB2_5586
; %bb.5569:                             ;   in Loop: Header=BB2_5498 Depth=3
	v_mov_b32_e32 v17, 0
	v_mov_b32_e32 v15, 0
	s_and_saveexec_b64 s[70:71], s[30:31]
	s_cbranch_execz .LBB2_5577
; %bb.5570:                             ;   in Loop: Header=BB2_5498 Depth=3
	v_cmp_ne_u16_e32 vcc, s94, v26
	v_bfrev_b32_e32 v15, 1
	s_and_saveexec_b64 s[30:31], vcc
	s_cbranch_execz .LBB2_5576
; %bb.5571:                             ;   in Loop: Header=BB2_5498 Depth=3
	v_and_b32_e32 v15, 0x7c, v6
	v_and_b32_e32 v19, 3, v6
	v_cmp_ne_u32_e32 vcc, s95, v15
                                        ; implicit-def: $vgpr15
	s_and_saveexec_b64 s[72:73], vcc
	s_xor_b64 s[72:73], exec, s[72:73]
	s_cbranch_execz .LBB2_5573
; %bb.5572:                             ;   in Loop: Header=BB2_5498 Depth=3
	v_ffbh_u32_e32 v21, v19
	v_bfe_u32 v6, v6, 2, 5
	v_min_u32_e32 v21, 32, v21
	v_mov_b32_e32 v27, v51
	v_subrev_u32_e32 v23, 29, v21
	v_sub_u32_e32 v21, 30, v21
	v_cmp_eq_u32_e32 vcc, 0, v6
	v_lshlrev_b64 v[24:25], v23, v[26:27]
	v_cndmask_b32_e32 v6, v6, v21, vcc
	v_bfrev_b32_e32 v21, 28
	v_bfe_i32 v15, v26, 0, 16
	v_and_b32_e32 v23, 3, v24
	v_lshl_add_u32 v6, v6, 23, v21
	v_cndmask_b32_e32 v19, v19, v23, vcc
	v_and_or_b32 v6, v15, s96, v6
	v_lshl_or_b32 v15, v19, 21, v6
                                        ; implicit-def: $vgpr19
                                        ; implicit-def: $vgpr26
.LBB2_5573:                             ;   in Loop: Header=BB2_5498 Depth=3
	s_andn2_saveexec_b64 s[72:73], s[72:73]
; %bb.5574:                             ;   in Loop: Header=BB2_5498 Depth=3
	v_cmp_lt_i16_e32 vcc, -1, v26
	v_mov_b32_e32 v6, 0xc7600000
	v_mov_b32_e32 v15, 0x47600000
	v_cndmask_b32_e32 v6, v6, v15, vcc
	v_cmp_eq_u32_e32 vcc, 0, v19
	v_mov_b32_e32 v15, 0x7f800001
	v_cndmask_b32_e32 v15, v15, v6, vcc
; %bb.5575:                             ;   in Loop: Header=BB2_5498 Depth=3
	s_or_b64 exec, exec, s[72:73]
.LBB2_5576:                             ;   in Loop: Header=BB2_5498 Depth=3
	s_or_b64 exec, exec, s[30:31]
.LBB2_5577:                             ;   in Loop: Header=BB2_5498 Depth=3
	s_or_b64 exec, exec, s[70:71]
	v_cmp_ne_u16_e32 vcc, 0, v22
	s_and_saveexec_b64 s[30:31], vcc
	s_cbranch_execz .LBB2_5585
; %bb.5578:                             ;   in Loop: Header=BB2_5498 Depth=3
	v_cmp_ne_u16_e32 vcc, s94, v22
	v_bfrev_b32_e32 v17, 1
	s_and_saveexec_b64 s[70:71], vcc
	s_cbranch_execz .LBB2_5584
; %bb.5579:                             ;   in Loop: Header=BB2_5498 Depth=3
	v_and_b32_e32 v17, 0x7c, v22
	v_and_b32_e32 v6, 3, v22
	v_cmp_ne_u32_e32 vcc, s95, v17
                                        ; implicit-def: $vgpr17
	s_and_saveexec_b64 s[72:73], vcc
	s_xor_b64 s[72:73], exec, s[72:73]
	s_cbranch_execz .LBB2_5581
; %bb.5580:                             ;   in Loop: Header=BB2_5498 Depth=3
	v_and_b32_e32 v17, 0xff, v22
	v_ffbh_u32_e32 v21, v6
	v_bfe_u32 v17, v17, 2, 5
	v_min_u32_e32 v21, 32, v21
	v_mov_b32_e32 v23, v51
	v_subrev_u32_e32 v24, 29, v21
	v_sub_u32_e32 v21, 30, v21
	v_cmp_eq_u32_e32 vcc, 0, v17
	v_bfe_i32 v19, v22, 0, 16
	v_lshlrev_b64 v[22:23], v24, v[22:23]
	v_cndmask_b32_e32 v17, v17, v21, vcc
	v_bfrev_b32_e32 v21, 28
	v_and_b32_e32 v22, 3, v22
	v_lshl_add_u32 v17, v17, 23, v21
	v_cndmask_b32_e32 v6, v6, v22, vcc
	v_and_or_b32 v17, v19, s96, v17
	v_lshl_or_b32 v17, v6, 21, v17
                                        ; implicit-def: $vgpr6
                                        ; implicit-def: $vgpr22
.LBB2_5581:                             ;   in Loop: Header=BB2_5498 Depth=3
	s_andn2_saveexec_b64 s[72:73], s[72:73]
; %bb.5582:                             ;   in Loop: Header=BB2_5498 Depth=3
	v_cmp_lt_i16_e32 vcc, -1, v22
	v_mov_b32_e32 v17, 0xc7600000
	v_mov_b32_e32 v19, 0x47600000
	v_cndmask_b32_e32 v17, v17, v19, vcc
	v_cmp_eq_u32_e32 vcc, 0, v6
	v_mov_b32_e32 v6, 0x7f800001
	v_cndmask_b32_e32 v17, v6, v17, vcc
; %bb.5583:                             ;   in Loop: Header=BB2_5498 Depth=3
	s_or_b64 exec, exec, s[72:73]
.LBB2_5584:                             ;   in Loop: Header=BB2_5498 Depth=3
	s_or_b64 exec, exec, s[70:71]
.LBB2_5585:                             ;   in Loop: Header=BB2_5498 Depth=3
	s_or_b64 exec, exec, s[30:31]
	v_max_f32_e32 v6, v17, v17
	v_max_f32_e32 v15, v15, v15
	v_min_f32_e32 v17, v15, v6
.LBB2_5586:                             ;   in Loop: Header=BB2_5498 Depth=3
	v_and_b32_sdwa v15, v17, s97 dst_sel:DWORD dst_unused:UNUSED_PAD src0_sel:BYTE_3 src1_sel:DWORD
	v_and_b32_e32 v22, 0x7f800000, v17
	v_mov_b32_e32 v23, v51
	v_and_b32_e32 v50, 0x7fffff, v17
	v_or_b32_e32 v6, 0x7b, v15
	v_cmp_ne_u64_e32 vcc, s[52:53], v[22:23]
	s_and_saveexec_b64 s[30:31], vcc
	s_xor_b64 s[70:71], exec, s[30:31]
	s_cbranch_execz .LBB2_5600
; %bb.5587:                             ;   in Loop: Header=BB2_5498 Depth=3
	v_and_b32_e32 v22, 0x7fffffff, v17
	v_mov_b32_e32 v23, v51
	v_cmp_gt_u64_e32 vcc, s[54:55], v[22:23]
	s_and_saveexec_b64 s[30:31], vcc
	s_xor_b64 s[72:73], exec, s[30:31]
	s_cbranch_execz .LBB2_5599
; %bb.5588:                             ;   in Loop: Header=BB2_5498 Depth=3
	v_cmp_ne_u32_e32 vcc, 0, v17
	v_mov_b32_e32 v6, 0
	s_and_saveexec_b64 s[74:75], vcc
	s_cbranch_execz .LBB2_5598
; %bb.5589:                             ;   in Loop: Header=BB2_5498 Depth=3
	v_bfe_u32 v6, v17, 23, 8
	v_sub_u32_e32 v19, 0x71, v6
	v_cmp_gt_u32_e32 vcc, s38, v6
	v_add_u32_e32 v17, 0xffffff81, v6
	v_cndmask_b32_e32 v19, 0, v19, vcc
	v_cmp_eq_u32_e32 vcc, 0, v6
	v_mov_b32_e32 v6, 0xffffff82
	v_cndmask_b32_e32 v6, v17, v6, vcc
	v_mov_b32_e32 v17, 0x70
	v_cndmask_b32_e32 v17, v19, v17, vcc
	v_add_u32_e32 v19, 21, v17
	v_or_b32_e32 v21, 0x800000, v50
	v_lshlrev_b64 v[22:23], v19, -1
	v_cndmask_b32_e32 v50, v21, v50, vcc
	v_not_b32_e32 v19, v23
	v_and_b32_e32 v23, 0, v19
	v_add_u32_e32 v19, 20, v17
	v_lshrrev_b64 v[26:27], v17, v[50:51]
	v_not_b32_e32 v21, v22
	v_lshlrev_b64 v[24:25], v19, 1
	v_lshrrev_b32_e32 v19, 23, v26
	v_and_b32_e32 v22, v50, v21
	v_add3_u32 v19, v17, v6, v19
	v_bfe_u32 v17, v26, 21, 1
	v_add_u32_e32 v17, -1, v17
	v_cmp_eq_u64_e32 vcc, v[22:23], v[24:25]
	v_cndmask_b32_e32 v17, 0, v17, vcc
	v_add_u32_e32 v17, v17, v26
	v_and_b32_e32 v17, 0x1fffff, v17
	v_add_co_u32_e32 v22, vcc, v17, v26
	v_add_u32_e32 v6, 14, v19
	v_addc_co_u32_e32 v23, vcc, 0, v27, vcc
	v_cmp_ne_u32_e32 vcc, 0, v6
                                        ; implicit-def: $vgpr17
	s_and_saveexec_b64 s[30:31], vcc
	s_xor_b64 s[30:31], exec, s[30:31]
; %bb.5590:                             ;   in Loop: Header=BB2_5498 Depth=3
	v_add_u32_e32 v17, 15, v19
	v_cmp_lt_u64_e32 vcc, s[56:57], v[22:23]
	v_cndmask_b32_e32 v17, v6, v17, vcc
	v_cndmask_b32_e64 v6, 0, 1, vcc
	v_lshrrev_b64 v[22:23], v6, v[22:23]
; %bb.5591:                             ;   in Loop: Header=BB2_5498 Depth=3
	s_andn2_saveexec_b64 vcc, s[30:31]
; %bb.5592:                             ;   in Loop: Header=BB2_5498 Depth=3
	v_bfe_u32 v17, v22, 23, 1
; %bb.5593:                             ;   in Loop: Header=BB2_5498 Depth=3
	s_or_b64 exec, exec, vcc
	v_lshrrev_b64 v[22:23], 21, v[22:23]
	v_cmp_gt_i32_e32 vcc, 32, v17
	v_cndmask_b32_e32 v23, 0, v23, vcc
	v_cndmask_b32_e32 v22, 3, v22, vcc
	v_cmp_ne_u32_e32 vcc, 0, v17
	v_cmp_ne_u64_e64 s[30:31], 0, v[22:23]
	s_or_b64 vcc, vcc, s[30:31]
                                        ; implicit-def: $vgpr6
	s_and_saveexec_b64 s[30:31], vcc
	s_xor_b64 vcc, exec, s[30:31]
; %bb.5594:                             ;   in Loop: Header=BB2_5498 Depth=3
	v_min_i32_e32 v6, 31, v17
	v_lshl_or_b32 v6, v6, 2, v15
	v_and_or_b32 v6, v22, 3, v6
                                        ; implicit-def: $vgpr15
; %bb.5595:                             ;   in Loop: Header=BB2_5498 Depth=3
	s_andn2_saveexec_b64 vcc, vcc
; %bb.5596:                             ;   in Loop: Header=BB2_5498 Depth=3
	v_mov_b32_e32 v6, v15
; %bb.5597:                             ;   in Loop: Header=BB2_5498 Depth=3
	s_or_b64 exec, exec, vcc
.LBB2_5598:                             ;   in Loop: Header=BB2_5498 Depth=3
	s_or_b64 exec, exec, s[74:75]
.LBB2_5599:                             ;   in Loop: Header=BB2_5498 Depth=3
	s_andn2_saveexec_b64 vcc, s[72:73]
	s_or_b64 exec, exec, vcc
                                        ; implicit-def: $vgpr17
.LBB2_5600:                             ;   in Loop: Header=BB2_5498 Depth=3
	s_andn2_saveexec_b64 s[30:31], s[70:71]
; %bb.5601:                             ;   in Loop: Header=BB2_5498 Depth=3
	v_or_b32_sdwa v15, v17, s39 dst_sel:DWORD dst_unused:UNUSED_PAD src0_sel:BYTE_3 src1_sel:DWORD
	v_cmp_eq_u64_e32 vcc, 0, v[50:51]
	v_cndmask_b32_e32 v6, v15, v6, vcc
; %bb.5602:                             ;   in Loop: Header=BB2_5498 Depth=3
	s_or_b64 exec, exec, s[30:31]
	v_and_b32_e32 v15, 0xff, v20
	s_and_b64 vcc, exec, s[28:29]
	v_cmp_ne_u16_e64 s[30:31], 0, v20
	s_cbranch_vccnz .LBB2_5620
; %bb.5603:                             ;   in Loop: Header=BB2_5498 Depth=3
	v_mov_b32_e32 v19, 0
	v_mov_b32_e32 v17, 0
	s_and_saveexec_b64 s[70:71], s[30:31]
	s_cbranch_execz .LBB2_5611
; %bb.5604:                             ;   in Loop: Header=BB2_5498 Depth=3
	v_cmp_ne_u16_e32 vcc, s94, v20
	v_bfrev_b32_e32 v17, 1
	s_and_saveexec_b64 s[72:73], vcc
	s_cbranch_execz .LBB2_5610
; %bb.5605:                             ;   in Loop: Header=BB2_5498 Depth=3
	v_and_b32_e32 v17, 0x7c, v15
	v_and_b32_e32 v22, 3, v15
	v_cmp_ne_u32_e32 vcc, s95, v17
                                        ; implicit-def: $vgpr17
	s_and_saveexec_b64 s[74:75], vcc
	s_xor_b64 s[74:75], exec, s[74:75]
	s_cbranch_execz .LBB2_5607
; %bb.5606:                             ;   in Loop: Header=BB2_5498 Depth=3
	v_ffbh_u32_e32 v24, v22
	v_min_u32_e32 v26, 32, v24
	v_mov_b32_e32 v21, v51
	v_subrev_u32_e32 v24, 29, v26
	v_bfe_u32 v17, v15, 2, 5
	v_lshlrev_b64 v[24:25], v24, v[20:21]
	v_sub_u32_e32 v21, 30, v26
	v_and_b32_e32 v24, 3, v24
	v_cmp_eq_u32_e32 vcc, 0, v17
	v_cndmask_b32_e32 v17, v17, v21, vcc
	v_cndmask_b32_e32 v21, v22, v24, vcc
	v_bfrev_b32_e32 v22, 28
	v_bfe_i32 v23, v20, 0, 16
	v_lshl_add_u32 v17, v17, 23, v22
	v_and_or_b32 v17, v23, s96, v17
	v_lshl_or_b32 v17, v21, 21, v17
                                        ; implicit-def: $vgpr22
.LBB2_5607:                             ;   in Loop: Header=BB2_5498 Depth=3
	s_andn2_saveexec_b64 s[74:75], s[74:75]
; %bb.5608:                             ;   in Loop: Header=BB2_5498 Depth=3
	v_cmp_lt_i16_e32 vcc, -1, v20
	v_mov_b32_e32 v17, 0xc7600000
	v_mov_b32_e32 v21, 0x47600000
	v_cndmask_b32_e32 v17, v17, v21, vcc
	v_cmp_eq_u32_e32 vcc, 0, v22
	v_mov_b32_e32 v21, 0x7f800001
	v_cndmask_b32_e32 v17, v21, v17, vcc
; %bb.5609:                             ;   in Loop: Header=BB2_5498 Depth=3
	s_or_b64 exec, exec, s[74:75]
.LBB2_5610:                             ;   in Loop: Header=BB2_5498 Depth=3
	s_or_b64 exec, exec, s[72:73]
.LBB2_5611:                             ;   in Loop: Header=BB2_5498 Depth=3
	s_or_b64 exec, exec, s[70:71]
	v_cmp_ne_u16_e32 vcc, 0, v18
	s_and_saveexec_b64 s[70:71], vcc
	s_cbranch_execz .LBB2_5619
; %bb.5612:                             ;   in Loop: Header=BB2_5498 Depth=3
	v_cmp_ne_u16_e32 vcc, s94, v18
	v_bfrev_b32_e32 v19, 1
	s_and_saveexec_b64 s[72:73], vcc
	s_cbranch_execz .LBB2_5618
; %bb.5613:                             ;   in Loop: Header=BB2_5498 Depth=3
	v_and_b32_e32 v19, 0x7c, v18
	v_and_b32_e32 v21, 3, v18
	v_cmp_ne_u32_e32 vcc, s95, v19
                                        ; implicit-def: $vgpr19
	s_and_saveexec_b64 s[74:75], vcc
	s_xor_b64 s[74:75], exec, s[74:75]
	s_cbranch_execz .LBB2_5615
; %bb.5614:                             ;   in Loop: Header=BB2_5498 Depth=3
	v_and_b32_e32 v22, 0xff, v18
	v_bfe_u32 v24, v22, 2, 5
	v_ffbh_u32_e32 v22, v21
	v_min_u32_e32 v26, 32, v22
	v_mov_b32_e32 v19, v51
	v_subrev_u32_e32 v22, 29, v26
	v_lshlrev_b64 v[22:23], v22, v[18:19]
	v_sub_u32_e32 v19, 30, v26
	v_and_b32_e32 v22, 3, v22
	v_cmp_eq_u32_e32 vcc, 0, v24
	v_cndmask_b32_e32 v19, v24, v19, vcc
	v_cndmask_b32_e32 v21, v21, v22, vcc
	v_bfrev_b32_e32 v22, 28
	v_bfe_i32 v25, v18, 0, 16
	v_lshl_add_u32 v19, v19, 23, v22
	v_and_or_b32 v19, v25, s96, v19
	v_lshl_or_b32 v19, v21, 21, v19
                                        ; implicit-def: $vgpr21
.LBB2_5615:                             ;   in Loop: Header=BB2_5498 Depth=3
	s_andn2_saveexec_b64 s[74:75], s[74:75]
; %bb.5616:                             ;   in Loop: Header=BB2_5498 Depth=3
	v_cmp_lt_i16_e32 vcc, -1, v18
	v_mov_b32_e32 v19, 0xc7600000
	v_mov_b32_e32 v22, 0x47600000
	v_cndmask_b32_e32 v19, v19, v22, vcc
	v_cmp_eq_u32_e32 vcc, 0, v21
	v_mov_b32_e32 v21, 0x7f800001
	v_cndmask_b32_e32 v19, v21, v19, vcc
; %bb.5617:                             ;   in Loop: Header=BB2_5498 Depth=3
	s_or_b64 exec, exec, s[74:75]
.LBB2_5618:                             ;   in Loop: Header=BB2_5498 Depth=3
	s_or_b64 exec, exec, s[72:73]
.LBB2_5619:                             ;   in Loop: Header=BB2_5498 Depth=3
	s_or_b64 exec, exec, s[70:71]
	v_max_f32_e32 v19, v19, v19
	v_max_f32_e32 v17, v17, v17
	;; [unrolled: 1-line block ×3, first 2 shown]
	s_branch .LBB2_5638
.LBB2_5620:                             ;   in Loop: Header=BB2_5498 Depth=3
                                        ; implicit-def: $vgpr17
	s_cbranch_execz .LBB2_5638
; %bb.5621:                             ;   in Loop: Header=BB2_5498 Depth=3
	v_mov_b32_e32 v19, 0
	v_mov_b32_e32 v17, 0
	s_and_saveexec_b64 s[70:71], s[30:31]
	s_cbranch_execz .LBB2_5629
; %bb.5622:                             ;   in Loop: Header=BB2_5498 Depth=3
	v_cmp_ne_u16_e32 vcc, s94, v20
	v_bfrev_b32_e32 v17, 1
	s_and_saveexec_b64 s[30:31], vcc
	s_cbranch_execz .LBB2_5628
; %bb.5623:                             ;   in Loop: Header=BB2_5498 Depth=3
	v_and_b32_e32 v17, 0x7c, v15
	v_and_b32_e32 v22, 3, v15
	v_cmp_ne_u32_e32 vcc, s95, v17
                                        ; implicit-def: $vgpr17
	s_and_saveexec_b64 s[72:73], vcc
	s_xor_b64 s[72:73], exec, s[72:73]
	s_cbranch_execz .LBB2_5625
; %bb.5624:                             ;   in Loop: Header=BB2_5498 Depth=3
	v_ffbh_u32_e32 v23, v22
	v_min_u32_e32 v23, 32, v23
	v_mov_b32_e32 v21, v51
	v_subrev_u32_e32 v24, 29, v23
	v_bfe_u32 v15, v15, 2, 5
	v_bfe_i32 v17, v20, 0, 16
	v_lshlrev_b64 v[20:21], v24, v[20:21]
	v_sub_u32_e32 v21, 30, v23
	v_cmp_eq_u32_e32 vcc, 0, v15
	v_cndmask_b32_e32 v15, v15, v21, vcc
	v_bfrev_b32_e32 v21, 28
	v_and_b32_e32 v20, 3, v20
	v_lshl_add_u32 v15, v15, 23, v21
	v_cndmask_b32_e32 v20, v22, v20, vcc
	v_and_or_b32 v15, v17, s96, v15
	v_lshl_or_b32 v17, v20, 21, v15
                                        ; implicit-def: $vgpr22
                                        ; implicit-def: $vgpr20
.LBB2_5625:                             ;   in Loop: Header=BB2_5498 Depth=3
	s_andn2_saveexec_b64 s[72:73], s[72:73]
; %bb.5626:                             ;   in Loop: Header=BB2_5498 Depth=3
	v_cmp_lt_i16_e32 vcc, -1, v20
	v_mov_b32_e32 v15, 0xc7600000
	v_mov_b32_e32 v17, 0x47600000
	v_cndmask_b32_e32 v15, v15, v17, vcc
	v_cmp_eq_u32_e32 vcc, 0, v22
	v_mov_b32_e32 v17, 0x7f800001
	v_cndmask_b32_e32 v17, v17, v15, vcc
; %bb.5627:                             ;   in Loop: Header=BB2_5498 Depth=3
	s_or_b64 exec, exec, s[72:73]
.LBB2_5628:                             ;   in Loop: Header=BB2_5498 Depth=3
	s_or_b64 exec, exec, s[30:31]
.LBB2_5629:                             ;   in Loop: Header=BB2_5498 Depth=3
	s_or_b64 exec, exec, s[70:71]
	v_cmp_ne_u16_e32 vcc, 0, v18
	s_and_saveexec_b64 s[30:31], vcc
	s_cbranch_execz .LBB2_5637
; %bb.5630:                             ;   in Loop: Header=BB2_5498 Depth=3
	v_cmp_ne_u16_e32 vcc, s94, v18
	v_bfrev_b32_e32 v19, 1
	s_and_saveexec_b64 s[70:71], vcc
	s_cbranch_execz .LBB2_5636
; %bb.5631:                             ;   in Loop: Header=BB2_5498 Depth=3
	v_and_b32_e32 v19, 0x7c, v18
	v_and_b32_e32 v15, 3, v18
	v_cmp_ne_u32_e32 vcc, s95, v19
                                        ; implicit-def: $vgpr19
	s_and_saveexec_b64 s[72:73], vcc
	s_xor_b64 s[72:73], exec, s[72:73]
	s_cbranch_execz .LBB2_5633
; %bb.5632:                             ;   in Loop: Header=BB2_5498 Depth=3
	v_ffbh_u32_e32 v22, v15
	v_min_u32_e32 v22, 32, v22
	v_and_b32_e32 v20, 0xff, v18
	v_mov_b32_e32 v19, v51
	v_subrev_u32_e32 v23, 29, v22
	v_bfe_u32 v20, v20, 2, 5
	v_bfe_i32 v21, v18, 0, 16
	v_lshlrev_b64 v[18:19], v23, v[18:19]
	v_sub_u32_e32 v19, 30, v22
	v_and_b32_e32 v18, 3, v18
	v_cmp_eq_u32_e32 vcc, 0, v20
	v_cndmask_b32_e32 v19, v20, v19, vcc
	v_cndmask_b32_e32 v15, v15, v18, vcc
	v_bfrev_b32_e32 v18, 28
	v_lshl_add_u32 v18, v19, 23, v18
	v_and_or_b32 v18, v21, s96, v18
	v_lshl_or_b32 v19, v15, 21, v18
                                        ; implicit-def: $vgpr15
                                        ; implicit-def: $vgpr18
.LBB2_5633:                             ;   in Loop: Header=BB2_5498 Depth=3
	s_andn2_saveexec_b64 s[72:73], s[72:73]
; %bb.5634:                             ;   in Loop: Header=BB2_5498 Depth=3
	v_cmp_lt_i16_e32 vcc, -1, v18
	v_mov_b32_e32 v18, 0xc7600000
	v_mov_b32_e32 v19, 0x47600000
	v_cndmask_b32_e32 v18, v18, v19, vcc
	v_cmp_eq_u32_e32 vcc, 0, v15
	v_mov_b32_e32 v15, 0x7f800001
	v_cndmask_b32_e32 v19, v15, v18, vcc
; %bb.5635:                             ;   in Loop: Header=BB2_5498 Depth=3
	s_or_b64 exec, exec, s[72:73]
.LBB2_5636:                             ;   in Loop: Header=BB2_5498 Depth=3
	s_or_b64 exec, exec, s[70:71]
.LBB2_5637:                             ;   in Loop: Header=BB2_5498 Depth=3
	s_or_b64 exec, exec, s[30:31]
	v_max_f32_e32 v15, v19, v19
	v_max_f32_e32 v17, v17, v17
	v_min_f32_e32 v17, v17, v15
.LBB2_5638:                             ;   in Loop: Header=BB2_5498 Depth=3
	v_and_b32_sdwa v15, v17, s97 dst_sel:DWORD dst_unused:UNUSED_PAD src0_sel:BYTE_3 src1_sel:DWORD
	v_and_b32_e32 v20, 0x7f800000, v17
	v_mov_b32_e32 v21, v51
	v_and_b32_e32 v50, 0x7fffff, v17
	v_or_b32_e32 v19, 0x7b, v15
	v_cmp_ne_u64_e32 vcc, s[52:53], v[20:21]
	s_and_saveexec_b64 s[30:31], vcc
	s_xor_b64 s[70:71], exec, s[30:31]
	s_cbranch_execz .LBB2_5652
; %bb.5639:                             ;   in Loop: Header=BB2_5498 Depth=3
	v_and_b32_e32 v20, 0x7fffffff, v17
	v_mov_b32_e32 v21, v51
	v_cmp_gt_u64_e32 vcc, s[54:55], v[20:21]
	s_and_saveexec_b64 s[30:31], vcc
	s_xor_b64 s[72:73], exec, s[30:31]
	s_cbranch_execz .LBB2_5651
; %bb.5640:                             ;   in Loop: Header=BB2_5498 Depth=3
	v_cmp_ne_u32_e32 vcc, 0, v17
	v_mov_b32_e32 v19, 0
	s_and_saveexec_b64 s[74:75], vcc
	s_cbranch_execz .LBB2_5650
; %bb.5641:                             ;   in Loop: Header=BB2_5498 Depth=3
	v_bfe_u32 v17, v17, 23, 8
	v_sub_u32_e32 v19, 0x71, v17
	v_cmp_gt_u32_e32 vcc, s38, v17
	v_add_u32_e32 v18, 0xffffff81, v17
	v_cndmask_b32_e32 v19, 0, v19, vcc
	v_cmp_eq_u32_e32 vcc, 0, v17
	v_mov_b32_e32 v17, 0xffffff82
	v_cndmask_b32_e32 v17, v18, v17, vcc
	v_mov_b32_e32 v18, 0x70
	v_or_b32_e32 v20, 0x800000, v50
	v_cndmask_b32_e32 v21, v19, v18, vcc
	v_cndmask_b32_e32 v50, v20, v50, vcc
	v_add_u32_e32 v18, 21, v21
	v_lshlrev_b64 v[18:19], v18, -1
	v_add_u32_e32 v20, 20, v21
	v_lshrrev_b64 v[24:25], v21, v[50:51]
	v_not_b32_e32 v19, v19
	v_not_b32_e32 v18, v18
	v_lshlrev_b64 v[22:23], v20, 1
	v_lshrrev_b32_e32 v20, 23, v24
	v_and_b32_e32 v19, 0, v19
	v_and_b32_e32 v18, v50, v18
	v_add3_u32 v21, v21, v17, v20
	v_bfe_u32 v17, v24, 21, 1
	v_add_u32_e32 v17, -1, v17
	v_cmp_eq_u64_e32 vcc, v[18:19], v[22:23]
	v_cndmask_b32_e32 v17, 0, v17, vcc
	v_add_u32_e32 v17, v17, v24
	v_and_b32_e32 v17, 0x1fffff, v17
	v_add_co_u32_e32 v18, vcc, v17, v24
	v_add_u32_e32 v20, 14, v21
	v_addc_co_u32_e32 v19, vcc, 0, v25, vcc
	v_cmp_ne_u32_e32 vcc, 0, v20
                                        ; implicit-def: $vgpr17
	s_and_saveexec_b64 s[30:31], vcc
	s_xor_b64 s[30:31], exec, s[30:31]
; %bb.5642:                             ;   in Loop: Header=BB2_5498 Depth=3
	v_add_u32_e32 v17, 15, v21
	v_cmp_lt_u64_e32 vcc, s[56:57], v[18:19]
	v_cndmask_b32_e32 v17, v20, v17, vcc
	v_cndmask_b32_e64 v20, 0, 1, vcc
	v_lshrrev_b64 v[18:19], v20, v[18:19]
; %bb.5643:                             ;   in Loop: Header=BB2_5498 Depth=3
	s_andn2_saveexec_b64 vcc, s[30:31]
; %bb.5644:                             ;   in Loop: Header=BB2_5498 Depth=3
	v_bfe_u32 v17, v18, 23, 1
; %bb.5645:                             ;   in Loop: Header=BB2_5498 Depth=3
	s_or_b64 exec, exec, vcc
	v_lshrrev_b64 v[18:19], 21, v[18:19]
	v_cmp_gt_i32_e32 vcc, 32, v17
	v_cndmask_b32_e32 v19, 0, v19, vcc
	v_cndmask_b32_e32 v18, 3, v18, vcc
	v_cmp_ne_u32_e32 vcc, 0, v17
	v_cmp_ne_u64_e64 s[30:31], 0, v[18:19]
	s_or_b64 vcc, vcc, s[30:31]
                                        ; implicit-def: $vgpr19
	s_and_saveexec_b64 s[30:31], vcc
	s_xor_b64 vcc, exec, s[30:31]
; %bb.5646:                             ;   in Loop: Header=BB2_5498 Depth=3
	v_min_i32_e32 v17, 31, v17
	v_lshl_or_b32 v15, v17, 2, v15
	v_and_or_b32 v19, v18, 3, v15
                                        ; implicit-def: $vgpr15
; %bb.5647:                             ;   in Loop: Header=BB2_5498 Depth=3
	s_andn2_saveexec_b64 vcc, vcc
; %bb.5648:                             ;   in Loop: Header=BB2_5498 Depth=3
	v_mov_b32_e32 v19, v15
; %bb.5649:                             ;   in Loop: Header=BB2_5498 Depth=3
	s_or_b64 exec, exec, vcc
.LBB2_5650:                             ;   in Loop: Header=BB2_5498 Depth=3
	s_or_b64 exec, exec, s[74:75]
.LBB2_5651:                             ;   in Loop: Header=BB2_5498 Depth=3
	s_andn2_saveexec_b64 vcc, s[72:73]
	s_or_b64 exec, exec, vcc
                                        ; implicit-def: $vgpr17
.LBB2_5652:                             ;   in Loop: Header=BB2_5498 Depth=3
	s_andn2_saveexec_b64 s[30:31], s[70:71]
; %bb.5653:                             ;   in Loop: Header=BB2_5498 Depth=3
	v_or_b32_sdwa v15, v17, s39 dst_sel:DWORD dst_unused:UNUSED_PAD src0_sel:BYTE_3 src1_sel:DWORD
	v_cmp_eq_u64_e32 vcc, 0, v[50:51]
	v_cndmask_b32_e32 v19, v15, v19, vcc
; %bb.5654:                             ;   in Loop: Header=BB2_5498 Depth=3
	s_or_b64 exec, exec, s[30:31]
	v_and_b32_e32 v18, 0xff, v16
	s_and_b64 vcc, exec, s[28:29]
	v_cmp_ne_u16_e64 s[28:29], 0, v16
	s_cbranch_vccnz .LBB2_5672
; %bb.5655:                             ;   in Loop: Header=BB2_5498 Depth=3
	v_mov_b32_e32 v15, 0
	v_mov_b32_e32 v17, 0
	s_and_saveexec_b64 s[30:31], s[28:29]
	s_cbranch_execz .LBB2_5663
; %bb.5656:                             ;   in Loop: Header=BB2_5498 Depth=3
	v_cmp_ne_u16_e32 vcc, s94, v16
	v_bfrev_b32_e32 v17, 1
	s_and_saveexec_b64 s[70:71], vcc
	s_cbranch_execz .LBB2_5662
; %bb.5657:                             ;   in Loop: Header=BB2_5498 Depth=3
	v_and_b32_e32 v17, 0x7c, v18
	v_and_b32_e32 v20, 3, v18
	v_cmp_ne_u32_e32 vcc, s95, v17
                                        ; implicit-def: $vgpr17
	s_and_saveexec_b64 s[72:73], vcc
	s_xor_b64 s[72:73], exec, s[72:73]
	s_cbranch_execz .LBB2_5659
; %bb.5658:                             ;   in Loop: Header=BB2_5498 Depth=3
	v_ffbh_u32_e32 v22, v20
	v_min_u32_e32 v25, 32, v22
	v_mov_b32_e32 v17, v51
	v_bfe_u32 v21, v18, 2, 5
	v_subrev_u32_e32 v22, 29, v25
	v_lshlrev_b64 v[22:23], v22, v[16:17]
	v_sub_u32_e32 v17, 30, v25
	v_cmp_eq_u32_e32 vcc, 0, v21
	v_cndmask_b32_e32 v17, v21, v17, vcc
	v_bfrev_b32_e32 v21, 28
	v_bfe_i32 v24, v16, 0, 16
	v_and_b32_e32 v22, 3, v22
	v_lshl_add_u32 v17, v17, 23, v21
	v_cndmask_b32_e32 v20, v20, v22, vcc
	v_and_or_b32 v17, v24, s96, v17
	v_lshl_or_b32 v17, v20, 21, v17
                                        ; implicit-def: $vgpr20
.LBB2_5659:                             ;   in Loop: Header=BB2_5498 Depth=3
	s_andn2_saveexec_b64 s[72:73], s[72:73]
; %bb.5660:                             ;   in Loop: Header=BB2_5498 Depth=3
	v_cmp_lt_i16_e32 vcc, -1, v16
	v_mov_b32_e32 v17, 0xc7600000
	v_mov_b32_e32 v21, 0x47600000
	v_cndmask_b32_e32 v17, v17, v21, vcc
	v_cmp_eq_u32_e32 vcc, 0, v20
	v_mov_b32_e32 v20, 0x7f800001
	v_cndmask_b32_e32 v17, v20, v17, vcc
; %bb.5661:                             ;   in Loop: Header=BB2_5498 Depth=3
	s_or_b64 exec, exec, s[72:73]
.LBB2_5662:                             ;   in Loop: Header=BB2_5498 Depth=3
	s_or_b64 exec, exec, s[70:71]
.LBB2_5663:                             ;   in Loop: Header=BB2_5498 Depth=3
	s_or_b64 exec, exec, s[30:31]
	v_cmp_ne_u16_e32 vcc, 0, v14
	s_and_saveexec_b64 s[30:31], vcc
	s_cbranch_execz .LBB2_5671
; %bb.5664:                             ;   in Loop: Header=BB2_5498 Depth=3
	v_cmp_ne_u16_e32 vcc, s94, v14
	v_bfrev_b32_e32 v15, 1
	s_and_saveexec_b64 s[70:71], vcc
	s_cbranch_execz .LBB2_5670
; %bb.5665:                             ;   in Loop: Header=BB2_5498 Depth=3
	v_and_b32_e32 v15, 0x7c, v14
	v_and_b32_e32 v20, 3, v14
	v_cmp_ne_u32_e32 vcc, s95, v15
                                        ; implicit-def: $vgpr15
	s_and_saveexec_b64 s[72:73], vcc
	s_xor_b64 s[72:73], exec, s[72:73]
	s_cbranch_execz .LBB2_5667
; %bb.5666:                             ;   in Loop: Header=BB2_5498 Depth=3
	v_ffbh_u32_e32 v22, v20
	v_and_b32_e32 v21, 0xff, v14
	v_min_u32_e32 v25, 32, v22
	v_mov_b32_e32 v15, v51
	v_bfe_u32 v21, v21, 2, 5
	v_subrev_u32_e32 v22, 29, v25
	v_lshlrev_b64 v[22:23], v22, v[14:15]
	v_sub_u32_e32 v15, 30, v25
	v_cmp_eq_u32_e32 vcc, 0, v21
	v_cndmask_b32_e32 v15, v21, v15, vcc
	v_bfrev_b32_e32 v21, 28
	v_bfe_i32 v24, v14, 0, 16
	v_and_b32_e32 v22, 3, v22
	v_lshl_add_u32 v15, v15, 23, v21
	v_cndmask_b32_e32 v20, v20, v22, vcc
	v_and_or_b32 v15, v24, s96, v15
	v_lshl_or_b32 v15, v20, 21, v15
                                        ; implicit-def: $vgpr20
.LBB2_5667:                             ;   in Loop: Header=BB2_5498 Depth=3
	s_andn2_saveexec_b64 s[72:73], s[72:73]
; %bb.5668:                             ;   in Loop: Header=BB2_5498 Depth=3
	v_cmp_lt_i16_e32 vcc, -1, v14
	v_mov_b32_e32 v15, 0xc7600000
	v_mov_b32_e32 v21, 0x47600000
	v_cndmask_b32_e32 v15, v15, v21, vcc
	v_cmp_eq_u32_e32 vcc, 0, v20
	v_mov_b32_e32 v20, 0x7f800001
	v_cndmask_b32_e32 v15, v20, v15, vcc
; %bb.5669:                             ;   in Loop: Header=BB2_5498 Depth=3
	s_or_b64 exec, exec, s[72:73]
.LBB2_5670:                             ;   in Loop: Header=BB2_5498 Depth=3
	s_or_b64 exec, exec, s[70:71]
.LBB2_5671:                             ;   in Loop: Header=BB2_5498 Depth=3
	s_or_b64 exec, exec, s[30:31]
	v_max_f32_e32 v15, v15, v15
	v_max_f32_e32 v17, v17, v17
	;; [unrolled: 1-line block ×3, first 2 shown]
	s_branch .LBB2_5690
.LBB2_5672:                             ;   in Loop: Header=BB2_5498 Depth=3
                                        ; implicit-def: $vgpr17
	s_cbranch_execz .LBB2_5690
; %bb.5673:                             ;   in Loop: Header=BB2_5498 Depth=3
	v_mov_b32_e32 v15, 0
	v_mov_b32_e32 v17, 0
	s_and_saveexec_b64 s[30:31], s[28:29]
	s_cbranch_execz .LBB2_5681
; %bb.5674:                             ;   in Loop: Header=BB2_5498 Depth=3
	v_cmp_ne_u16_e32 vcc, s94, v16
	v_bfrev_b32_e32 v17, 1
	s_and_saveexec_b64 s[28:29], vcc
	s_cbranch_execz .LBB2_5680
; %bb.5675:                             ;   in Loop: Header=BB2_5498 Depth=3
	v_and_b32_e32 v17, 0x7c, v18
	v_and_b32_e32 v20, 3, v18
	v_cmp_ne_u32_e32 vcc, s95, v17
                                        ; implicit-def: $vgpr17
	s_and_saveexec_b64 s[70:71], vcc
	s_xor_b64 s[70:71], exec, s[70:71]
	s_cbranch_execz .LBB2_5677
; %bb.5676:                             ;   in Loop: Header=BB2_5498 Depth=3
	v_ffbh_u32_e32 v22, v20
	v_min_u32_e32 v22, 32, v22
	v_mov_b32_e32 v17, v51
	v_subrev_u32_e32 v23, 29, v22
	v_bfe_u32 v18, v18, 2, 5
	v_bfe_i32 v21, v16, 0, 16
	v_lshlrev_b64 v[16:17], v23, v[16:17]
	v_sub_u32_e32 v17, 30, v22
	v_cmp_eq_u32_e32 vcc, 0, v18
	v_cndmask_b32_e32 v17, v18, v17, vcc
	v_bfrev_b32_e32 v18, 28
	v_and_b32_e32 v16, 3, v16
	v_lshl_add_u32 v17, v17, 23, v18
	v_cndmask_b32_e32 v16, v20, v16, vcc
	v_and_or_b32 v17, v21, s96, v17
	v_lshl_or_b32 v17, v16, 21, v17
                                        ; implicit-def: $vgpr20
                                        ; implicit-def: $vgpr16
.LBB2_5677:                             ;   in Loop: Header=BB2_5498 Depth=3
	s_andn2_saveexec_b64 s[70:71], s[70:71]
; %bb.5678:                             ;   in Loop: Header=BB2_5498 Depth=3
	v_cmp_lt_i16_e32 vcc, -1, v16
	v_mov_b32_e32 v16, 0xc7600000
	v_mov_b32_e32 v17, 0x47600000
	v_cndmask_b32_e32 v16, v16, v17, vcc
	v_cmp_eq_u32_e32 vcc, 0, v20
	v_mov_b32_e32 v17, 0x7f800001
	v_cndmask_b32_e32 v17, v17, v16, vcc
; %bb.5679:                             ;   in Loop: Header=BB2_5498 Depth=3
	s_or_b64 exec, exec, s[70:71]
.LBB2_5680:                             ;   in Loop: Header=BB2_5498 Depth=3
	s_or_b64 exec, exec, s[28:29]
.LBB2_5681:                             ;   in Loop: Header=BB2_5498 Depth=3
	s_or_b64 exec, exec, s[30:31]
	v_cmp_ne_u16_e32 vcc, 0, v14
	s_and_saveexec_b64 s[28:29], vcc
	s_cbranch_execz .LBB2_5689
; %bb.5682:                             ;   in Loop: Header=BB2_5498 Depth=3
	v_cmp_ne_u16_e32 vcc, s94, v14
	v_bfrev_b32_e32 v15, 1
	s_and_saveexec_b64 s[30:31], vcc
	s_cbranch_execz .LBB2_5688
; %bb.5683:                             ;   in Loop: Header=BB2_5498 Depth=3
	v_and_b32_e32 v15, 0x7c, v14
	v_and_b32_e32 v16, 3, v14
	v_cmp_ne_u32_e32 vcc, s95, v15
                                        ; implicit-def: $vgpr15
	s_and_saveexec_b64 s[70:71], vcc
	s_xor_b64 s[70:71], exec, s[70:71]
	s_cbranch_execz .LBB2_5685
; %bb.5684:                             ;   in Loop: Header=BB2_5498 Depth=3
	v_ffbh_u32_e32 v21, v16
	v_min_u32_e32 v21, 32, v21
	v_and_b32_e32 v18, 0xff, v14
	v_mov_b32_e32 v15, v51
	v_subrev_u32_e32 v22, 29, v21
	v_bfe_u32 v18, v18, 2, 5
	v_bfe_i32 v20, v14, 0, 16
	v_lshlrev_b64 v[14:15], v22, v[14:15]
	v_sub_u32_e32 v15, 30, v21
	v_and_b32_e32 v14, 3, v14
	v_cmp_eq_u32_e32 vcc, 0, v18
	v_cndmask_b32_e32 v15, v18, v15, vcc
	v_cndmask_b32_e32 v14, v16, v14, vcc
	v_bfrev_b32_e32 v16, 28
	v_lshl_add_u32 v15, v15, 23, v16
	v_and_or_b32 v15, v20, s96, v15
	v_lshl_or_b32 v15, v14, 21, v15
                                        ; implicit-def: $vgpr16
                                        ; implicit-def: $vgpr14
.LBB2_5685:                             ;   in Loop: Header=BB2_5498 Depth=3
	s_andn2_saveexec_b64 s[70:71], s[70:71]
; %bb.5686:                             ;   in Loop: Header=BB2_5498 Depth=3
	v_cmp_lt_i16_e32 vcc, -1, v14
	v_mov_b32_e32 v14, 0xc7600000
	v_mov_b32_e32 v15, 0x47600000
	v_cndmask_b32_e32 v14, v14, v15, vcc
	v_cmp_eq_u32_e32 vcc, 0, v16
	v_mov_b32_e32 v15, 0x7f800001
	v_cndmask_b32_e32 v15, v15, v14, vcc
; %bb.5687:                             ;   in Loop: Header=BB2_5498 Depth=3
	s_or_b64 exec, exec, s[70:71]
.LBB2_5688:                             ;   in Loop: Header=BB2_5498 Depth=3
	s_or_b64 exec, exec, s[30:31]
.LBB2_5689:                             ;   in Loop: Header=BB2_5498 Depth=3
	s_or_b64 exec, exec, s[28:29]
	v_max_f32_e32 v14, v15, v15
	v_max_f32_e32 v15, v17, v17
	v_min_f32_e32 v17, v15, v14
.LBB2_5690:                             ;   in Loop: Header=BB2_5498 Depth=3
	v_and_b32_sdwa v16, v17, s97 dst_sel:DWORD dst_unused:UNUSED_PAD src0_sel:BYTE_3 src1_sel:DWORD
	v_and_b32_e32 v20, 0x7f800000, v17
	v_mov_b32_e32 v21, v51
	v_and_b32_e32 v50, 0x7fffff, v17
	v_or_b32_e32 v15, 0x7b, v16
	v_cmp_ne_u64_e32 vcc, s[52:53], v[20:21]
	s_and_saveexec_b64 s[28:29], vcc
	s_xor_b64 s[30:31], exec, s[28:29]
	s_cbranch_execz .LBB2_5704
; %bb.5691:                             ;   in Loop: Header=BB2_5498 Depth=3
	v_and_b32_e32 v20, 0x7fffffff, v17
	v_mov_b32_e32 v21, v51
	v_cmp_gt_u64_e32 vcc, s[54:55], v[20:21]
	s_and_saveexec_b64 s[28:29], vcc
	s_xor_b64 s[70:71], exec, s[28:29]
	s_cbranch_execz .LBB2_5703
; %bb.5692:                             ;   in Loop: Header=BB2_5498 Depth=3
	v_cmp_ne_u32_e32 vcc, 0, v17
	v_mov_b32_e32 v15, 0
	s_and_saveexec_b64 s[72:73], vcc
	s_cbranch_execz .LBB2_5702
; %bb.5693:                             ;   in Loop: Header=BB2_5498 Depth=3
	v_bfe_u32 v14, v17, 23, 8
	v_sub_u32_e32 v17, 0x71, v14
	v_cmp_gt_u32_e32 vcc, s38, v14
	v_add_u32_e32 v15, 0xffffff81, v14
	v_cndmask_b32_e32 v17, 0, v17, vcc
	v_cmp_eq_u32_e32 vcc, 0, v14
	v_mov_b32_e32 v14, 0xffffff82
	v_cndmask_b32_e32 v20, v15, v14, vcc
	v_mov_b32_e32 v14, 0x70
	v_or_b32_e32 v18, 0x800000, v50
	v_cndmask_b32_e32 v17, v17, v14, vcc
	v_cndmask_b32_e32 v50, v18, v50, vcc
	v_add_u32_e32 v14, 21, v17
	v_lshlrev_b64 v[14:15], v14, -1
	v_add_u32_e32 v18, 20, v17
	v_lshrrev_b64 v[24:25], v17, v[50:51]
	v_not_b32_e32 v15, v15
	v_not_b32_e32 v14, v14
	v_lshlrev_b64 v[22:23], v18, 1
	v_lshrrev_b32_e32 v18, 23, v24
	v_and_b32_e32 v15, 0, v15
	v_and_b32_e32 v14, v50, v14
	v_add3_u32 v20, v17, v20, v18
	v_bfe_u32 v17, v24, 21, 1
	v_add_u32_e32 v17, -1, v17
	v_cmp_eq_u64_e32 vcc, v[14:15], v[22:23]
	v_cndmask_b32_e32 v14, 0, v17, vcc
	v_add_u32_e32 v14, v14, v24
	v_and_b32_e32 v14, 0x1fffff, v14
	v_add_co_u32_e32 v14, vcc, v14, v24
	v_add_u32_e32 v18, 14, v20
	v_addc_co_u32_e32 v15, vcc, 0, v25, vcc
	v_cmp_ne_u32_e32 vcc, 0, v18
                                        ; implicit-def: $vgpr17
	s_and_saveexec_b64 s[28:29], vcc
	s_xor_b64 s[28:29], exec, s[28:29]
; %bb.5694:                             ;   in Loop: Header=BB2_5498 Depth=3
	v_add_u32_e32 v17, 15, v20
	v_cmp_lt_u64_e32 vcc, s[56:57], v[14:15]
	v_cndmask_b32_e32 v17, v18, v17, vcc
	v_cndmask_b32_e64 v18, 0, 1, vcc
	v_lshrrev_b64 v[14:15], v18, v[14:15]
; %bb.5695:                             ;   in Loop: Header=BB2_5498 Depth=3
	s_andn2_saveexec_b64 s[28:29], s[28:29]
; %bb.5696:                             ;   in Loop: Header=BB2_5498 Depth=3
	v_bfe_u32 v17, v14, 23, 1
; %bb.5697:                             ;   in Loop: Header=BB2_5498 Depth=3
	s_or_b64 exec, exec, s[28:29]
	v_lshrrev_b64 v[14:15], 21, v[14:15]
	v_cmp_gt_i32_e32 vcc, 32, v17
	v_cndmask_b32_e32 v15, 0, v15, vcc
	v_cndmask_b32_e32 v14, 3, v14, vcc
	v_cmp_ne_u32_e32 vcc, 0, v17
	v_cmp_ne_u64_e64 s[28:29], 0, v[14:15]
	s_or_b64 s[28:29], vcc, s[28:29]
                                        ; implicit-def: $vgpr15
	s_and_saveexec_b64 vcc, s[28:29]
	s_xor_b64 s[28:29], exec, vcc
; %bb.5698:                             ;   in Loop: Header=BB2_5498 Depth=3
	v_min_i32_e32 v15, 31, v17
	v_lshl_or_b32 v15, v15, 2, v16
	v_and_or_b32 v15, v14, 3, v15
                                        ; implicit-def: $vgpr16
; %bb.5699:                             ;   in Loop: Header=BB2_5498 Depth=3
	s_andn2_saveexec_b64 s[28:29], s[28:29]
; %bb.5700:                             ;   in Loop: Header=BB2_5498 Depth=3
	v_mov_b32_e32 v15, v16
; %bb.5701:                             ;   in Loop: Header=BB2_5498 Depth=3
	s_or_b64 exec, exec, s[28:29]
.LBB2_5702:                             ;   in Loop: Header=BB2_5498 Depth=3
	s_or_b64 exec, exec, s[72:73]
.LBB2_5703:                             ;   in Loop: Header=BB2_5498 Depth=3
	s_andn2_saveexec_b64 s[28:29], s[70:71]
	s_or_b64 exec, exec, s[28:29]
                                        ; implicit-def: $vgpr17
.LBB2_5704:                             ;   in Loop: Header=BB2_5498 Depth=3
	s_andn2_saveexec_b64 s[28:29], s[30:31]
	s_cbranch_execz .LBB2_5497
; %bb.5705:                             ;   in Loop: Header=BB2_5498 Depth=3
	v_or_b32_sdwa v14, v17, s39 dst_sel:DWORD dst_unused:UNUSED_PAD src0_sel:BYTE_3 src1_sel:DWORD
	v_cmp_eq_u64_e32 vcc, 0, v[50:51]
	v_cndmask_b32_e32 v15, v14, v15, vcc
	s_branch .LBB2_5497
.LBB2_5706:                             ;   in Loop: Header=BB2_3056 Depth=2
	s_or_b64 exec, exec, s[66:67]
.LBB2_5707:                             ;   in Loop: Header=BB2_3056 Depth=2
	s_or_b64 exec, exec, s[34:35]
	v_lshlrev_b32_e32 v0, 8, v3
	v_cmp_ne_u32_e32 vcc, v30, v0
	s_and_saveexec_b64 s[66:67], vcc
	s_cbranch_execz .LBB2_5765
; %bb.5708:                             ;   in Loop: Header=BB2_3056 Depth=2
	v_add_u32_e32 v2, v31, v2
	v_and_b32_e32 v2, 0xffffffc0, v2
	v_sub_u32_e32 v2, v31, v2
	v_lshlrev_b32_e32 v1, 6, v1
	v_sub_u32_e32 v1, v2, v1
	v_add_u32_e32 v1, v0, v1
	v_sub_u32_e32 v0, v30, v1
	v_cmp_lt_i32_e32 vcc, 0, v0
	s_and_b64 exec, exec, vcc
	s_cbranch_execz .LBB2_5765
; %bb.5709:                             ;   in Loop: Header=BB2_3056 Depth=2
	s_trap 2
	ds_read_b128 v[8:11], v0
	v_add_u32_e32 v1, v1, v7
	v_ashrrev_i32_e32 v2, 31, v1
	s_bitcmp1_b32 s82, 0
	s_mov_b64 s[68:69], 0
	s_waitcnt lgkmcnt(0)
	v_add_co_u32_e32 v4, vcc, v8, v1
	v_addc_co_u32_e32 v5, vcc, v9, v2, vcc
	v_add_co_u32_e32 v8, vcc, v10, v1
	v_addc_co_u32_e32 v9, vcc, v11, v2, vcc
	s_cselect_b64 s[70:71], -1, 0
	v_pk_mov_b32 v[10:11], v[4:5], v[4:5] op_sel:[0,1]
	v_pk_mov_b32 v[12:13], v[8:9], v[8:9] op_sel:[0,1]
.LBB2_5710:                             ;   Parent Loop BB2_47 Depth=1
                                        ;     Parent Loop BB2_3056 Depth=2
                                        ; =>    This Loop Header: Depth=3
                                        ;         Child Loop BB2_5763 Depth 4
	flat_load_ubyte v3, v[10:11] glc slc
	flat_load_ubyte v1, v[12:13] glc slc
	v_mov_b32_e32 v2, -1
	v_mov_b32_e32 v6, 0x47600000
	s_and_b64 vcc, exec, s[70:71]
	s_waitcnt vmcnt(0) lgkmcnt(0)
	v_bfe_i32 v16, v3, 0, 8
	v_lshlrev_b32_e32 v7, 24, v1
	v_cmp_gt_i16_sdwa s[34:35], sext(v1), v2 src0_sel:BYTE_0 src1_sel:DWORD
	v_mov_b32_e32 v2, 0xc7600000
	v_cmp_ne_u16_e64 s[30:31], 0, v1
	v_and_b32_e32 v50, 0xffff, v1
	v_cmp_ne_u16_e64 s[28:29], s97, v1
	v_cndmask_b32_e64 v2, v2, v6, s[34:35]
	v_and_b32_e32 v6, 0xffff, v3
	v_cmp_ne_u16_e64 s[34:35], 0, v3
	v_and_b32_e32 v3, 0x80000000, v7
	s_cbranch_vccz .LBB2_5728
; %bb.5711:                             ;   in Loop: Header=BB2_5710 Depth=3
	v_mov_b32_e32 v7, 0
	v_mov_b32_e32 v14, 0
	s_and_saveexec_b64 s[72:73], s[34:35]
	s_cbranch_execz .LBB2_5719
; %bb.5712:                             ;   in Loop: Header=BB2_5710 Depth=3
	v_cmp_ne_u16_e32 vcc, s94, v16
	v_bfrev_b32_e32 v14, 1
	s_and_saveexec_b64 s[74:75], vcc
	s_cbranch_execz .LBB2_5718
; %bb.5713:                             ;   in Loop: Header=BB2_5710 Depth=3
	v_and_b32_e32 v14, 0x7c, v6
	v_and_b32_e32 v15, 3, v6
	v_cmp_ne_u32_e32 vcc, s95, v14
                                        ; implicit-def: $vgpr14
	s_and_saveexec_b64 s[76:77], vcc
	s_xor_b64 s[76:77], exec, s[76:77]
	s_cbranch_execz .LBB2_5715
; %bb.5714:                             ;   in Loop: Header=BB2_5710 Depth=3
	v_ffbh_u32_e32 v18, v15
	v_min_u32_e32 v21, 32, v18
	v_mov_b32_e32 v17, v51
	v_bfe_u32 v14, v6, 2, 5
	v_subrev_u32_e32 v18, 29, v21
	v_lshlrev_b64 v[18:19], v18, v[16:17]
	v_sub_u32_e32 v17, 30, v21
	v_cmp_eq_u32_e32 vcc, 0, v14
	v_cndmask_b32_e32 v14, v14, v17, vcc
	v_bfrev_b32_e32 v17, 28
	v_bfe_i32 v20, v16, 0, 16
	v_and_b32_e32 v18, 3, v18
	v_lshl_add_u32 v14, v14, 23, v17
	v_cndmask_b32_e32 v15, v15, v18, vcc
	v_and_or_b32 v14, v20, s96, v14
	v_lshl_or_b32 v14, v15, 21, v14
                                        ; implicit-def: $vgpr15
.LBB2_5715:                             ;   in Loop: Header=BB2_5710 Depth=3
	s_andn2_saveexec_b64 s[76:77], s[76:77]
; %bb.5716:                             ;   in Loop: Header=BB2_5710 Depth=3
	v_cmp_lt_i16_e32 vcc, -1, v16
	v_mov_b32_e32 v14, 0xc7600000
	v_mov_b32_e32 v17, 0x47600000
	v_cndmask_b32_e32 v14, v14, v17, vcc
	v_cmp_eq_u32_e32 vcc, 0, v15
	v_mov_b32_e32 v15, 0x7f800001
	v_cndmask_b32_e32 v14, v15, v14, vcc
; %bb.5717:                             ;   in Loop: Header=BB2_5710 Depth=3
	s_or_b64 exec, exec, s[76:77]
.LBB2_5718:                             ;   in Loop: Header=BB2_5710 Depth=3
	s_or_b64 exec, exec, s[74:75]
.LBB2_5719:                             ;   in Loop: Header=BB2_5710 Depth=3
	s_or_b64 exec, exec, s[72:73]
	s_and_saveexec_b64 s[72:73], s[30:31]
	s_cbranch_execz .LBB2_5727
; %bb.5720:                             ;   in Loop: Header=BB2_5710 Depth=3
	v_bfrev_b32_e32 v7, 1
	s_and_saveexec_b64 s[74:75], s[28:29]
	s_cbranch_execz .LBB2_5726
; %bb.5721:                             ;   in Loop: Header=BB2_5710 Depth=3
	v_mov_b32_e32 v7, 3
	v_and_b32_sdwa v15, sext(v1), v7 dst_sel:DWORD dst_unused:UNUSED_PAD src0_sel:BYTE_0 src1_sel:DWORD
	v_and_b32_sdwa v7, sext(v1), s95 dst_sel:DWORD dst_unused:UNUSED_PAD src0_sel:BYTE_0 src1_sel:DWORD
	v_cmp_ne_u32_e32 vcc, s95, v7
                                        ; implicit-def: $vgpr7
	s_and_saveexec_b64 s[76:77], vcc
	s_xor_b64 s[76:77], exec, s[76:77]
	s_cbranch_execz .LBB2_5723
; %bb.5722:                             ;   in Loop: Header=BB2_5710 Depth=3
	v_ffbh_u32_e32 v17, v15
	v_min_u32_e32 v17, 32, v17
	v_and_b32_sdwa v7, sext(v1), s93 dst_sel:DWORD dst_unused:UNUSED_PAD src0_sel:BYTE_0 src1_sel:DWORD
	v_subrev_u32_e32 v18, 29, v17
	v_bfe_u32 v7, v7, 2, 5
	v_lshlrev_b64 v[18:19], v18, v[50:51]
	v_and_b32_e32 v18, 3, v18
	v_cmp_eq_u32_e32 vcc, 0, v7
	v_sub_u32_e32 v17, 30, v17
	v_cndmask_b32_e32 v15, v15, v18, vcc
	v_cndmask_b32_e32 v7, v7, v17, vcc
	v_lshlrev_b32_e32 v15, 21, v15
	v_lshl_or_b32 v7, v7, 23, v15
	v_add_u32_e32 v7, 0x38000000, v7
	v_or_b32_e32 v7, v7, v3
                                        ; implicit-def: $vgpr15
.LBB2_5723:                             ;   in Loop: Header=BB2_5710 Depth=3
	s_andn2_saveexec_b64 s[76:77], s[76:77]
; %bb.5724:                             ;   in Loop: Header=BB2_5710 Depth=3
	v_cmp_eq_u32_e32 vcc, 0, v15
	v_mov_b32_e32 v7, 0x7f800001
	v_cndmask_b32_e32 v7, v7, v2, vcc
; %bb.5725:                             ;   in Loop: Header=BB2_5710 Depth=3
	s_or_b64 exec, exec, s[76:77]
.LBB2_5726:                             ;   in Loop: Header=BB2_5710 Depth=3
	s_or_b64 exec, exec, s[74:75]
.LBB2_5727:                             ;   in Loop: Header=BB2_5710 Depth=3
	s_or_b64 exec, exec, s[72:73]
	v_max_f32_e32 v7, v7, v7
	v_max_f32_e32 v14, v14, v14
	;; [unrolled: 1-line block ×3, first 2 shown]
	s_branch .LBB2_5746
.LBB2_5728:                             ;   in Loop: Header=BB2_5710 Depth=3
                                        ; implicit-def: $vgpr7
	s_cbranch_execz .LBB2_5746
; %bb.5729:                             ;   in Loop: Header=BB2_5710 Depth=3
	v_mov_b32_e32 v7, 0
	v_mov_b32_e32 v14, 0
	s_and_saveexec_b64 s[72:73], s[34:35]
	s_cbranch_execz .LBB2_5737
; %bb.5730:                             ;   in Loop: Header=BB2_5710 Depth=3
	v_cmp_ne_u16_e32 vcc, s94, v16
	v_bfrev_b32_e32 v14, 1
	s_and_saveexec_b64 s[34:35], vcc
	s_cbranch_execz .LBB2_5736
; %bb.5731:                             ;   in Loop: Header=BB2_5710 Depth=3
	v_and_b32_e32 v14, 0x7c, v6
	v_and_b32_e32 v15, 3, v6
	v_cmp_ne_u32_e32 vcc, s95, v14
                                        ; implicit-def: $vgpr14
	s_and_saveexec_b64 s[74:75], vcc
	s_xor_b64 s[74:75], exec, s[74:75]
	s_cbranch_execz .LBB2_5733
; %bb.5732:                             ;   in Loop: Header=BB2_5710 Depth=3
	v_ffbh_u32_e32 v18, v15
	v_min_u32_e32 v18, 32, v18
	v_mov_b32_e32 v17, v51
	v_subrev_u32_e32 v19, 29, v18
	v_bfe_u32 v6, v6, 2, 5
	v_bfe_i32 v14, v16, 0, 16
	v_lshlrev_b64 v[16:17], v19, v[16:17]
	v_sub_u32_e32 v17, 30, v18
	v_and_b32_e32 v16, 3, v16
	v_cmp_eq_u32_e32 vcc, 0, v6
	v_cndmask_b32_e32 v6, v6, v17, vcc
	v_cndmask_b32_e32 v15, v15, v16, vcc
	v_bfrev_b32_e32 v16, 28
	v_lshl_add_u32 v6, v6, 23, v16
	v_and_or_b32 v6, v14, s96, v6
	v_lshl_or_b32 v14, v15, 21, v6
                                        ; implicit-def: $vgpr15
                                        ; implicit-def: $vgpr16
.LBB2_5733:                             ;   in Loop: Header=BB2_5710 Depth=3
	s_andn2_saveexec_b64 s[74:75], s[74:75]
; %bb.5734:                             ;   in Loop: Header=BB2_5710 Depth=3
	v_cmp_lt_i16_e32 vcc, -1, v16
	v_mov_b32_e32 v6, 0xc7600000
	v_mov_b32_e32 v14, 0x47600000
	v_cndmask_b32_e32 v6, v6, v14, vcc
	v_cmp_eq_u32_e32 vcc, 0, v15
	v_mov_b32_e32 v14, 0x7f800001
	v_cndmask_b32_e32 v14, v14, v6, vcc
; %bb.5735:                             ;   in Loop: Header=BB2_5710 Depth=3
	s_or_b64 exec, exec, s[74:75]
.LBB2_5736:                             ;   in Loop: Header=BB2_5710 Depth=3
	s_or_b64 exec, exec, s[34:35]
.LBB2_5737:                             ;   in Loop: Header=BB2_5710 Depth=3
	s_or_b64 exec, exec, s[72:73]
	s_and_saveexec_b64 s[34:35], s[30:31]
	s_cbranch_execz .LBB2_5745
; %bb.5738:                             ;   in Loop: Header=BB2_5710 Depth=3
	v_bfrev_b32_e32 v7, 1
	s_and_saveexec_b64 s[30:31], s[28:29]
	s_cbranch_execz .LBB2_5744
; %bb.5739:                             ;   in Loop: Header=BB2_5710 Depth=3
	v_mov_b32_e32 v6, 3
	v_and_b32_sdwa v7, sext(v1), s95 dst_sel:DWORD dst_unused:UNUSED_PAD src0_sel:BYTE_0 src1_sel:DWORD
	v_and_b32_sdwa v6, sext(v1), v6 dst_sel:DWORD dst_unused:UNUSED_PAD src0_sel:BYTE_0 src1_sel:DWORD
	v_cmp_ne_u32_e32 vcc, s95, v7
                                        ; implicit-def: $vgpr7
	s_and_saveexec_b64 s[28:29], vcc
	s_xor_b64 s[28:29], exec, s[28:29]
	s_cbranch_execz .LBB2_5741
; %bb.5740:                             ;   in Loop: Header=BB2_5710 Depth=3
	v_ffbh_u32_e32 v2, v6
	v_min_u32_e32 v2, 32, v2
	v_and_b32_sdwa v1, sext(v1), s93 dst_sel:DWORD dst_unused:UNUSED_PAD src0_sel:BYTE_0 src1_sel:DWORD
	v_subrev_u32_e32 v7, 29, v2
	v_bfe_u32 v1, v1, 2, 5
	v_lshlrev_b64 v[16:17], v7, v[50:51]
	v_sub_u32_e32 v2, 30, v2
	v_and_b32_e32 v7, 3, v16
	v_cmp_eq_u32_e32 vcc, 0, v1
	v_cndmask_b32_e32 v1, v1, v2, vcc
	v_cndmask_b32_e32 v2, v6, v7, vcc
	v_lshlrev_b32_e32 v2, 21, v2
	v_lshl_or_b32 v1, v1, 23, v2
	v_add_u32_e32 v1, 0x38000000, v1
	v_or_b32_e32 v7, v1, v3
                                        ; implicit-def: $vgpr6
                                        ; implicit-def: $vgpr2
.LBB2_5741:                             ;   in Loop: Header=BB2_5710 Depth=3
	s_andn2_saveexec_b64 s[28:29], s[28:29]
; %bb.5742:                             ;   in Loop: Header=BB2_5710 Depth=3
	v_cmp_eq_u32_e32 vcc, 0, v6
	v_mov_b32_e32 v1, 0x7f800001
	v_cndmask_b32_e32 v7, v1, v2, vcc
; %bb.5743:                             ;   in Loop: Header=BB2_5710 Depth=3
	s_or_b64 exec, exec, s[28:29]
.LBB2_5744:                             ;   in Loop: Header=BB2_5710 Depth=3
	s_or_b64 exec, exec, s[30:31]
.LBB2_5745:                             ;   in Loop: Header=BB2_5710 Depth=3
	s_or_b64 exec, exec, s[34:35]
	v_max_f32_e32 v1, v7, v7
	v_max_f32_e32 v2, v14, v14
	v_min_f32_e32 v7, v2, v1
.LBB2_5746:                             ;   in Loop: Header=BB2_5710 Depth=3
	v_and_b32_sdwa v2, v7, s97 dst_sel:DWORD dst_unused:UNUSED_PAD src0_sel:BYTE_3 src1_sel:DWORD
	v_and_b32_e32 v14, 0x7f800000, v7
	v_mov_b32_e32 v15, v51
	v_and_b32_e32 v50, 0x7fffff, v7
	v_or_b32_e32 v1, 0x7b, v2
	v_cmp_ne_u64_e32 vcc, s[52:53], v[14:15]
	s_and_saveexec_b64 s[28:29], vcc
	s_xor_b64 s[30:31], exec, s[28:29]
	s_cbranch_execz .LBB2_5760
; %bb.5747:                             ;   in Loop: Header=BB2_5710 Depth=3
	v_and_b32_e32 v14, 0x7fffffff, v7
	v_mov_b32_e32 v15, v51
	v_cmp_gt_u64_e32 vcc, s[54:55], v[14:15]
	s_and_saveexec_b64 s[28:29], vcc
	s_xor_b64 s[34:35], exec, s[28:29]
	s_cbranch_execz .LBB2_5759
; %bb.5748:                             ;   in Loop: Header=BB2_5710 Depth=3
	v_cmp_ne_u32_e32 vcc, 0, v7
	v_mov_b32_e32 v1, 0
	s_and_saveexec_b64 s[72:73], vcc
	s_cbranch_execz .LBB2_5758
; %bb.5749:                             ;   in Loop: Header=BB2_5710 Depth=3
	v_bfe_u32 v1, v7, 23, 8
	v_sub_u32_e32 v6, 0x71, v1
	v_cmp_gt_u32_e32 vcc, s38, v1
	v_add_u32_e32 v3, 0xffffff81, v1
	v_cndmask_b32_e32 v6, 0, v6, vcc
	v_cmp_eq_u32_e32 vcc, 0, v1
	v_mov_b32_e32 v1, 0xffffff82
	v_cndmask_b32_e32 v1, v3, v1, vcc
	v_mov_b32_e32 v3, 0x70
	v_cndmask_b32_e32 v3, v6, v3, vcc
	v_or_b32_e32 v7, 0x800000, v50
	v_add_u32_e32 v6, 21, v3
	v_cndmask_b32_e32 v50, v7, v50, vcc
	v_lshlrev_b64 v[6:7], v6, -1
	v_not_b32_e32 v6, v6
	v_and_b32_e32 v14, v50, v6
	v_add_u32_e32 v6, 20, v3
	v_lshrrev_b64 v[18:19], v3, v[50:51]
	v_not_b32_e32 v7, v7
	v_lshlrev_b64 v[16:17], v6, 1
	v_lshrrev_b32_e32 v6, 23, v18
	v_and_b32_e32 v15, 0, v7
	v_add3_u32 v6, v3, v1, v6
	v_bfe_u32 v3, v18, 21, 1
	v_add_u32_e32 v3, -1, v3
	v_cmp_eq_u64_e32 vcc, v[14:15], v[16:17]
	v_cndmask_b32_e32 v3, 0, v3, vcc
	v_add_u32_e32 v3, v3, v18
	v_and_b32_e32 v3, 0x1fffff, v3
	v_add_co_u32_e32 v14, vcc, v3, v18
	v_add_u32_e32 v1, 14, v6
	v_addc_co_u32_e32 v15, vcc, 0, v19, vcc
	v_cmp_ne_u32_e32 vcc, 0, v1
                                        ; implicit-def: $vgpr3
	s_and_saveexec_b64 s[28:29], vcc
	s_xor_b64 s[28:29], exec, s[28:29]
; %bb.5750:                             ;   in Loop: Header=BB2_5710 Depth=3
	v_add_u32_e32 v3, 15, v6
	v_cmp_lt_u64_e32 vcc, s[56:57], v[14:15]
	v_cndmask_b32_e32 v3, v1, v3, vcc
	v_cndmask_b32_e64 v1, 0, 1, vcc
	v_lshrrev_b64 v[14:15], v1, v[14:15]
; %bb.5751:                             ;   in Loop: Header=BB2_5710 Depth=3
	s_andn2_saveexec_b64 s[28:29], s[28:29]
; %bb.5752:                             ;   in Loop: Header=BB2_5710 Depth=3
	v_bfe_u32 v3, v14, 23, 1
; %bb.5753:                             ;   in Loop: Header=BB2_5710 Depth=3
	s_or_b64 exec, exec, s[28:29]
	v_lshrrev_b64 v[6:7], 21, v[14:15]
	v_cmp_gt_i32_e32 vcc, 32, v3
	v_cndmask_b32_e32 v15, 0, v7, vcc
	v_cndmask_b32_e32 v14, 3, v6, vcc
	v_cmp_ne_u32_e32 vcc, 0, v3
	v_cmp_ne_u64_e64 s[28:29], 0, v[14:15]
	s_or_b64 s[28:29], vcc, s[28:29]
                                        ; implicit-def: $vgpr1
	s_and_saveexec_b64 vcc, s[28:29]
	s_xor_b64 s[28:29], exec, vcc
; %bb.5754:                             ;   in Loop: Header=BB2_5710 Depth=3
	v_min_i32_e32 v1, 31, v3
	v_lshl_or_b32 v1, v1, 2, v2
	v_and_or_b32 v1, v14, 3, v1
                                        ; implicit-def: $vgpr2
; %bb.5755:                             ;   in Loop: Header=BB2_5710 Depth=3
	s_andn2_saveexec_b64 s[28:29], s[28:29]
; %bb.5756:                             ;   in Loop: Header=BB2_5710 Depth=3
	v_mov_b32_e32 v1, v2
; %bb.5757:                             ;   in Loop: Header=BB2_5710 Depth=3
	s_or_b64 exec, exec, s[28:29]
.LBB2_5758:                             ;   in Loop: Header=BB2_5710 Depth=3
	s_or_b64 exec, exec, s[72:73]
.LBB2_5759:                             ;   in Loop: Header=BB2_5710 Depth=3
	s_andn2_saveexec_b64 s[28:29], s[34:35]
	s_or_b64 exec, exec, s[28:29]
                                        ; implicit-def: $vgpr7
.LBB2_5760:                             ;   in Loop: Header=BB2_5710 Depth=3
	s_andn2_saveexec_b64 s[28:29], s[30:31]
; %bb.5761:                             ;   in Loop: Header=BB2_5710 Depth=3
	v_or_b32_sdwa v2, v7, s39 dst_sel:DWORD dst_unused:UNUSED_PAD src0_sel:BYTE_3 src1_sel:DWORD
	v_cmp_eq_u64_e32 vcc, 0, v[50:51]
	v_cndmask_b32_e32 v1, v2, v1, vcc
; %bb.5762:                             ;   in Loop: Header=BB2_5710 Depth=3
	s_or_b64 exec, exec, s[28:29]
	s_mov_b64 s[72:73], 0
	s_mov_b64 s[34:35], -1
.LBB2_5763:                             ;   Parent Loop BB2_47 Depth=1
                                        ;     Parent Loop BB2_3056 Depth=2
                                        ;       Parent Loop BB2_5710 Depth=3
                                        ; =>      This Inner Loop Header: Depth=4
	s_cmp_eq_u32 s72, 1
	s_cselect_b64 vcc, -1, 0
	v_cndmask_b32_e32 v3, v5, v9, vcc
	v_cndmask_b32_e32 v2, v4, v8, vcc
	flat_store_byte v[2:3], v1 glc slc
	v_add_co_u32_e64 v2, s[28:29], 64, v2
	s_cmp_eq_u32 s72, 0
	v_addc_co_u32_e64 v3, s[28:29], 0, v3, s[28:29]
	s_cselect_b64 s[28:29], -1, 0
	s_and_b64 s[30:31], exec, s[34:35]
	s_mov_b64 s[72:73], 1
	s_mov_b64 s[34:35], 0
	v_cndmask_b32_e32 v9, v9, v3, vcc
	v_cndmask_b32_e32 v8, v8, v2, vcc
	v_cndmask_b32_e64 v5, v5, v3, s[28:29]
	v_cndmask_b32_e64 v4, v4, v2, s[28:29]
	s_mov_b64 vcc, s[30:31]
	s_cbranch_vccnz .LBB2_5763
; %bb.5764:                             ;   in Loop: Header=BB2_5710 Depth=3
	v_accvgpr_read_b32 v1, a36
	v_add_co_u32_e32 v10, vcc, v10, v1
	v_accvgpr_read_b32 v2, a37
	v_addc_co_u32_e32 v11, vcc, v11, v2, vcc
	v_add_co_u32_e32 v12, vcc, v12, v1
	v_addc_co_u32_e32 v13, vcc, v13, v2, vcc
	v_accvgpr_read_b32 v2, a30
	v_add_co_u32_e32 v4, vcc, v4, v2
	v_accvgpr_read_b32 v1, a29
	v_addc_co_u32_e32 v5, vcc, v5, v1, vcc
	v_sub_u32_e32 v0, v0, v41
	v_cmp_gt_i32_e32 vcc, 1, v0
	s_or_b64 s[68:69], vcc, s[68:69]
	v_add_co_u32_e32 v8, vcc, v8, v2
	v_addc_co_u32_e32 v9, vcc, v9, v1, vcc
	s_andn2_b64 exec, exec, s[68:69]
	s_cbranch_execnz .LBB2_5710
.LBB2_5765:                             ;   in Loop: Header=BB2_3056 Depth=2
	s_or_b64 exec, exec, s[66:67]
	s_or_b64 exec, exec, s[64:65]
	s_branch .LBB2_3129
.LBB2_5766:                             ;   in Loop: Header=BB2_3056 Depth=2
	s_mov_b64 s[30:31], -1
	s_and_saveexec_b64 s[28:29], s[22:23]
	s_cbranch_execz .LBB2_5768
; %bb.5767:                             ;   in Loop: Header=BB2_3056 Depth=2
	ds_read_b32 v0, v0 offset:720
	s_waitcnt lgkmcnt(0)
	v_and_b32_e32 v0, 15, v0
	v_cmp_eq_u32_e32 vcc, 0, v0
	s_orn2_b64 s[30:31], vcc, exec
.LBB2_5768:                             ;   in Loop: Header=BB2_3056 Depth=2
	s_or_b64 exec, exec, s[28:29]
	s_and_saveexec_b64 s[28:29], s[18:19]
	s_cbranch_execz .LBB2_5770
; %bb.5769:                             ;   in Loop: Header=BB2_3056 Depth=2
	ds_read_b32 v0, v0 offset:784
	s_waitcnt lgkmcnt(0)
	v_and_b32_e32 v0, 15, v0
	v_cmp_eq_u32_e32 vcc, 0, v0
	s_and_b64 vcc, s[30:31], vcc
	s_andn2_b64 s[30:31], s[30:31], exec
	s_and_b64 vcc, vcc, exec
	s_or_b64 s[30:31], s[30:31], vcc
.LBB2_5770:                             ;   in Loop: Header=BB2_3056 Depth=2
	s_or_b64 exec, exec, s[28:29]
	s_xor_b64 vcc, s[30:31], -1
	v_cndmask_b32_e64 v0, 0, 1, vcc
	;;#ASMSTART
	;;#ASMEND
	buffer_load_dword v29, off, s[0:3], s33 offset:172 ; 4-byte Folded Reload
	s_mov_b64 s[28:29], -1
	v_cmp_ne_u32_e32 vcc, 0, v0
	v_mov_b32_e32 v7, 0
	s_waitcnt vmcnt(0)
	v_mov_b32_e32 v30, v40
	v_accvgpr_read_b32 v0, a31
	s_cbranch_vccz .LBB2_5773
; %bb.5771:                             ;   in Loop: Header=BB2_3056 Depth=2
	s_and_saveexec_b64 s[64:65], s[28:29]
	s_cbranch_execnz .LBB2_8090
.LBB2_5772:                             ;   in Loop: Header=BB2_3056 Depth=2
	s_or_b64 exec, exec, s[64:65]
	s_and_saveexec_b64 s[28:29], s[10:11]
	s_cbranch_execnz .LBB2_3130
	s_branch .LBB2_4688
.LBB2_5773:                             ;   in Loop: Header=BB2_3056 Depth=2
	buffer_load_dword v1, off, s[0:3], s33 offset:172 ; 4-byte Folded Reload
	s_waitcnt vmcnt(0)
	v_ashrrev_i32_e32 v0, 31, v1
	v_lshrrev_b32_e32 v0, 21, v0
	v_add_u32_e32 v0, v1, v0
	v_ashrrev_i32_e32 v1, 11, v0
	v_accvgpr_read_b32 v0, a31
	v_sub_u32_e32 v3, v1, v0
	v_cmp_lt_i32_e32 vcc, 0, v3
	s_and_saveexec_b64 s[34:35], vcc
	s_cbranch_execz .LBB2_7313
; %bb.5774:                             ;   in Loop: Header=BB2_3056 Depth=2
	v_accvgpr_write_b32 a60, v1
	s_trap 2
	ds_read_b128 v[4:7], v0
	ds_read_b64 v[0:1], v0
	v_accvgpr_read_b32 v2, a44
	v_accvgpr_read_b32 v9, a45
	s_bitcmp1_b32 s82, 0
	s_waitcnt lgkmcnt(0)
	v_add_co_u32_e32 v4, vcc, v4, v2
	v_addc_co_u32_e32 v5, vcc, v5, v9, vcc
	v_add_co_u32_e32 v40, vcc, v6, v2
	v_addc_co_u32_e32 v41, vcc, v7, v9, vcc
	;; [unrolled: 2-line block ×3, first 2 shown]
	s_mov_b64 s[64:65], 0
	s_cselect_b64 s[66:67], -1, 0
	s_branch .LBB2_5776
.LBB2_5775:                             ;   in Loop: Header=BB2_5776 Depth=3
	s_or_b64 exec, exec, s[28:29]
	v_lshlrev_b32_e32 v9, 16, v52
	v_lshlrev_b32_e32 v10, 8, v58
	v_perm_b32 v9, v20, v9, s81
	v_perm_b32 v10, v10, v46, s9
	v_or_b32_e32 v37, v9, v10
	v_and_b32_e32 v9, 0xff, v44
	v_lshlrev_b32_e32 v1, 8, v1
	v_lshlrev_b32_e32 v10, 24, v55
	;; [unrolled: 1-line block ×3, first 2 shown]
	v_perm_b32 v1, v1, v2, s9
	v_or3_b32 v36, v10, v9, v1
	v_and_b32_e32 v1, 0xff, v45
	v_lshlrev_b32_e32 v9, 8, v53
	v_lshlrev_b32_e32 v2, 24, v38
	;; [unrolled: 1-line block ×3, first 2 shown]
	v_perm_b32 v9, v9, v21, s9
	v_or3_b32 v38, v2, v1, v9
	v_lshlrev_b32_e32 v1, 8, v6
	v_lshlrev_b32_e32 v2, 16, v54
	v_perm_b32 v1, v1, v39, s9
	v_perm_b32 v2, v18, v2, s81
	v_or_b32_e32 v39, v2, v1
	v_lshlrev_b32_e32 v1, 16, v17
	v_lshlrev_b32_e32 v2, 8, v16
	v_perm_b32 v1, v26, v1, s81
	v_perm_b32 v2, v2, v57, s9
	v_or_b32_e32 v11, v1, v2
	v_and_b32_e32 v1, 0xff, v23
	v_lshlrev_b32_e32 v6, 8, v22
	v_lshlrev_b32_e32 v2, 24, v59
	;; [unrolled: 1-line block ×3, first 2 shown]
	v_perm_b32 v6, v6, v19, s9
	v_or3_b32 v10, v2, v1, v6
	v_and_b32_e32 v1, 0xff, v7
	v_lshlrev_b32_e32 v6, 8, v31
	v_lshlrev_b32_e32 v2, 24, v30
	;; [unrolled: 1-line block ×3, first 2 shown]
	v_perm_b32 v6, v6, v27, s9
	v_or3_b32 v12, v2, v1, v6
	v_lshlrev_b32_e32 v1, 8, v13
	v_perm_b32 v0, v1, v0, s9
	v_lshlrev_b32_e32 v1, 16, v14
	v_perm_b32 v1, v8, v1, s81
	v_or_b32_e32 v13, v1, v0
	v_accvgpr_read_b32 v0, a38
	v_add_co_u32_e32 v4, vcc, v4, v0
	v_accvgpr_read_b32 v1, a39
	v_addc_co_u32_e32 v5, vcc, v5, v1, vcc
	v_add_co_u32_e32 v40, vcc, v40, v0
	v_accvgpr_read_b32 v44, a22
	v_addc_co_u32_e32 v41, vcc, v41, v1, vcc
	v_sub_u32_e32 v3, v3, v44
	v_cmp_gt_i32_e32 vcc, 1, v3
	global_store_dwordx4 v[42:43], v[36:39], off glc slc
	global_store_dwordx4 v[42:43], v[10:13], off offset:1024 glc slc
	s_or_b64 s[64:65], vcc, s[64:65]
	v_add_co_u32_e32 v42, vcc, v42, v0
	v_addc_co_u32_e32 v43, vcc, v43, v1, vcc
	s_andn2_b64 exec, exec, s[64:65]
	s_cbranch_execz .LBB2_7312
.LBB2_5776:                             ;   Parent Loop BB2_47 Depth=1
                                        ;     Parent Loop BB2_3056 Depth=2
                                        ; =>    This Inner Loop Header: Depth=3
	global_load_dwordx4 v[20:23], v[4:5], off glc slc
	global_load_dwordx4 v[26:29], v[4:5], off offset:1024 glc slc
	global_load_dwordx4 v[16:19], v[40:41], off glc slc
	global_load_dwordx4 v[8:11], v[40:41], off offset:1024 glc slc
	s_and_b64 vcc, exec, s[66:67]
	s_waitcnt vmcnt(3)
	v_cmp_ne_u16_sdwa s[28:29], v20, v51 src0_sel:BYTE_0 src1_sel:DWORD
	s_cbranch_vccz .LBB2_5794
; %bb.5777:                             ;   in Loop: Header=BB2_5776 Depth=3
	v_mov_b32_e32 v1, 0
	v_mov_b32_e32 v0, 0
	s_and_saveexec_b64 s[30:31], s[28:29]
	s_cbranch_execz .LBB2_5785
; %bb.5778:                             ;   in Loop: Header=BB2_5776 Depth=3
	v_cmp_ne_u16_sdwa vcc, sext(v20), s94 src0_sel:BYTE_0 src1_sel:DWORD
	v_bfrev_b32_e32 v0, 1
	s_and_saveexec_b64 s[68:69], vcc
	s_cbranch_execz .LBB2_5784
; %bb.5779:                             ;   in Loop: Header=BB2_5776 Depth=3
	v_and_b32_e32 v0, 0x7c, v20
	v_and_b32_e32 v2, 3, v20
	v_cmp_ne_u32_e32 vcc, s95, v0
                                        ; implicit-def: $vgpr0
	s_and_saveexec_b64 s[70:71], vcc
	s_xor_b64 s[70:71], exec, s[70:71]
	s_cbranch_execz .LBB2_5781
; %bb.5780:                             ;   in Loop: Header=BB2_5776 Depth=3
	v_ffbh_u32_e32 v6, v2
	v_min_u32_e32 v12, 32, v6
	v_subrev_u32_e32 v6, 29, v12
	v_bfe_u32 v0, v20, 2, 5
	v_lshlrev_b64 v[6:7], v6, v[20:21]
	v_sub_u32_e32 v7, 30, v12
	v_cmp_eq_u32_e32 vcc, 0, v0
	v_and_b32_e32 v6, 3, v6
	v_cndmask_b32_e32 v0, v0, v7, vcc
	v_bfrev_b32_e32 v7, 28
	v_cndmask_b32_e32 v2, v2, v6, vcc
	v_lshlrev_b32_e32 v6, 24, v20
	v_lshl_add_u32 v0, v0, 23, v7
	v_and_or_b32 v0, v6, s96, v0
	v_lshl_or_b32 v0, v2, 21, v0
                                        ; implicit-def: $vgpr2
.LBB2_5781:                             ;   in Loop: Header=BB2_5776 Depth=3
	s_andn2_saveexec_b64 s[70:71], s[70:71]
; %bb.5782:                             ;   in Loop: Header=BB2_5776 Depth=3
	v_mov_b32_e32 v0, -1
	v_cmp_gt_i16_sdwa vcc, sext(v20), v0 src0_sel:BYTE_0 src1_sel:DWORD
	v_mov_b32_e32 v0, 0xc7600000
	v_mov_b32_e32 v6, 0x47600000
	v_cndmask_b32_e32 v0, v0, v6, vcc
	v_cmp_eq_u32_e32 vcc, 0, v2
	v_mov_b32_e32 v2, 0x7f800001
	v_cndmask_b32_e32 v0, v2, v0, vcc
; %bb.5783:                             ;   in Loop: Header=BB2_5776 Depth=3
	s_or_b64 exec, exec, s[70:71]
.LBB2_5784:                             ;   in Loop: Header=BB2_5776 Depth=3
	s_or_b64 exec, exec, s[68:69]
.LBB2_5785:                             ;   in Loop: Header=BB2_5776 Depth=3
	s_or_b64 exec, exec, s[30:31]
	s_waitcnt vmcnt(1)
	v_cmp_ne_u16_sdwa vcc, sext(v16), v51 src0_sel:BYTE_0 src1_sel:DWORD
	s_and_saveexec_b64 s[30:31], vcc
	s_cbranch_execz .LBB2_5793
; %bb.5786:                             ;   in Loop: Header=BB2_5776 Depth=3
	v_cmp_ne_u16_sdwa vcc, sext(v16), s94 src0_sel:BYTE_0 src1_sel:DWORD
	v_bfrev_b32_e32 v1, 1
	s_and_saveexec_b64 s[68:69], vcc
	s_cbranch_execz .LBB2_5792
; %bb.5787:                             ;   in Loop: Header=BB2_5776 Depth=3
	v_and_b32_e32 v1, 0x7c, v16
	v_and_b32_e32 v2, 3, v16
	v_cmp_ne_u32_e32 vcc, s95, v1
                                        ; implicit-def: $vgpr1
	s_and_saveexec_b64 s[70:71], vcc
	s_xor_b64 s[70:71], exec, s[70:71]
	s_cbranch_execz .LBB2_5789
; %bb.5788:                             ;   in Loop: Header=BB2_5776 Depth=3
	v_ffbh_u32_e32 v6, v2
	v_min_u32_e32 v12, 32, v6
	v_subrev_u32_e32 v6, 29, v12
	v_bfe_u32 v1, v16, 2, 5
	v_lshlrev_b64 v[6:7], v6, v[16:17]
	v_sub_u32_e32 v7, 30, v12
	v_cmp_eq_u32_e32 vcc, 0, v1
	v_and_b32_e32 v6, 3, v6
	v_cndmask_b32_e32 v1, v1, v7, vcc
	v_bfrev_b32_e32 v7, 28
	v_cndmask_b32_e32 v2, v2, v6, vcc
	v_lshlrev_b32_e32 v6, 24, v16
	v_lshl_add_u32 v1, v1, 23, v7
	v_and_or_b32 v1, v6, s96, v1
	v_lshl_or_b32 v1, v2, 21, v1
                                        ; implicit-def: $vgpr2
.LBB2_5789:                             ;   in Loop: Header=BB2_5776 Depth=3
	s_andn2_saveexec_b64 s[70:71], s[70:71]
; %bb.5790:                             ;   in Loop: Header=BB2_5776 Depth=3
	v_mov_b32_e32 v1, -1
	v_cmp_gt_i16_sdwa vcc, sext(v16), v1 src0_sel:BYTE_0 src1_sel:DWORD
	v_mov_b32_e32 v1, 0xc7600000
	v_mov_b32_e32 v6, 0x47600000
	v_cndmask_b32_e32 v1, v1, v6, vcc
	v_cmp_eq_u32_e32 vcc, 0, v2
	v_mov_b32_e32 v2, 0x7f800001
	v_cndmask_b32_e32 v1, v2, v1, vcc
; %bb.5791:                             ;   in Loop: Header=BB2_5776 Depth=3
	s_or_b64 exec, exec, s[70:71]
.LBB2_5792:                             ;   in Loop: Header=BB2_5776 Depth=3
	s_or_b64 exec, exec, s[68:69]
.LBB2_5793:                             ;   in Loop: Header=BB2_5776 Depth=3
	s_or_b64 exec, exec, s[30:31]
	v_max_f32_e32 v1, v1, v1
	v_max_f32_e32 v0, v0, v0
	;; [unrolled: 1-line block ×3, first 2 shown]
	s_branch .LBB2_5812
.LBB2_5794:                             ;   in Loop: Header=BB2_5776 Depth=3
                                        ; implicit-def: $vgpr1
	s_cbranch_execz .LBB2_5812
; %bb.5795:                             ;   in Loop: Header=BB2_5776 Depth=3
	v_mov_b32_e32 v1, 0
	v_mov_b32_e32 v0, 0
	s_and_saveexec_b64 s[30:31], s[28:29]
	s_cbranch_execz .LBB2_5803
; %bb.5796:                             ;   in Loop: Header=BB2_5776 Depth=3
	v_cmp_ne_u16_sdwa vcc, sext(v20), s94 src0_sel:BYTE_0 src1_sel:DWORD
	v_bfrev_b32_e32 v0, 1
	s_and_saveexec_b64 s[28:29], vcc
	s_cbranch_execz .LBB2_5802
; %bb.5797:                             ;   in Loop: Header=BB2_5776 Depth=3
	v_and_b32_e32 v0, 0x7c, v20
	v_and_b32_e32 v2, 3, v20
	v_cmp_ne_u32_e32 vcc, s95, v0
                                        ; implicit-def: $vgpr0
	s_and_saveexec_b64 s[68:69], vcc
	s_xor_b64 s[68:69], exec, s[68:69]
	s_cbranch_execz .LBB2_5799
; %bb.5798:                             ;   in Loop: Header=BB2_5776 Depth=3
	v_ffbh_u32_e32 v6, v2
	v_min_u32_e32 v12, 32, v6
	v_subrev_u32_e32 v6, 29, v12
	v_bfe_u32 v0, v20, 2, 5
	v_lshlrev_b64 v[6:7], v6, v[20:21]
	v_sub_u32_e32 v7, 30, v12
	v_cmp_eq_u32_e32 vcc, 0, v0
	v_and_b32_e32 v6, 3, v6
	v_cndmask_b32_e32 v0, v0, v7, vcc
	v_bfrev_b32_e32 v7, 28
	v_cndmask_b32_e32 v2, v2, v6, vcc
	v_lshlrev_b32_e32 v6, 24, v20
	v_lshl_add_u32 v0, v0, 23, v7
	v_and_or_b32 v0, v6, s96, v0
	v_lshl_or_b32 v0, v2, 21, v0
                                        ; implicit-def: $vgpr2
.LBB2_5799:                             ;   in Loop: Header=BB2_5776 Depth=3
	s_andn2_saveexec_b64 s[68:69], s[68:69]
; %bb.5800:                             ;   in Loop: Header=BB2_5776 Depth=3
	v_mov_b32_e32 v0, -1
	v_cmp_gt_i16_sdwa vcc, sext(v20), v0 src0_sel:BYTE_0 src1_sel:DWORD
	v_mov_b32_e32 v0, 0xc7600000
	v_mov_b32_e32 v6, 0x47600000
	v_cndmask_b32_e32 v0, v0, v6, vcc
	v_cmp_eq_u32_e32 vcc, 0, v2
	v_mov_b32_e32 v2, 0x7f800001
	v_cndmask_b32_e32 v0, v2, v0, vcc
; %bb.5801:                             ;   in Loop: Header=BB2_5776 Depth=3
	s_or_b64 exec, exec, s[68:69]
.LBB2_5802:                             ;   in Loop: Header=BB2_5776 Depth=3
	s_or_b64 exec, exec, s[28:29]
.LBB2_5803:                             ;   in Loop: Header=BB2_5776 Depth=3
	s_or_b64 exec, exec, s[30:31]
	s_waitcnt vmcnt(1)
	v_cmp_ne_u16_sdwa vcc, sext(v16), v51 src0_sel:BYTE_0 src1_sel:DWORD
	s_and_saveexec_b64 s[28:29], vcc
	s_cbranch_execz .LBB2_5811
; %bb.5804:                             ;   in Loop: Header=BB2_5776 Depth=3
	v_cmp_ne_u16_sdwa vcc, sext(v16), s94 src0_sel:BYTE_0 src1_sel:DWORD
	v_bfrev_b32_e32 v1, 1
	s_and_saveexec_b64 s[30:31], vcc
	s_cbranch_execz .LBB2_5810
; %bb.5805:                             ;   in Loop: Header=BB2_5776 Depth=3
	v_and_b32_e32 v1, 0x7c, v16
	v_and_b32_e32 v2, 3, v16
	v_cmp_ne_u32_e32 vcc, s95, v1
                                        ; implicit-def: $vgpr1
	s_and_saveexec_b64 s[68:69], vcc
	s_xor_b64 s[68:69], exec, s[68:69]
	s_cbranch_execz .LBB2_5807
; %bb.5806:                             ;   in Loop: Header=BB2_5776 Depth=3
	v_ffbh_u32_e32 v6, v2
	v_min_u32_e32 v12, 32, v6
	v_subrev_u32_e32 v6, 29, v12
	v_bfe_u32 v1, v16, 2, 5
	v_lshlrev_b64 v[6:7], v6, v[16:17]
	v_sub_u32_e32 v7, 30, v12
	v_cmp_eq_u32_e32 vcc, 0, v1
	v_and_b32_e32 v6, 3, v6
	v_cndmask_b32_e32 v1, v1, v7, vcc
	v_bfrev_b32_e32 v7, 28
	v_cndmask_b32_e32 v2, v2, v6, vcc
	v_lshlrev_b32_e32 v6, 24, v16
	v_lshl_add_u32 v1, v1, 23, v7
	v_and_or_b32 v1, v6, s96, v1
	v_lshl_or_b32 v1, v2, 21, v1
                                        ; implicit-def: $vgpr2
.LBB2_5807:                             ;   in Loop: Header=BB2_5776 Depth=3
	s_andn2_saveexec_b64 s[68:69], s[68:69]
; %bb.5808:                             ;   in Loop: Header=BB2_5776 Depth=3
	v_mov_b32_e32 v1, -1
	v_cmp_gt_i16_sdwa vcc, sext(v16), v1 src0_sel:BYTE_0 src1_sel:DWORD
	v_mov_b32_e32 v1, 0xc7600000
	v_mov_b32_e32 v6, 0x47600000
	v_cndmask_b32_e32 v1, v1, v6, vcc
	v_cmp_eq_u32_e32 vcc, 0, v2
	v_mov_b32_e32 v2, 0x7f800001
	v_cndmask_b32_e32 v1, v2, v1, vcc
; %bb.5809:                             ;   in Loop: Header=BB2_5776 Depth=3
	s_or_b64 exec, exec, s[68:69]
.LBB2_5810:                             ;   in Loop: Header=BB2_5776 Depth=3
	s_or_b64 exec, exec, s[30:31]
.LBB2_5811:                             ;   in Loop: Header=BB2_5776 Depth=3
	s_or_b64 exec, exec, s[28:29]
	v_max_f32_e32 v1, v1, v1
	v_max_f32_e32 v0, v0, v0
	v_min_f32_e32 v1, v0, v1
.LBB2_5812:                             ;   in Loop: Header=BB2_5776 Depth=3
	v_and_b32_sdwa v0, v1, s97 dst_sel:DWORD dst_unused:UNUSED_PAD src0_sel:BYTE_3 src1_sel:DWORD
	v_and_b32_e32 v6, 0x7f800000, v1
	v_mov_b32_e32 v7, v51
	v_and_b32_e32 v50, 0x7fffff, v1
	v_or_b32_e32 v2, 0x7b, v0
	v_cmp_ne_u64_e32 vcc, s[52:53], v[6:7]
	s_and_saveexec_b64 s[28:29], vcc
	s_xor_b64 s[30:31], exec, s[28:29]
	s_cbranch_execz .LBB2_5822
; %bb.5813:                             ;   in Loop: Header=BB2_5776 Depth=3
	v_and_b32_e32 v6, 0x7fffffff, v1
	v_mov_b32_e32 v7, v51
	v_cmp_gt_u64_e32 vcc, s[54:55], v[6:7]
	s_and_saveexec_b64 s[68:69], vcc
	s_cbranch_execz .LBB2_5821
; %bb.5814:                             ;   in Loop: Header=BB2_5776 Depth=3
	v_cmp_ne_u32_e32 vcc, 0, v1
	v_mov_b32_e32 v2, 0
	s_and_saveexec_b64 s[70:71], vcc
	s_cbranch_execz .LBB2_5820
; %bb.5815:                             ;   in Loop: Header=BB2_5776 Depth=3
	v_bfe_u32 v1, v1, 23, 8
	v_sub_u32_e32 v6, 0x71, v1
	v_cmp_gt_u32_e32 vcc, s38, v1
	v_add_u32_e32 v2, 0xffffff81, v1
	v_cndmask_b32_e32 v6, 0, v6, vcc
	v_cmp_eq_u32_e32 vcc, 0, v1
	v_mov_b32_e32 v1, 0xffffff82
	v_cndmask_b32_e32 v1, v2, v1, vcc
	v_mov_b32_e32 v2, 0x70
	v_cndmask_b32_e32 v2, v6, v2, vcc
	v_or_b32_e32 v7, 0x800000, v50
	v_add_u32_e32 v6, 21, v2
	v_cndmask_b32_e32 v50, v7, v50, vcc
	v_lshlrev_b64 v[6:7], v6, -1
	v_not_b32_e32 v6, v6
	v_and_b32_e32 v12, v50, v6
	v_add_u32_e32 v6, 20, v2
	v_lshrrev_b64 v[30:31], v2, v[50:51]
	v_not_b32_e32 v7, v7
	v_lshlrev_b64 v[14:15], v6, 1
	v_lshrrev_b32_e32 v6, 23, v30
	v_and_b32_e32 v13, 0, v7
	v_add3_u32 v6, v2, v1, v6
	v_bfe_u32 v1, v30, 21, 1
	v_add_u32_e32 v1, -1, v1
	v_cmp_eq_u64_e32 vcc, v[12:13], v[14:15]
	v_cndmask_b32_e32 v1, 0, v1, vcc
	v_add_u32_e32 v1, v1, v30
	v_and_b32_e32 v1, 0x1fffff, v1
	v_add_co_u32_e32 v12, vcc, v1, v30
	v_add_u32_e32 v2, 14, v6
	v_addc_co_u32_e32 v13, vcc, 0, v31, vcc
	v_cmp_ne_u32_e32 vcc, 0, v2
                                        ; implicit-def: $vgpr1
	s_and_saveexec_b64 s[28:29], vcc
	s_xor_b64 s[28:29], exec, s[28:29]
; %bb.5816:                             ;   in Loop: Header=BB2_5776 Depth=3
	v_add_u32_e32 v1, 15, v6
	v_cmp_lt_u64_e32 vcc, s[56:57], v[12:13]
	v_cndmask_b32_e32 v1, v2, v1, vcc
	v_cndmask_b32_e64 v2, 0, 1, vcc
	v_lshrrev_b64 v[12:13], v2, v[12:13]
; %bb.5817:                             ;   in Loop: Header=BB2_5776 Depth=3
	s_andn2_saveexec_b64 s[28:29], s[28:29]
; %bb.5818:                             ;   in Loop: Header=BB2_5776 Depth=3
	v_bfe_u32 v1, v12, 23, 1
; %bb.5819:                             ;   in Loop: Header=BB2_5776 Depth=3
	s_or_b64 exec, exec, s[28:29]
	v_lshrrev_b64 v[6:7], 21, v[12:13]
	v_cmp_gt_i32_e32 vcc, 32, v1
	v_cndmask_b32_e32 v7, 0, v7, vcc
	v_cndmask_b32_e32 v6, 3, v6, vcc
	v_cmp_eq_u32_e32 vcc, 0, v1
	v_min_i32_e32 v1, 31, v1
	v_cmp_eq_u64_e64 s[28:29], 0, v[6:7]
	v_lshlrev_b32_e32 v1, 2, v1
	v_and_or_b32 v1, v6, 3, v1
	s_and_b64 s[28:29], vcc, s[28:29]
	v_cndmask_b32_e64 v1, v1, 0, s[28:29]
	v_or_b32_e32 v2, v1, v0
.LBB2_5820:                             ;   in Loop: Header=BB2_5776 Depth=3
	s_or_b64 exec, exec, s[70:71]
.LBB2_5821:                             ;   in Loop: Header=BB2_5776 Depth=3
	s_or_b64 exec, exec, s[68:69]
                                        ; implicit-def: $vgpr1
.LBB2_5822:                             ;   in Loop: Header=BB2_5776 Depth=3
	s_andn2_saveexec_b64 s[28:29], s[30:31]
; %bb.5823:                             ;   in Loop: Header=BB2_5776 Depth=3
	v_or_b32_sdwa v0, v1, s39 dst_sel:DWORD dst_unused:UNUSED_PAD src0_sel:BYTE_3 src1_sel:DWORD
	v_cmp_eq_u64_e32 vcc, 0, v[50:51]
	v_cndmask_b32_e32 v2, v0, v2, vcc
; %bb.5824:                             ;   in Loop: Header=BB2_5776 Depth=3
	s_or_b64 exec, exec, s[28:29]
	v_lshrrev_b16_e32 v50, 8, v20
	s_waitcnt vmcnt(1)
	v_lshrrev_b16_e32 v12, 8, v16
	v_cmp_ne_u16_e64 s[28:29], 0, v50
	s_and_b64 vcc, exec, s[66:67]
	s_cbranch_vccz .LBB2_5842
; %bb.5825:                             ;   in Loop: Header=BB2_5776 Depth=3
	v_mov_b32_e32 v1, 0
	v_mov_b32_e32 v0, 0
	s_and_saveexec_b64 s[30:31], s[28:29]
	s_cbranch_execz .LBB2_5833
; %bb.5826:                             ;   in Loop: Header=BB2_5776 Depth=3
	v_cmp_ne_u16_e32 vcc, s97, v50
	v_bfrev_b32_e32 v0, 1
	s_and_saveexec_b64 s[68:69], vcc
	s_cbranch_execz .LBB2_5832
; %bb.5827:                             ;   in Loop: Header=BB2_5776 Depth=3
	v_and_b32_e32 v0, 0x7c, v50
	v_and_b32_e32 v6, 3, v50
	v_cmp_ne_u32_e32 vcc, s95, v0
                                        ; implicit-def: $vgpr0
	s_and_saveexec_b64 s[70:71], vcc
	s_xor_b64 s[70:71], exec, s[70:71]
	s_cbranch_execz .LBB2_5829
; %bb.5828:                             ;   in Loop: Header=BB2_5776 Depth=3
	v_ffbh_u32_e32 v7, v6
	v_min_u32_e32 v7, 32, v7
	v_subrev_u32_e32 v13, 29, v7
	v_bfe_u32 v0, v50, 2, 5
	v_lshlrev_b64 v[14:15], v13, v[50:51]
	v_sub_u32_e32 v7, 30, v7
	v_and_b32_e32 v13, 3, v14
	v_cmp_eq_u32_e32 vcc, 0, v0
	v_cndmask_b32_e32 v0, v0, v7, vcc
	v_cndmask_b32_e32 v6, v6, v13, vcc
	v_bfrev_b32_e32 v13, 28
	v_lshlrev_b32_e32 v7, 16, v20
	v_lshl_add_u32 v0, v0, 23, v13
	v_and_or_b32 v0, v7, s96, v0
	v_lshl_or_b32 v0, v6, 21, v0
                                        ; implicit-def: $vgpr6
.LBB2_5829:                             ;   in Loop: Header=BB2_5776 Depth=3
	s_andn2_saveexec_b64 s[70:71], s[70:71]
; %bb.5830:                             ;   in Loop: Header=BB2_5776 Depth=3
	v_cmp_lt_i16_e32 vcc, -1, v20
	v_mov_b32_e32 v0, 0xc7600000
	v_mov_b32_e32 v7, 0x47600000
	v_cndmask_b32_e32 v0, v0, v7, vcc
	v_cmp_eq_u32_e32 vcc, 0, v6
	v_mov_b32_e32 v6, 0x7f800001
	v_cndmask_b32_e32 v0, v6, v0, vcc
; %bb.5831:                             ;   in Loop: Header=BB2_5776 Depth=3
	s_or_b64 exec, exec, s[70:71]
.LBB2_5832:                             ;   in Loop: Header=BB2_5776 Depth=3
	s_or_b64 exec, exec, s[68:69]
.LBB2_5833:                             ;   in Loop: Header=BB2_5776 Depth=3
	s_or_b64 exec, exec, s[30:31]
	v_cmp_ne_u16_e32 vcc, 0, v12
	s_and_saveexec_b64 s[30:31], vcc
	s_cbranch_execz .LBB2_5841
; %bb.5834:                             ;   in Loop: Header=BB2_5776 Depth=3
	v_cmp_ne_u16_e32 vcc, s97, v12
	v_bfrev_b32_e32 v1, 1
	s_and_saveexec_b64 s[68:69], vcc
	s_cbranch_execz .LBB2_5840
; %bb.5835:                             ;   in Loop: Header=BB2_5776 Depth=3
	v_and_b32_e32 v1, 0x7c, v12
	v_and_b32_e32 v6, 3, v12
	v_cmp_ne_u32_e32 vcc, s95, v1
                                        ; implicit-def: $vgpr1
	s_and_saveexec_b64 s[70:71], vcc
	s_xor_b64 s[70:71], exec, s[70:71]
	s_cbranch_execz .LBB2_5837
; %bb.5836:                             ;   in Loop: Header=BB2_5776 Depth=3
	v_ffbh_u32_e32 v7, v6
	v_min_u32_e32 v7, 32, v7
	v_mov_b32_e32 v13, v51
	v_subrev_u32_e32 v14, 29, v7
	v_bfe_u32 v1, v12, 2, 5
	v_lshlrev_b64 v[14:15], v14, v[12:13]
	v_sub_u32_e32 v7, 30, v7
	v_and_b32_e32 v13, 3, v14
	v_cmp_eq_u32_e32 vcc, 0, v1
	v_cndmask_b32_e32 v1, v1, v7, vcc
	v_cndmask_b32_e32 v6, v6, v13, vcc
	v_bfrev_b32_e32 v13, 28
	v_lshlrev_b32_e32 v7, 16, v16
	v_lshl_add_u32 v1, v1, 23, v13
	v_and_or_b32 v1, v7, s96, v1
	v_lshl_or_b32 v1, v6, 21, v1
                                        ; implicit-def: $vgpr6
.LBB2_5837:                             ;   in Loop: Header=BB2_5776 Depth=3
	s_andn2_saveexec_b64 s[70:71], s[70:71]
; %bb.5838:                             ;   in Loop: Header=BB2_5776 Depth=3
	v_cmp_lt_i16_e32 vcc, -1, v16
	v_mov_b32_e32 v1, 0xc7600000
	v_mov_b32_e32 v7, 0x47600000
	v_cndmask_b32_e32 v1, v1, v7, vcc
	v_cmp_eq_u32_e32 vcc, 0, v6
	v_mov_b32_e32 v6, 0x7f800001
	v_cndmask_b32_e32 v1, v6, v1, vcc
; %bb.5839:                             ;   in Loop: Header=BB2_5776 Depth=3
	s_or_b64 exec, exec, s[70:71]
.LBB2_5840:                             ;   in Loop: Header=BB2_5776 Depth=3
	s_or_b64 exec, exec, s[68:69]
.LBB2_5841:                             ;   in Loop: Header=BB2_5776 Depth=3
	s_or_b64 exec, exec, s[30:31]
	v_max_f32_e32 v1, v1, v1
	v_max_f32_e32 v0, v0, v0
	;; [unrolled: 1-line block ×3, first 2 shown]
	s_branch .LBB2_5860
.LBB2_5842:                             ;   in Loop: Header=BB2_5776 Depth=3
                                        ; implicit-def: $vgpr6
	s_cbranch_execz .LBB2_5860
; %bb.5843:                             ;   in Loop: Header=BB2_5776 Depth=3
	v_mov_b32_e32 v1, 0
	v_mov_b32_e32 v0, 0
	s_and_saveexec_b64 s[30:31], s[28:29]
	s_cbranch_execz .LBB2_5851
; %bb.5844:                             ;   in Loop: Header=BB2_5776 Depth=3
	v_cmp_ne_u16_e32 vcc, s97, v50
	v_bfrev_b32_e32 v0, 1
	s_and_saveexec_b64 s[28:29], vcc
	s_cbranch_execz .LBB2_5850
; %bb.5845:                             ;   in Loop: Header=BB2_5776 Depth=3
	v_and_b32_e32 v0, 0x7c, v50
	v_and_b32_e32 v6, 3, v50
	v_cmp_ne_u32_e32 vcc, s95, v0
                                        ; implicit-def: $vgpr0
	s_and_saveexec_b64 s[68:69], vcc
	s_xor_b64 s[68:69], exec, s[68:69]
	s_cbranch_execz .LBB2_5847
; %bb.5846:                             ;   in Loop: Header=BB2_5776 Depth=3
	v_ffbh_u32_e32 v7, v6
	v_min_u32_e32 v7, 32, v7
	v_subrev_u32_e32 v13, 29, v7
	v_bfe_u32 v0, v50, 2, 5
	v_lshlrev_b64 v[14:15], v13, v[50:51]
	v_sub_u32_e32 v7, 30, v7
	v_and_b32_e32 v13, 3, v14
	v_cmp_eq_u32_e32 vcc, 0, v0
	v_cndmask_b32_e32 v0, v0, v7, vcc
	v_cndmask_b32_e32 v6, v6, v13, vcc
	v_bfrev_b32_e32 v13, 28
	v_lshlrev_b32_e32 v7, 16, v20
	v_lshl_add_u32 v0, v0, 23, v13
	v_and_or_b32 v0, v7, s96, v0
	v_lshl_or_b32 v0, v6, 21, v0
                                        ; implicit-def: $vgpr6
.LBB2_5847:                             ;   in Loop: Header=BB2_5776 Depth=3
	s_andn2_saveexec_b64 s[68:69], s[68:69]
; %bb.5848:                             ;   in Loop: Header=BB2_5776 Depth=3
	v_cmp_lt_i16_e32 vcc, -1, v20
	v_mov_b32_e32 v0, 0xc7600000
	v_mov_b32_e32 v7, 0x47600000
	v_cndmask_b32_e32 v0, v0, v7, vcc
	v_cmp_eq_u32_e32 vcc, 0, v6
	v_mov_b32_e32 v6, 0x7f800001
	v_cndmask_b32_e32 v0, v6, v0, vcc
; %bb.5849:                             ;   in Loop: Header=BB2_5776 Depth=3
	s_or_b64 exec, exec, s[68:69]
.LBB2_5850:                             ;   in Loop: Header=BB2_5776 Depth=3
	s_or_b64 exec, exec, s[28:29]
.LBB2_5851:                             ;   in Loop: Header=BB2_5776 Depth=3
	s_or_b64 exec, exec, s[30:31]
	v_cmp_ne_u16_e32 vcc, 0, v12
	s_and_saveexec_b64 s[28:29], vcc
	s_cbranch_execz .LBB2_5859
; %bb.5852:                             ;   in Loop: Header=BB2_5776 Depth=3
	v_cmp_ne_u16_e32 vcc, s97, v12
	v_bfrev_b32_e32 v1, 1
	s_and_saveexec_b64 s[30:31], vcc
	s_cbranch_execz .LBB2_5858
; %bb.5853:                             ;   in Loop: Header=BB2_5776 Depth=3
	v_and_b32_e32 v1, 0x7c, v12
	v_and_b32_e32 v6, 3, v12
	v_cmp_ne_u32_e32 vcc, s95, v1
                                        ; implicit-def: $vgpr1
	s_and_saveexec_b64 s[68:69], vcc
	s_xor_b64 s[68:69], exec, s[68:69]
	s_cbranch_execz .LBB2_5855
; %bb.5854:                             ;   in Loop: Header=BB2_5776 Depth=3
	v_ffbh_u32_e32 v7, v6
	v_min_u32_e32 v7, 32, v7
	v_mov_b32_e32 v13, v51
	v_subrev_u32_e32 v14, 29, v7
	v_bfe_u32 v1, v12, 2, 5
	v_lshlrev_b64 v[12:13], v14, v[12:13]
	v_sub_u32_e32 v7, 30, v7
	v_and_b32_e32 v12, 3, v12
	v_cmp_eq_u32_e32 vcc, 0, v1
	v_cndmask_b32_e32 v1, v1, v7, vcc
	v_cndmask_b32_e32 v6, v6, v12, vcc
	v_bfrev_b32_e32 v12, 28
	v_lshlrev_b32_e32 v7, 16, v16
	v_lshl_add_u32 v1, v1, 23, v12
	v_and_or_b32 v1, v7, s96, v1
	v_lshl_or_b32 v1, v6, 21, v1
                                        ; implicit-def: $vgpr6
.LBB2_5855:                             ;   in Loop: Header=BB2_5776 Depth=3
	s_andn2_saveexec_b64 s[68:69], s[68:69]
; %bb.5856:                             ;   in Loop: Header=BB2_5776 Depth=3
	v_cmp_lt_i16_e32 vcc, -1, v16
	v_mov_b32_e32 v1, 0xc7600000
	v_mov_b32_e32 v7, 0x47600000
	v_cndmask_b32_e32 v1, v1, v7, vcc
	v_cmp_eq_u32_e32 vcc, 0, v6
	v_mov_b32_e32 v6, 0x7f800001
	v_cndmask_b32_e32 v1, v6, v1, vcc
; %bb.5857:                             ;   in Loop: Header=BB2_5776 Depth=3
	s_or_b64 exec, exec, s[68:69]
.LBB2_5858:                             ;   in Loop: Header=BB2_5776 Depth=3
	s_or_b64 exec, exec, s[30:31]
.LBB2_5859:                             ;   in Loop: Header=BB2_5776 Depth=3
	s_or_b64 exec, exec, s[28:29]
	v_max_f32_e32 v1, v1, v1
	v_max_f32_e32 v0, v0, v0
	v_min_f32_e32 v6, v0, v1
.LBB2_5860:                             ;   in Loop: Header=BB2_5776 Depth=3
	v_and_b32_sdwa v0, v6, s97 dst_sel:DWORD dst_unused:UNUSED_PAD src0_sel:BYTE_3 src1_sel:DWORD
	v_and_b32_e32 v12, 0x7f800000, v6
	v_mov_b32_e32 v13, v51
	v_and_b32_e32 v50, 0x7fffff, v6
	v_or_b32_e32 v1, 0x7b, v0
	v_cmp_ne_u64_e32 vcc, s[52:53], v[12:13]
	s_and_saveexec_b64 s[28:29], vcc
	s_xor_b64 s[30:31], exec, s[28:29]
	s_cbranch_execz .LBB2_5870
; %bb.5861:                             ;   in Loop: Header=BB2_5776 Depth=3
	v_and_b32_e32 v12, 0x7fffffff, v6
	v_mov_b32_e32 v13, v51
	v_cmp_gt_u64_e32 vcc, s[54:55], v[12:13]
	s_and_saveexec_b64 s[68:69], vcc
	s_cbranch_execz .LBB2_5869
; %bb.5862:                             ;   in Loop: Header=BB2_5776 Depth=3
	v_cmp_ne_u32_e32 vcc, 0, v6
	v_mov_b32_e32 v1, 0
	s_and_saveexec_b64 s[70:71], vcc
	s_cbranch_execz .LBB2_5868
; %bb.5863:                             ;   in Loop: Header=BB2_5776 Depth=3
	v_bfe_u32 v1, v6, 23, 8
	v_sub_u32_e32 v7, 0x71, v1
	v_cmp_gt_u32_e32 vcc, s38, v1
	v_add_u32_e32 v6, 0xffffff81, v1
	v_cndmask_b32_e32 v7, 0, v7, vcc
	v_cmp_eq_u32_e32 vcc, 0, v1
	v_mov_b32_e32 v1, 0xffffff82
	v_cndmask_b32_e32 v1, v6, v1, vcc
	v_mov_b32_e32 v6, 0x70
	v_cndmask_b32_e32 v24, v7, v6, vcc
	v_add_u32_e32 v6, 21, v24
	v_or_b32_e32 v12, 0x800000, v50
	v_lshlrev_b64 v[6:7], v6, -1
	v_cndmask_b32_e32 v50, v12, v50, vcc
	v_not_b32_e32 v6, v6
	v_and_b32_e32 v12, v50, v6
	v_add_u32_e32 v6, 20, v24
	v_lshrrev_b64 v[30:31], v24, v[50:51]
	v_not_b32_e32 v7, v7
	v_lshlrev_b64 v[14:15], v6, 1
	v_lshrrev_b32_e32 v6, 23, v30
	v_and_b32_e32 v13, 0, v7
	v_add3_u32 v7, v24, v1, v6
	v_bfe_u32 v1, v30, 21, 1
	v_add_u32_e32 v1, -1, v1
	v_cmp_eq_u64_e32 vcc, v[12:13], v[14:15]
	v_cndmask_b32_e32 v1, 0, v1, vcc
	v_add_u32_e32 v1, v1, v30
	v_and_b32_e32 v1, 0x1fffff, v1
	v_add_co_u32_e32 v12, vcc, v1, v30
	v_add_u32_e32 v6, 14, v7
	v_addc_co_u32_e32 v13, vcc, 0, v31, vcc
	v_cmp_ne_u32_e32 vcc, 0, v6
                                        ; implicit-def: $vgpr1
	s_and_saveexec_b64 s[28:29], vcc
	s_xor_b64 s[28:29], exec, s[28:29]
; %bb.5864:                             ;   in Loop: Header=BB2_5776 Depth=3
	v_add_u32_e32 v1, 15, v7
	v_cmp_lt_u64_e32 vcc, s[56:57], v[12:13]
	v_cndmask_b32_e32 v1, v6, v1, vcc
	v_cndmask_b32_e64 v6, 0, 1, vcc
	v_lshrrev_b64 v[12:13], v6, v[12:13]
; %bb.5865:                             ;   in Loop: Header=BB2_5776 Depth=3
	s_andn2_saveexec_b64 s[28:29], s[28:29]
; %bb.5866:                             ;   in Loop: Header=BB2_5776 Depth=3
	v_bfe_u32 v1, v12, 23, 1
; %bb.5867:                             ;   in Loop: Header=BB2_5776 Depth=3
	s_or_b64 exec, exec, s[28:29]
	v_lshrrev_b64 v[6:7], 21, v[12:13]
	v_cmp_gt_i32_e32 vcc, 32, v1
	v_cndmask_b32_e32 v7, 0, v7, vcc
	v_cndmask_b32_e32 v6, 3, v6, vcc
	v_cmp_eq_u32_e32 vcc, 0, v1
	v_min_i32_e32 v1, 31, v1
	v_cmp_eq_u64_e64 s[28:29], 0, v[6:7]
	v_lshlrev_b32_e32 v1, 2, v1
	v_and_or_b32 v1, v6, 3, v1
	s_and_b64 s[28:29], vcc, s[28:29]
	v_cndmask_b32_e64 v1, v1, 0, s[28:29]
	v_or_b32_e32 v1, v1, v0
.LBB2_5868:                             ;   in Loop: Header=BB2_5776 Depth=3
	s_or_b64 exec, exec, s[70:71]
.LBB2_5869:                             ;   in Loop: Header=BB2_5776 Depth=3
	s_or_b64 exec, exec, s[68:69]
                                        ; implicit-def: $vgpr6
.LBB2_5870:                             ;   in Loop: Header=BB2_5776 Depth=3
	s_andn2_saveexec_b64 s[28:29], s[30:31]
; %bb.5871:                             ;   in Loop: Header=BB2_5776 Depth=3
	v_or_b32_sdwa v0, v6, s39 dst_sel:DWORD dst_unused:UNUSED_PAD src0_sel:BYTE_3 src1_sel:DWORD
	v_cmp_eq_u64_e32 vcc, 0, v[50:51]
	v_cndmask_b32_e32 v1, v0, v1, vcc
; %bb.5872:                             ;   in Loop: Header=BB2_5776 Depth=3
	s_or_b64 exec, exec, s[28:29]
	v_lshrrev_b32_e32 v14, 16, v20
	v_lshrrev_b32_e32 v12, 16, v16
	v_cmp_ne_u16_sdwa s[28:29], v14, v51 src0_sel:BYTE_0 src1_sel:DWORD
	s_and_b64 vcc, exec, s[66:67]
	s_cbranch_vccz .LBB2_5890
; %bb.5873:                             ;   in Loop: Header=BB2_5776 Depth=3
	v_mov_b32_e32 v6, 0
	v_mov_b32_e32 v0, 0
	s_and_saveexec_b64 s[30:31], s[28:29]
	s_cbranch_execz .LBB2_5881
; %bb.5874:                             ;   in Loop: Header=BB2_5776 Depth=3
	v_cmp_ne_u16_sdwa vcc, v14, s97 src0_sel:BYTE_0 src1_sel:DWORD
	v_bfrev_b32_e32 v0, 1
	s_and_saveexec_b64 s[68:69], vcc
	s_cbranch_execz .LBB2_5880
; %bb.5875:                             ;   in Loop: Header=BB2_5776 Depth=3
	v_and_b32_e32 v0, 0x7c0000, v20
	v_bfe_u32 v7, v20, 16, 2
	v_cmp_ne_u32_e32 vcc, s36, v0
                                        ; implicit-def: $vgpr0
	s_and_saveexec_b64 s[70:71], vcc
	s_xor_b64 s[70:71], exec, s[70:71]
	s_cbranch_execz .LBB2_5877
; %bb.5876:                             ;   in Loop: Header=BB2_5776 Depth=3
	v_ffbh_u32_e32 v13, v7
	v_min_u32_e32 v13, 32, v13
	v_subrev_u32_e32 v15, 29, v13
	v_bfe_u32 v0, v20, 18, 5
	v_lshlrev_b64 v[30:31], v15, v[14:15]
	v_sub_u32_e32 v13, 30, v13
	v_and_b32_e32 v15, 3, v30
	v_cmp_eq_u32_e32 vcc, 0, v0
	v_cndmask_b32_e32 v0, v0, v13, vcc
	v_cndmask_b32_e32 v7, v7, v15, vcc
	v_bfrev_b32_e32 v15, 28
	v_lshlrev_b32_e32 v13, 24, v14
	v_lshl_add_u32 v0, v0, 23, v15
	v_and_or_b32 v0, v13, s96, v0
	v_lshl_or_b32 v0, v7, 21, v0
                                        ; implicit-def: $vgpr7
.LBB2_5877:                             ;   in Loop: Header=BB2_5776 Depth=3
	s_andn2_saveexec_b64 s[70:71], s[70:71]
; %bb.5878:                             ;   in Loop: Header=BB2_5776 Depth=3
	v_mov_b32_e32 v0, -1
	v_cmp_gt_i16_sdwa vcc, sext(v14), v0 src0_sel:BYTE_0 src1_sel:DWORD
	v_mov_b32_e32 v0, 0xc7600000
	v_mov_b32_e32 v13, 0x47600000
	v_cndmask_b32_e32 v0, v0, v13, vcc
	v_cmp_eq_u32_e32 vcc, 0, v7
	v_mov_b32_e32 v7, 0x7f800001
	v_cndmask_b32_e32 v0, v7, v0, vcc
; %bb.5879:                             ;   in Loop: Header=BB2_5776 Depth=3
	s_or_b64 exec, exec, s[70:71]
.LBB2_5880:                             ;   in Loop: Header=BB2_5776 Depth=3
	s_or_b64 exec, exec, s[68:69]
.LBB2_5881:                             ;   in Loop: Header=BB2_5776 Depth=3
	s_or_b64 exec, exec, s[30:31]
	v_cmp_ne_u16_sdwa vcc, v12, v51 src0_sel:BYTE_0 src1_sel:DWORD
	s_and_saveexec_b64 s[30:31], vcc
	s_cbranch_execz .LBB2_5889
; %bb.5882:                             ;   in Loop: Header=BB2_5776 Depth=3
	v_cmp_ne_u16_sdwa vcc, v12, s97 src0_sel:BYTE_0 src1_sel:DWORD
	v_bfrev_b32_e32 v6, 1
	s_and_saveexec_b64 s[68:69], vcc
	s_cbranch_execz .LBB2_5888
; %bb.5883:                             ;   in Loop: Header=BB2_5776 Depth=3
	v_and_b32_e32 v6, 0x7c0000, v16
	v_bfe_u32 v7, v16, 16, 2
	v_cmp_ne_u32_e32 vcc, s36, v6
                                        ; implicit-def: $vgpr6
	s_and_saveexec_b64 s[70:71], vcc
	s_xor_b64 s[70:71], exec, s[70:71]
	s_cbranch_execz .LBB2_5885
; %bb.5884:                             ;   in Loop: Header=BB2_5776 Depth=3
	v_ffbh_u32_e32 v13, v7
	v_min_u32_e32 v13, 32, v13
	v_subrev_u32_e32 v15, 29, v13
	v_bfe_u32 v6, v16, 18, 5
	v_lshlrev_b64 v[30:31], v15, v[12:13]
	v_sub_u32_e32 v13, 30, v13
	v_and_b32_e32 v15, 3, v30
	v_cmp_eq_u32_e32 vcc, 0, v6
	v_cndmask_b32_e32 v6, v6, v13, vcc
	v_cndmask_b32_e32 v7, v7, v15, vcc
	v_bfrev_b32_e32 v15, 28
	v_lshlrev_b32_e32 v13, 24, v12
	v_lshl_add_u32 v6, v6, 23, v15
	v_and_or_b32 v6, v13, s96, v6
	v_lshl_or_b32 v6, v7, 21, v6
                                        ; implicit-def: $vgpr7
.LBB2_5885:                             ;   in Loop: Header=BB2_5776 Depth=3
	s_andn2_saveexec_b64 s[70:71], s[70:71]
; %bb.5886:                             ;   in Loop: Header=BB2_5776 Depth=3
	v_mov_b32_e32 v6, -1
	v_cmp_gt_i16_sdwa vcc, sext(v12), v6 src0_sel:BYTE_0 src1_sel:DWORD
	v_mov_b32_e32 v6, 0xc7600000
	v_mov_b32_e32 v13, 0x47600000
	v_cndmask_b32_e32 v6, v6, v13, vcc
	v_cmp_eq_u32_e32 vcc, 0, v7
	v_mov_b32_e32 v7, 0x7f800001
	v_cndmask_b32_e32 v6, v7, v6, vcc
; %bb.5887:                             ;   in Loop: Header=BB2_5776 Depth=3
	s_or_b64 exec, exec, s[70:71]
.LBB2_5888:                             ;   in Loop: Header=BB2_5776 Depth=3
	s_or_b64 exec, exec, s[68:69]
.LBB2_5889:                             ;   in Loop: Header=BB2_5776 Depth=3
	s_or_b64 exec, exec, s[30:31]
	v_max_f32_e32 v6, v6, v6
	v_max_f32_e32 v0, v0, v0
	;; [unrolled: 1-line block ×3, first 2 shown]
	s_branch .LBB2_5908
.LBB2_5890:                             ;   in Loop: Header=BB2_5776 Depth=3
                                        ; implicit-def: $vgpr6
	s_cbranch_execz .LBB2_5908
; %bb.5891:                             ;   in Loop: Header=BB2_5776 Depth=3
	v_mov_b32_e32 v6, 0
	v_mov_b32_e32 v0, 0
	s_and_saveexec_b64 s[30:31], s[28:29]
	s_cbranch_execz .LBB2_5899
; %bb.5892:                             ;   in Loop: Header=BB2_5776 Depth=3
	v_cmp_ne_u16_sdwa vcc, v14, s97 src0_sel:BYTE_0 src1_sel:DWORD
	v_bfrev_b32_e32 v0, 1
	s_and_saveexec_b64 s[28:29], vcc
	s_cbranch_execz .LBB2_5898
; %bb.5893:                             ;   in Loop: Header=BB2_5776 Depth=3
	v_and_b32_e32 v0, 0x7c0000, v20
	v_bfe_u32 v7, v20, 16, 2
	v_cmp_ne_u32_e32 vcc, s36, v0
                                        ; implicit-def: $vgpr0
	s_and_saveexec_b64 s[68:69], vcc
	s_xor_b64 s[68:69], exec, s[68:69]
	s_cbranch_execz .LBB2_5895
; %bb.5894:                             ;   in Loop: Header=BB2_5776 Depth=3
	v_ffbh_u32_e32 v13, v7
	v_bfe_u32 v0, v20, 18, 5
	v_min_u32_e32 v13, 32, v13
	v_subrev_u32_e32 v15, 29, v13
	v_sub_u32_e32 v13, 30, v13
	v_cmp_eq_u32_e32 vcc, 0, v0
	v_lshlrev_b64 v[30:31], v15, v[14:15]
	v_cndmask_b32_e32 v0, v0, v13, vcc
	v_lshlrev_b32_e32 v13, 24, v14
	v_bfrev_b32_e32 v14, 28
	v_and_b32_e32 v15, 3, v30
	v_lshl_add_u32 v0, v0, 23, v14
	v_cndmask_b32_e32 v7, v7, v15, vcc
	v_and_or_b32 v0, v13, s96, v0
	v_lshl_or_b32 v0, v7, 21, v0
                                        ; implicit-def: $vgpr7
                                        ; implicit-def: $vgpr14
.LBB2_5895:                             ;   in Loop: Header=BB2_5776 Depth=3
	s_andn2_saveexec_b64 s[68:69], s[68:69]
; %bb.5896:                             ;   in Loop: Header=BB2_5776 Depth=3
	v_mov_b32_e32 v0, -1
	v_cmp_gt_i16_sdwa vcc, sext(v14), v0 src0_sel:BYTE_0 src1_sel:DWORD
	v_mov_b32_e32 v0, 0xc7600000
	v_mov_b32_e32 v13, 0x47600000
	v_cndmask_b32_e32 v0, v0, v13, vcc
	v_cmp_eq_u32_e32 vcc, 0, v7
	v_mov_b32_e32 v7, 0x7f800001
	v_cndmask_b32_e32 v0, v7, v0, vcc
; %bb.5897:                             ;   in Loop: Header=BB2_5776 Depth=3
	s_or_b64 exec, exec, s[68:69]
.LBB2_5898:                             ;   in Loop: Header=BB2_5776 Depth=3
	s_or_b64 exec, exec, s[28:29]
.LBB2_5899:                             ;   in Loop: Header=BB2_5776 Depth=3
	s_or_b64 exec, exec, s[30:31]
	v_cmp_ne_u16_sdwa vcc, v12, v51 src0_sel:BYTE_0 src1_sel:DWORD
	s_and_saveexec_b64 s[28:29], vcc
	s_cbranch_execz .LBB2_5907
; %bb.5900:                             ;   in Loop: Header=BB2_5776 Depth=3
	v_cmp_ne_u16_sdwa vcc, v12, s97 src0_sel:BYTE_0 src1_sel:DWORD
	v_bfrev_b32_e32 v6, 1
	s_and_saveexec_b64 s[30:31], vcc
	s_cbranch_execz .LBB2_5906
; %bb.5901:                             ;   in Loop: Header=BB2_5776 Depth=3
	v_and_b32_e32 v6, 0x7c0000, v16
	v_bfe_u32 v7, v16, 16, 2
	v_cmp_ne_u32_e32 vcc, s36, v6
                                        ; implicit-def: $vgpr6
	s_and_saveexec_b64 s[68:69], vcc
	s_xor_b64 s[68:69], exec, s[68:69]
	s_cbranch_execz .LBB2_5903
; %bb.5902:                             ;   in Loop: Header=BB2_5776 Depth=3
	v_ffbh_u32_e32 v13, v7
	v_min_u32_e32 v13, 32, v13
	v_bfe_u32 v6, v16, 18, 5
	v_subrev_u32_e32 v14, 29, v13
	v_lshlrev_b64 v[14:15], v14, v[12:13]
	v_sub_u32_e32 v13, 30, v13
	v_cmp_eq_u32_e32 vcc, 0, v6
	v_cndmask_b32_e32 v6, v6, v13, vcc
	v_bfrev_b32_e32 v13, 28
	v_and_b32_e32 v14, 3, v14
	v_lshlrev_b32_e32 v12, 24, v12
	v_lshl_add_u32 v6, v6, 23, v13
	v_cndmask_b32_e32 v7, v7, v14, vcc
	v_and_or_b32 v6, v12, s96, v6
	v_lshl_or_b32 v6, v7, 21, v6
                                        ; implicit-def: $vgpr7
                                        ; implicit-def: $vgpr12
.LBB2_5903:                             ;   in Loop: Header=BB2_5776 Depth=3
	s_andn2_saveexec_b64 s[68:69], s[68:69]
; %bb.5904:                             ;   in Loop: Header=BB2_5776 Depth=3
	v_mov_b32_e32 v6, -1
	v_cmp_gt_i16_sdwa vcc, sext(v12), v6 src0_sel:BYTE_0 src1_sel:DWORD
	v_mov_b32_e32 v6, 0xc7600000
	v_mov_b32_e32 v12, 0x47600000
	v_cndmask_b32_e32 v6, v6, v12, vcc
	v_cmp_eq_u32_e32 vcc, 0, v7
	v_mov_b32_e32 v7, 0x7f800001
	v_cndmask_b32_e32 v6, v7, v6, vcc
; %bb.5905:                             ;   in Loop: Header=BB2_5776 Depth=3
	s_or_b64 exec, exec, s[68:69]
.LBB2_5906:                             ;   in Loop: Header=BB2_5776 Depth=3
	s_or_b64 exec, exec, s[30:31]
.LBB2_5907:                             ;   in Loop: Header=BB2_5776 Depth=3
	s_or_b64 exec, exec, s[28:29]
	v_max_f32_e32 v6, v6, v6
	v_max_f32_e32 v0, v0, v0
	v_min_f32_e32 v6, v0, v6
.LBB2_5908:                             ;   in Loop: Header=BB2_5776 Depth=3
	v_and_b32_sdwa v0, v6, s97 dst_sel:DWORD dst_unused:UNUSED_PAD src0_sel:BYTE_3 src1_sel:DWORD
	v_and_b32_e32 v12, 0x7f800000, v6
	v_mov_b32_e32 v13, v51
	v_and_b32_e32 v50, 0x7fffff, v6
	v_or_b32_e32 v44, 0x7b, v0
	v_cmp_ne_u64_e32 vcc, s[52:53], v[12:13]
	s_and_saveexec_b64 s[28:29], vcc
	s_xor_b64 s[30:31], exec, s[28:29]
	s_cbranch_execz .LBB2_5918
; %bb.5909:                             ;   in Loop: Header=BB2_5776 Depth=3
	v_and_b32_e32 v12, 0x7fffffff, v6
	v_mov_b32_e32 v13, v51
	v_cmp_gt_u64_e32 vcc, s[54:55], v[12:13]
	s_and_saveexec_b64 s[68:69], vcc
	s_cbranch_execz .LBB2_5917
; %bb.5910:                             ;   in Loop: Header=BB2_5776 Depth=3
	v_cmp_ne_u32_e32 vcc, 0, v6
	v_mov_b32_e32 v44, 0
	s_and_saveexec_b64 s[70:71], vcc
	s_cbranch_execz .LBB2_5916
; %bb.5911:                             ;   in Loop: Header=BB2_5776 Depth=3
	v_bfe_u32 v6, v6, 23, 8
	v_sub_u32_e32 v12, 0x71, v6
	v_cmp_gt_u32_e32 vcc, s38, v6
	v_add_u32_e32 v7, 0xffffff81, v6
	v_cndmask_b32_e32 v12, 0, v12, vcc
	v_cmp_eq_u32_e32 vcc, 0, v6
	v_mov_b32_e32 v6, 0xffffff82
	v_cndmask_b32_e32 v14, v7, v6, vcc
	v_mov_b32_e32 v6, 0x70
	v_cndmask_b32_e32 v15, v12, v6, vcc
	v_add_u32_e32 v6, 21, v15
	v_or_b32_e32 v13, 0x800000, v50
	v_lshlrev_b64 v[6:7], v6, -1
	v_cndmask_b32_e32 v50, v13, v50, vcc
	v_not_b32_e32 v6, v6
	v_and_b32_e32 v12, v50, v6
	v_add_u32_e32 v6, 20, v15
	v_lshrrev_b64 v[36:37], v15, v[50:51]
	v_not_b32_e32 v7, v7
	v_lshlrev_b64 v[30:31], v6, 1
	v_lshrrev_b32_e32 v6, 23, v36
	v_and_b32_e32 v13, 0, v7
	v_add3_u32 v14, v15, v14, v6
	v_bfe_u32 v6, v36, 21, 1
	v_add_u32_e32 v6, -1, v6
	v_cmp_eq_u64_e32 vcc, v[12:13], v[30:31]
	v_cndmask_b32_e32 v6, 0, v6, vcc
	v_add_u32_e32 v6, v6, v36
	v_and_b32_e32 v6, 0x1fffff, v6
	v_add_co_u32_e32 v12, vcc, v6, v36
	v_add_u32_e32 v7, 14, v14
	v_addc_co_u32_e32 v13, vcc, 0, v37, vcc
	v_cmp_ne_u32_e32 vcc, 0, v7
                                        ; implicit-def: $vgpr6
	s_and_saveexec_b64 s[28:29], vcc
	s_xor_b64 s[28:29], exec, s[28:29]
; %bb.5912:                             ;   in Loop: Header=BB2_5776 Depth=3
	v_add_u32_e32 v6, 15, v14
	v_cmp_lt_u64_e32 vcc, s[56:57], v[12:13]
	v_cndmask_b32_e32 v6, v7, v6, vcc
	v_cndmask_b32_e64 v7, 0, 1, vcc
	v_lshrrev_b64 v[12:13], v7, v[12:13]
; %bb.5913:                             ;   in Loop: Header=BB2_5776 Depth=3
	s_andn2_saveexec_b64 s[28:29], s[28:29]
; %bb.5914:                             ;   in Loop: Header=BB2_5776 Depth=3
	v_bfe_u32 v6, v12, 23, 1
; %bb.5915:                             ;   in Loop: Header=BB2_5776 Depth=3
	s_or_b64 exec, exec, s[28:29]
	v_lshrrev_b64 v[12:13], 21, v[12:13]
	v_cmp_gt_i32_e32 vcc, 32, v6
	v_cndmask_b32_e32 v13, 0, v13, vcc
	v_cndmask_b32_e32 v12, 3, v12, vcc
	v_cmp_eq_u32_e32 vcc, 0, v6
	v_min_i32_e32 v6, 31, v6
	v_cmp_eq_u64_e64 s[28:29], 0, v[12:13]
	v_lshlrev_b32_e32 v6, 2, v6
	v_and_or_b32 v6, v12, 3, v6
	s_and_b64 s[28:29], vcc, s[28:29]
	v_cndmask_b32_e64 v6, v6, 0, s[28:29]
	v_or_b32_e32 v44, v6, v0
.LBB2_5916:                             ;   in Loop: Header=BB2_5776 Depth=3
	s_or_b64 exec, exec, s[70:71]
.LBB2_5917:                             ;   in Loop: Header=BB2_5776 Depth=3
	s_or_b64 exec, exec, s[68:69]
                                        ; implicit-def: $vgpr6
.LBB2_5918:                             ;   in Loop: Header=BB2_5776 Depth=3
	s_andn2_saveexec_b64 s[28:29], s[30:31]
; %bb.5919:                             ;   in Loop: Header=BB2_5776 Depth=3
	v_or_b32_sdwa v0, v6, s39 dst_sel:DWORD dst_unused:UNUSED_PAD src0_sel:BYTE_3 src1_sel:DWORD
	v_cmp_eq_u64_e32 vcc, 0, v[50:51]
	v_cndmask_b32_e32 v44, v0, v44, vcc
; %bb.5920:                             ;   in Loop: Header=BB2_5776 Depth=3
	s_or_b64 exec, exec, s[28:29]
	v_lshrrev_b32_e32 v14, 24, v20
	v_lshrrev_b32_e32 v12, 24, v16
	v_cmp_lt_u32_e64 s[28:29], s43, v20
	s_and_b64 vcc, exec, s[66:67]
	s_cbranch_vccz .LBB2_5938
; %bb.5921:                             ;   in Loop: Header=BB2_5776 Depth=3
	v_mov_b32_e32 v6, 0
	v_mov_b32_e32 v0, 0
	s_and_saveexec_b64 s[30:31], s[28:29]
	s_cbranch_execz .LBB2_5929
; %bb.5922:                             ;   in Loop: Header=BB2_5776 Depth=3
	v_cmp_ne_u32_e32 vcc, s97, v14
	v_bfrev_b32_e32 v0, 1
	s_and_saveexec_b64 s[68:69], vcc
	s_cbranch_execz .LBB2_5928
; %bb.5923:                             ;   in Loop: Header=BB2_5776 Depth=3
	v_and_b32_e32 v0, 0x7c000000, v20
	v_bfe_u32 v7, v20, 24, 2
	v_cmp_ne_u32_e32 vcc, s37, v0
                                        ; implicit-def: $vgpr0
	s_and_saveexec_b64 s[70:71], vcc
	s_xor_b64 s[70:71], exec, s[70:71]
	s_cbranch_execz .LBB2_5925
; %bb.5924:                             ;   in Loop: Header=BB2_5776 Depth=3
	v_ffbh_u32_e32 v13, v7
	v_bfe_u32 v0, v20, 26, 5
	v_min_u32_e32 v13, 32, v13
	v_subrev_u32_e32 v15, 29, v13
	v_sub_u32_e32 v13, 30, v13
	v_cmp_eq_u32_e32 vcc, 0, v0
	v_lshlrev_b64 v[30:31], v15, v[14:15]
	v_cndmask_b32_e32 v0, v0, v13, vcc
	v_bfrev_b32_e32 v13, 28
	v_and_b32_e32 v15, 3, v30
	v_lshl_add_u32 v0, v0, 23, v13
	v_cndmask_b32_e32 v7, v7, v15, vcc
	v_and_or_b32 v0, v20, s96, v0
	v_lshl_or_b32 v0, v7, 21, v0
                                        ; implicit-def: $vgpr7
.LBB2_5925:                             ;   in Loop: Header=BB2_5776 Depth=3
	s_andn2_saveexec_b64 s[70:71], s[70:71]
; %bb.5926:                             ;   in Loop: Header=BB2_5776 Depth=3
	v_cmp_lt_i32_e32 vcc, -1, v20
	v_mov_b32_e32 v0, 0xc7600000
	v_mov_b32_e32 v13, 0x47600000
	v_cndmask_b32_e32 v0, v0, v13, vcc
	v_cmp_eq_u32_e32 vcc, 0, v7
	v_mov_b32_e32 v7, 0x7f800001
	v_cndmask_b32_e32 v0, v7, v0, vcc
; %bb.5927:                             ;   in Loop: Header=BB2_5776 Depth=3
	s_or_b64 exec, exec, s[70:71]
.LBB2_5928:                             ;   in Loop: Header=BB2_5776 Depth=3
	s_or_b64 exec, exec, s[68:69]
.LBB2_5929:                             ;   in Loop: Header=BB2_5776 Depth=3
	s_or_b64 exec, exec, s[30:31]
	v_cmp_lt_u32_e32 vcc, s43, v16
	s_and_saveexec_b64 s[30:31], vcc
	s_cbranch_execz .LBB2_5937
; %bb.5930:                             ;   in Loop: Header=BB2_5776 Depth=3
	v_cmp_ne_u32_e32 vcc, s97, v12
	v_bfrev_b32_e32 v6, 1
	s_and_saveexec_b64 s[68:69], vcc
	s_cbranch_execz .LBB2_5936
; %bb.5931:                             ;   in Loop: Header=BB2_5776 Depth=3
	v_and_b32_e32 v6, 0x7c000000, v16
	v_bfe_u32 v7, v16, 24, 2
	v_cmp_ne_u32_e32 vcc, s37, v6
                                        ; implicit-def: $vgpr6
	s_and_saveexec_b64 s[70:71], vcc
	s_xor_b64 s[70:71], exec, s[70:71]
	s_cbranch_execz .LBB2_5933
; %bb.5932:                             ;   in Loop: Header=BB2_5776 Depth=3
	v_ffbh_u32_e32 v13, v7
	v_min_u32_e32 v13, 32, v13
	v_bfe_u32 v6, v16, 26, 5
	v_subrev_u32_e32 v15, 29, v13
	v_lshlrev_b64 v[30:31], v15, v[12:13]
	v_sub_u32_e32 v13, 30, v13
	v_cmp_eq_u32_e32 vcc, 0, v6
	v_cndmask_b32_e32 v6, v6, v13, vcc
	v_bfrev_b32_e32 v13, 28
	v_and_b32_e32 v15, 3, v30
	v_lshl_add_u32 v6, v6, 23, v13
	v_cndmask_b32_e32 v7, v7, v15, vcc
	v_and_or_b32 v6, v16, s96, v6
	v_lshl_or_b32 v6, v7, 21, v6
                                        ; implicit-def: $vgpr7
.LBB2_5933:                             ;   in Loop: Header=BB2_5776 Depth=3
	s_andn2_saveexec_b64 s[70:71], s[70:71]
; %bb.5934:                             ;   in Loop: Header=BB2_5776 Depth=3
	v_cmp_lt_i32_e32 vcc, -1, v16
	v_mov_b32_e32 v6, 0xc7600000
	v_mov_b32_e32 v13, 0x47600000
	v_cndmask_b32_e32 v6, v6, v13, vcc
	v_cmp_eq_u32_e32 vcc, 0, v7
	v_mov_b32_e32 v7, 0x7f800001
	v_cndmask_b32_e32 v6, v7, v6, vcc
; %bb.5935:                             ;   in Loop: Header=BB2_5776 Depth=3
	s_or_b64 exec, exec, s[70:71]
.LBB2_5936:                             ;   in Loop: Header=BB2_5776 Depth=3
	s_or_b64 exec, exec, s[68:69]
.LBB2_5937:                             ;   in Loop: Header=BB2_5776 Depth=3
	s_or_b64 exec, exec, s[30:31]
	v_max_f32_e32 v6, v6, v6
	v_max_f32_e32 v0, v0, v0
	;; [unrolled: 1-line block ×3, first 2 shown]
	s_branch .LBB2_5956
.LBB2_5938:                             ;   in Loop: Header=BB2_5776 Depth=3
                                        ; implicit-def: $vgpr6
	s_cbranch_execz .LBB2_5956
; %bb.5939:                             ;   in Loop: Header=BB2_5776 Depth=3
	v_mov_b32_e32 v6, 0
	v_mov_b32_e32 v0, 0
	s_and_saveexec_b64 s[30:31], s[28:29]
	s_cbranch_execz .LBB2_5947
; %bb.5940:                             ;   in Loop: Header=BB2_5776 Depth=3
	v_cmp_ne_u32_e32 vcc, s97, v14
	v_bfrev_b32_e32 v0, 1
	s_and_saveexec_b64 s[28:29], vcc
	s_cbranch_execz .LBB2_5946
; %bb.5941:                             ;   in Loop: Header=BB2_5776 Depth=3
	v_and_b32_e32 v0, 0x7c000000, v20
	v_bfe_u32 v7, v20, 24, 2
	v_cmp_ne_u32_e32 vcc, s37, v0
                                        ; implicit-def: $vgpr0
	s_and_saveexec_b64 s[68:69], vcc
	s_xor_b64 s[68:69], exec, s[68:69]
	s_cbranch_execz .LBB2_5943
; %bb.5942:                             ;   in Loop: Header=BB2_5776 Depth=3
	v_ffbh_u32_e32 v13, v7
	v_bfe_u32 v0, v20, 26, 5
	v_min_u32_e32 v13, 32, v13
	v_subrev_u32_e32 v15, 29, v13
	v_sub_u32_e32 v13, 30, v13
	v_cmp_eq_u32_e32 vcc, 0, v0
	v_lshlrev_b64 v[14:15], v15, v[14:15]
	v_cndmask_b32_e32 v0, v0, v13, vcc
	v_bfrev_b32_e32 v13, 28
	v_and_b32_e32 v14, 3, v14
	v_lshl_add_u32 v0, v0, 23, v13
	v_cndmask_b32_e32 v7, v7, v14, vcc
	v_and_or_b32 v0, v20, s96, v0
	v_lshl_or_b32 v0, v7, 21, v0
                                        ; implicit-def: $vgpr7
.LBB2_5943:                             ;   in Loop: Header=BB2_5776 Depth=3
	s_andn2_saveexec_b64 s[68:69], s[68:69]
; %bb.5944:                             ;   in Loop: Header=BB2_5776 Depth=3
	v_cmp_lt_i32_e32 vcc, -1, v20
	v_mov_b32_e32 v0, 0xc7600000
	v_mov_b32_e32 v13, 0x47600000
	v_cndmask_b32_e32 v0, v0, v13, vcc
	v_cmp_eq_u32_e32 vcc, 0, v7
	v_mov_b32_e32 v7, 0x7f800001
	v_cndmask_b32_e32 v0, v7, v0, vcc
; %bb.5945:                             ;   in Loop: Header=BB2_5776 Depth=3
	s_or_b64 exec, exec, s[68:69]
.LBB2_5946:                             ;   in Loop: Header=BB2_5776 Depth=3
	s_or_b64 exec, exec, s[28:29]
.LBB2_5947:                             ;   in Loop: Header=BB2_5776 Depth=3
	s_or_b64 exec, exec, s[30:31]
	v_cmp_lt_u32_e32 vcc, s43, v16
	s_and_saveexec_b64 s[28:29], vcc
	s_cbranch_execz .LBB2_5955
; %bb.5948:                             ;   in Loop: Header=BB2_5776 Depth=3
	v_cmp_ne_u32_e32 vcc, s97, v12
	v_bfrev_b32_e32 v6, 1
	s_and_saveexec_b64 s[30:31], vcc
	s_cbranch_execz .LBB2_5954
; %bb.5949:                             ;   in Loop: Header=BB2_5776 Depth=3
	v_and_b32_e32 v6, 0x7c000000, v16
	v_bfe_u32 v7, v16, 24, 2
	v_cmp_ne_u32_e32 vcc, s37, v6
                                        ; implicit-def: $vgpr6
	s_and_saveexec_b64 s[68:69], vcc
	s_xor_b64 s[68:69], exec, s[68:69]
	s_cbranch_execz .LBB2_5951
; %bb.5950:                             ;   in Loop: Header=BB2_5776 Depth=3
	v_ffbh_u32_e32 v13, v7
	v_min_u32_e32 v14, 32, v13
	v_subrev_u32_e32 v13, 29, v14
	v_bfe_u32 v6, v16, 26, 5
	v_lshlrev_b64 v[12:13], v13, v[12:13]
	v_sub_u32_e32 v13, 30, v14
	v_and_b32_e32 v12, 3, v12
	v_cmp_eq_u32_e32 vcc, 0, v6
	v_cndmask_b32_e32 v6, v6, v13, vcc
	v_cndmask_b32_e32 v7, v7, v12, vcc
	v_bfrev_b32_e32 v12, 28
	v_lshl_add_u32 v6, v6, 23, v12
	v_and_or_b32 v6, v16, s96, v6
	v_lshl_or_b32 v6, v7, 21, v6
                                        ; implicit-def: $vgpr7
.LBB2_5951:                             ;   in Loop: Header=BB2_5776 Depth=3
	s_andn2_saveexec_b64 s[68:69], s[68:69]
; %bb.5952:                             ;   in Loop: Header=BB2_5776 Depth=3
	v_cmp_lt_i32_e32 vcc, -1, v16
	v_mov_b32_e32 v6, 0xc7600000
	v_mov_b32_e32 v12, 0x47600000
	v_cndmask_b32_e32 v6, v6, v12, vcc
	v_cmp_eq_u32_e32 vcc, 0, v7
	v_mov_b32_e32 v7, 0x7f800001
	v_cndmask_b32_e32 v6, v7, v6, vcc
; %bb.5953:                             ;   in Loop: Header=BB2_5776 Depth=3
	s_or_b64 exec, exec, s[68:69]
.LBB2_5954:                             ;   in Loop: Header=BB2_5776 Depth=3
	s_or_b64 exec, exec, s[30:31]
.LBB2_5955:                             ;   in Loop: Header=BB2_5776 Depth=3
	s_or_b64 exec, exec, s[28:29]
	v_max_f32_e32 v6, v6, v6
	v_max_f32_e32 v0, v0, v0
	v_min_f32_e32 v6, v0, v6
.LBB2_5956:                             ;   in Loop: Header=BB2_5776 Depth=3
	v_and_b32_sdwa v0, v6, s97 dst_sel:DWORD dst_unused:UNUSED_PAD src0_sel:BYTE_3 src1_sel:DWORD
	v_and_b32_e32 v12, 0x7f800000, v6
	v_mov_b32_e32 v13, v51
	v_and_b32_e32 v50, 0x7fffff, v6
	v_or_b32_e32 v55, 0x7b, v0
	v_cmp_ne_u64_e32 vcc, s[52:53], v[12:13]
	s_and_saveexec_b64 s[28:29], vcc
	s_xor_b64 s[30:31], exec, s[28:29]
	s_cbranch_execz .LBB2_5966
; %bb.5957:                             ;   in Loop: Header=BB2_5776 Depth=3
	v_and_b32_e32 v12, 0x7fffffff, v6
	v_mov_b32_e32 v13, v51
	v_cmp_gt_u64_e32 vcc, s[54:55], v[12:13]
	s_and_saveexec_b64 s[68:69], vcc
	s_cbranch_execz .LBB2_5965
; %bb.5958:                             ;   in Loop: Header=BB2_5776 Depth=3
	v_cmp_ne_u32_e32 vcc, 0, v6
	v_mov_b32_e32 v55, 0
	s_and_saveexec_b64 s[70:71], vcc
	s_cbranch_execz .LBB2_5964
; %bb.5959:                             ;   in Loop: Header=BB2_5776 Depth=3
	v_bfe_u32 v6, v6, 23, 8
	v_sub_u32_e32 v12, 0x71, v6
	v_cmp_gt_u32_e32 vcc, s38, v6
	v_add_u32_e32 v7, 0xffffff81, v6
	v_cndmask_b32_e32 v12, 0, v12, vcc
	v_cmp_eq_u32_e32 vcc, 0, v6
	v_mov_b32_e32 v6, 0xffffff82
	v_cndmask_b32_e32 v14, v7, v6, vcc
	v_mov_b32_e32 v6, 0x70
	v_cndmask_b32_e32 v15, v12, v6, vcc
	v_add_u32_e32 v6, 21, v15
	v_or_b32_e32 v13, 0x800000, v50
	v_lshlrev_b64 v[6:7], v6, -1
	v_cndmask_b32_e32 v50, v13, v50, vcc
	v_not_b32_e32 v6, v6
	v_and_b32_e32 v12, v50, v6
	v_add_u32_e32 v6, 20, v15
	v_lshrrev_b64 v[36:37], v15, v[50:51]
	v_not_b32_e32 v7, v7
	v_lshlrev_b64 v[30:31], v6, 1
	v_lshrrev_b32_e32 v6, 23, v36
	v_and_b32_e32 v13, 0, v7
	v_add3_u32 v14, v15, v14, v6
	v_bfe_u32 v6, v36, 21, 1
	v_add_u32_e32 v6, -1, v6
	v_cmp_eq_u64_e32 vcc, v[12:13], v[30:31]
	v_cndmask_b32_e32 v6, 0, v6, vcc
	v_add_u32_e32 v6, v6, v36
	v_and_b32_e32 v6, 0x1fffff, v6
	v_add_co_u32_e32 v12, vcc, v6, v36
	v_add_u32_e32 v7, 14, v14
	v_addc_co_u32_e32 v13, vcc, 0, v37, vcc
	v_cmp_ne_u32_e32 vcc, 0, v7
                                        ; implicit-def: $vgpr6
	s_and_saveexec_b64 s[28:29], vcc
	s_xor_b64 s[28:29], exec, s[28:29]
; %bb.5960:                             ;   in Loop: Header=BB2_5776 Depth=3
	v_add_u32_e32 v6, 15, v14
	v_cmp_lt_u64_e32 vcc, s[56:57], v[12:13]
	v_cndmask_b32_e32 v6, v7, v6, vcc
	v_cndmask_b32_e64 v7, 0, 1, vcc
	v_lshrrev_b64 v[12:13], v7, v[12:13]
; %bb.5961:                             ;   in Loop: Header=BB2_5776 Depth=3
	s_andn2_saveexec_b64 s[28:29], s[28:29]
; %bb.5962:                             ;   in Loop: Header=BB2_5776 Depth=3
	v_bfe_u32 v6, v12, 23, 1
; %bb.5963:                             ;   in Loop: Header=BB2_5776 Depth=3
	s_or_b64 exec, exec, s[28:29]
	v_lshrrev_b64 v[12:13], 21, v[12:13]
	v_cmp_gt_i32_e32 vcc, 32, v6
	v_cndmask_b32_e32 v13, 0, v13, vcc
	v_cndmask_b32_e32 v12, 3, v12, vcc
	v_cmp_eq_u32_e32 vcc, 0, v6
	v_min_i32_e32 v6, 31, v6
	v_cmp_eq_u64_e64 s[28:29], 0, v[12:13]
	v_lshlrev_b32_e32 v6, 2, v6
	v_and_or_b32 v6, v12, 3, v6
	s_and_b64 s[28:29], vcc, s[28:29]
	v_cndmask_b32_e64 v6, v6, 0, s[28:29]
	v_or_b32_e32 v55, v6, v0
.LBB2_5964:                             ;   in Loop: Header=BB2_5776 Depth=3
	s_or_b64 exec, exec, s[70:71]
.LBB2_5965:                             ;   in Loop: Header=BB2_5776 Depth=3
	s_or_b64 exec, exec, s[68:69]
                                        ; implicit-def: $vgpr6
.LBB2_5966:                             ;   in Loop: Header=BB2_5776 Depth=3
	s_andn2_saveexec_b64 s[28:29], s[30:31]
; %bb.5967:                             ;   in Loop: Header=BB2_5776 Depth=3
	v_or_b32_sdwa v0, v6, s39 dst_sel:DWORD dst_unused:UNUSED_PAD src0_sel:BYTE_3 src1_sel:DWORD
	v_cmp_eq_u64_e32 vcc, 0, v[50:51]
	v_cndmask_b32_e32 v55, v0, v55, vcc
; %bb.5968:                             ;   in Loop: Header=BB2_5776 Depth=3
	s_or_b64 exec, exec, s[28:29]
	v_mov_b32_e32 v50, v21
	v_mov_b32_e32 v12, v17
	;; [unrolled: 1-line block ×3, first 2 shown]
	v_cmp_ne_u16_sdwa s[28:29], v21, v51 src0_sel:BYTE_0 src1_sel:DWORD
	s_and_b64 vcc, exec, s[66:67]
	s_cbranch_vccz .LBB2_5986
; %bb.5969:                             ;   in Loop: Header=BB2_5776 Depth=3
	v_mov_b32_e32 v6, 0
	v_mov_b32_e32 v0, 0
	s_and_saveexec_b64 s[30:31], s[28:29]
	s_cbranch_execz .LBB2_5977
; %bb.5970:                             ;   in Loop: Header=BB2_5776 Depth=3
	v_cmp_ne_u16_sdwa vcc, v21, s97 src0_sel:BYTE_0 src1_sel:DWORD
	v_bfrev_b32_e32 v0, 1
	s_and_saveexec_b64 s[68:69], vcc
	s_cbranch_execz .LBB2_5976
; %bb.5971:                             ;   in Loop: Header=BB2_5776 Depth=3
	v_and_b32_e32 v0, 0x7c, v21
	v_and_b32_e32 v7, 3, v21
	v_cmp_ne_u32_e32 vcc, s95, v0
                                        ; implicit-def: $vgpr0
	s_and_saveexec_b64 s[70:71], vcc
	s_xor_b64 s[70:71], exec, s[70:71]
	s_cbranch_execz .LBB2_5973
; %bb.5972:                             ;   in Loop: Header=BB2_5776 Depth=3
	v_ffbh_u32_e32 v14, v7
	v_min_u32_e32 v24, 32, v14
	v_subrev_u32_e32 v14, 29, v24
	v_bfe_u32 v0, v21, 2, 5
	v_lshlrev_b64 v[14:15], v14, v[50:51]
	v_sub_u32_e32 v15, 30, v24
	v_cmp_eq_u32_e32 vcc, 0, v0
	v_and_b32_e32 v14, 3, v14
	v_cndmask_b32_e32 v0, v0, v15, vcc
	v_bfrev_b32_e32 v15, 28
	v_cndmask_b32_e32 v7, v7, v14, vcc
	v_lshlrev_b32_e32 v14, 24, v21
	v_lshl_add_u32 v0, v0, 23, v15
	v_and_or_b32 v0, v14, s96, v0
	v_lshl_or_b32 v0, v7, 21, v0
                                        ; implicit-def: $vgpr7
.LBB2_5973:                             ;   in Loop: Header=BB2_5776 Depth=3
	s_andn2_saveexec_b64 s[70:71], s[70:71]
; %bb.5974:                             ;   in Loop: Header=BB2_5776 Depth=3
	v_mov_b32_e32 v0, -1
	v_cmp_gt_i16_sdwa vcc, sext(v21), v0 src0_sel:BYTE_0 src1_sel:DWORD
	v_mov_b32_e32 v0, 0xc7600000
	v_mov_b32_e32 v14, 0x47600000
	v_cndmask_b32_e32 v0, v0, v14, vcc
	v_cmp_eq_u32_e32 vcc, 0, v7
	v_mov_b32_e32 v7, 0x7f800001
	v_cndmask_b32_e32 v0, v7, v0, vcc
; %bb.5975:                             ;   in Loop: Header=BB2_5776 Depth=3
	s_or_b64 exec, exec, s[70:71]
.LBB2_5976:                             ;   in Loop: Header=BB2_5776 Depth=3
	s_or_b64 exec, exec, s[68:69]
.LBB2_5977:                             ;   in Loop: Header=BB2_5776 Depth=3
	s_or_b64 exec, exec, s[30:31]
	v_cmp_ne_u16_sdwa vcc, v17, v51 src0_sel:BYTE_0 src1_sel:DWORD
	s_and_saveexec_b64 s[30:31], vcc
	s_cbranch_execz .LBB2_5985
; %bb.5978:                             ;   in Loop: Header=BB2_5776 Depth=3
	v_cmp_ne_u16_sdwa vcc, v17, s97 src0_sel:BYTE_0 src1_sel:DWORD
	v_bfrev_b32_e32 v6, 1
	s_and_saveexec_b64 s[68:69], vcc
	s_cbranch_execz .LBB2_5984
; %bb.5979:                             ;   in Loop: Header=BB2_5776 Depth=3
	v_and_b32_e32 v6, 0x7c, v17
	v_and_b32_e32 v7, 3, v17
	v_cmp_ne_u32_e32 vcc, s95, v6
                                        ; implicit-def: $vgpr6
	s_and_saveexec_b64 s[70:71], vcc
	s_xor_b64 s[70:71], exec, s[70:71]
	s_cbranch_execz .LBB2_5981
; %bb.5980:                             ;   in Loop: Header=BB2_5776 Depth=3
	v_ffbh_u32_e32 v14, v7
	v_min_u32_e32 v24, 32, v14
	v_subrev_u32_e32 v14, 29, v24
	v_bfe_u32 v6, v17, 2, 5
	v_lshlrev_b64 v[14:15], v14, v[12:13]
	v_sub_u32_e32 v15, 30, v24
	v_cmp_eq_u32_e32 vcc, 0, v6
	v_and_b32_e32 v14, 3, v14
	v_cndmask_b32_e32 v6, v6, v15, vcc
	v_bfrev_b32_e32 v15, 28
	v_cndmask_b32_e32 v7, v7, v14, vcc
	v_lshlrev_b32_e32 v14, 24, v17
	v_lshl_add_u32 v6, v6, 23, v15
	v_and_or_b32 v6, v14, s96, v6
	v_lshl_or_b32 v6, v7, 21, v6
                                        ; implicit-def: $vgpr7
.LBB2_5981:                             ;   in Loop: Header=BB2_5776 Depth=3
	s_andn2_saveexec_b64 s[70:71], s[70:71]
; %bb.5982:                             ;   in Loop: Header=BB2_5776 Depth=3
	v_mov_b32_e32 v6, -1
	v_cmp_gt_i16_sdwa vcc, sext(v17), v6 src0_sel:BYTE_0 src1_sel:DWORD
	v_mov_b32_e32 v6, 0xc7600000
	v_mov_b32_e32 v14, 0x47600000
	v_cndmask_b32_e32 v6, v6, v14, vcc
	v_cmp_eq_u32_e32 vcc, 0, v7
	v_mov_b32_e32 v7, 0x7f800001
	v_cndmask_b32_e32 v6, v7, v6, vcc
; %bb.5983:                             ;   in Loop: Header=BB2_5776 Depth=3
	s_or_b64 exec, exec, s[70:71]
.LBB2_5984:                             ;   in Loop: Header=BB2_5776 Depth=3
	s_or_b64 exec, exec, s[68:69]
.LBB2_5985:                             ;   in Loop: Header=BB2_5776 Depth=3
	s_or_b64 exec, exec, s[30:31]
	v_max_f32_e32 v6, v6, v6
	v_max_f32_e32 v0, v0, v0
	;; [unrolled: 1-line block ×3, first 2 shown]
	s_branch .LBB2_6004
.LBB2_5986:                             ;   in Loop: Header=BB2_5776 Depth=3
                                        ; implicit-def: $vgpr6
	s_cbranch_execz .LBB2_6004
; %bb.5987:                             ;   in Loop: Header=BB2_5776 Depth=3
	v_mov_b32_e32 v6, 0
	v_mov_b32_e32 v0, 0
	s_and_saveexec_b64 s[30:31], s[28:29]
	s_cbranch_execz .LBB2_5995
; %bb.5988:                             ;   in Loop: Header=BB2_5776 Depth=3
	v_cmp_ne_u16_sdwa vcc, v21, s97 src0_sel:BYTE_0 src1_sel:DWORD
	v_bfrev_b32_e32 v0, 1
	s_and_saveexec_b64 s[28:29], vcc
	s_cbranch_execz .LBB2_5994
; %bb.5989:                             ;   in Loop: Header=BB2_5776 Depth=3
	v_and_b32_e32 v0, 0x7c, v21
	v_and_b32_e32 v7, 3, v21
	v_cmp_ne_u32_e32 vcc, s95, v0
                                        ; implicit-def: $vgpr0
	s_and_saveexec_b64 s[68:69], vcc
	s_xor_b64 s[68:69], exec, s[68:69]
	s_cbranch_execz .LBB2_5991
; %bb.5990:                             ;   in Loop: Header=BB2_5776 Depth=3
	v_ffbh_u32_e32 v14, v7
	v_min_u32_e32 v24, 32, v14
	v_subrev_u32_e32 v14, 29, v24
	v_bfe_u32 v0, v21, 2, 5
	v_lshlrev_b64 v[14:15], v14, v[50:51]
	v_sub_u32_e32 v15, 30, v24
	v_cmp_eq_u32_e32 vcc, 0, v0
	v_and_b32_e32 v14, 3, v14
	v_cndmask_b32_e32 v0, v0, v15, vcc
	v_bfrev_b32_e32 v15, 28
	v_cndmask_b32_e32 v7, v7, v14, vcc
	v_lshlrev_b32_e32 v14, 24, v21
	v_lshl_add_u32 v0, v0, 23, v15
	v_and_or_b32 v0, v14, s96, v0
	v_lshl_or_b32 v0, v7, 21, v0
                                        ; implicit-def: $vgpr7
.LBB2_5991:                             ;   in Loop: Header=BB2_5776 Depth=3
	s_andn2_saveexec_b64 s[68:69], s[68:69]
; %bb.5992:                             ;   in Loop: Header=BB2_5776 Depth=3
	v_mov_b32_e32 v0, -1
	v_cmp_gt_i16_sdwa vcc, sext(v21), v0 src0_sel:BYTE_0 src1_sel:DWORD
	v_mov_b32_e32 v0, 0xc7600000
	v_mov_b32_e32 v14, 0x47600000
	v_cndmask_b32_e32 v0, v0, v14, vcc
	v_cmp_eq_u32_e32 vcc, 0, v7
	v_mov_b32_e32 v7, 0x7f800001
	v_cndmask_b32_e32 v0, v7, v0, vcc
; %bb.5993:                             ;   in Loop: Header=BB2_5776 Depth=3
	s_or_b64 exec, exec, s[68:69]
.LBB2_5994:                             ;   in Loop: Header=BB2_5776 Depth=3
	s_or_b64 exec, exec, s[28:29]
.LBB2_5995:                             ;   in Loop: Header=BB2_5776 Depth=3
	s_or_b64 exec, exec, s[30:31]
	v_cmp_ne_u16_sdwa vcc, v17, v51 src0_sel:BYTE_0 src1_sel:DWORD
	s_and_saveexec_b64 s[28:29], vcc
	s_cbranch_execz .LBB2_6003
; %bb.5996:                             ;   in Loop: Header=BB2_5776 Depth=3
	v_cmp_ne_u16_sdwa vcc, v17, s97 src0_sel:BYTE_0 src1_sel:DWORD
	v_bfrev_b32_e32 v6, 1
	s_and_saveexec_b64 s[30:31], vcc
	s_cbranch_execz .LBB2_6002
; %bb.5997:                             ;   in Loop: Header=BB2_5776 Depth=3
	v_and_b32_e32 v6, 0x7c, v17
	v_and_b32_e32 v7, 3, v17
	v_cmp_ne_u32_e32 vcc, s95, v6
                                        ; implicit-def: $vgpr6
	s_and_saveexec_b64 s[68:69], vcc
	s_xor_b64 s[68:69], exec, s[68:69]
	s_cbranch_execz .LBB2_5999
; %bb.5998:                             ;   in Loop: Header=BB2_5776 Depth=3
	v_ffbh_u32_e32 v14, v7
	v_min_u32_e32 v24, 32, v14
	v_subrev_u32_e32 v14, 29, v24
	v_bfe_u32 v6, v17, 2, 5
	v_lshlrev_b64 v[14:15], v14, v[12:13]
	v_sub_u32_e32 v13, 30, v24
	v_and_b32_e32 v14, 3, v14
	v_cmp_eq_u32_e32 vcc, 0, v6
	v_cndmask_b32_e32 v6, v6, v13, vcc
	v_cndmask_b32_e32 v7, v7, v14, vcc
	v_bfrev_b32_e32 v14, 28
	v_lshlrev_b32_e32 v13, 24, v17
	v_lshl_add_u32 v6, v6, 23, v14
	v_and_or_b32 v6, v13, s96, v6
	v_lshl_or_b32 v6, v7, 21, v6
                                        ; implicit-def: $vgpr7
.LBB2_5999:                             ;   in Loop: Header=BB2_5776 Depth=3
	s_andn2_saveexec_b64 s[68:69], s[68:69]
; %bb.6000:                             ;   in Loop: Header=BB2_5776 Depth=3
	v_mov_b32_e32 v6, -1
	v_cmp_gt_i16_sdwa vcc, sext(v17), v6 src0_sel:BYTE_0 src1_sel:DWORD
	v_mov_b32_e32 v6, 0xc7600000
	v_mov_b32_e32 v13, 0x47600000
	v_cndmask_b32_e32 v6, v6, v13, vcc
	v_cmp_eq_u32_e32 vcc, 0, v7
	v_mov_b32_e32 v7, 0x7f800001
	v_cndmask_b32_e32 v6, v7, v6, vcc
; %bb.6001:                             ;   in Loop: Header=BB2_5776 Depth=3
	s_or_b64 exec, exec, s[68:69]
.LBB2_6002:                             ;   in Loop: Header=BB2_5776 Depth=3
	s_or_b64 exec, exec, s[30:31]
.LBB2_6003:                             ;   in Loop: Header=BB2_5776 Depth=3
	s_or_b64 exec, exec, s[28:29]
	v_max_f32_e32 v6, v6, v6
	v_max_f32_e32 v0, v0, v0
	v_min_f32_e32 v6, v0, v6
.LBB2_6004:                             ;   in Loop: Header=BB2_5776 Depth=3
	v_and_b32_sdwa v0, v6, s97 dst_sel:DWORD dst_unused:UNUSED_PAD src0_sel:BYTE_3 src1_sel:DWORD
	v_and_b32_e32 v30, 0x7f800000, v6
	v_mov_b32_e32 v31, v51
	v_and_b32_e32 v14, 0x7fffff, v6
	v_mov_b32_e32 v15, v51
	v_or_b32_e32 v46, 0x7b, v0
	v_cmp_ne_u64_e32 vcc, s[52:53], v[30:31]
	s_and_saveexec_b64 s[28:29], vcc
	s_xor_b64 s[30:31], exec, s[28:29]
	s_cbranch_execz .LBB2_6014
; %bb.6005:                             ;   in Loop: Header=BB2_5776 Depth=3
	v_and_b32_e32 v30, 0x7fffffff, v6
	v_mov_b32_e32 v31, v51
	v_cmp_gt_u64_e32 vcc, s[54:55], v[30:31]
	s_and_saveexec_b64 s[68:69], vcc
	s_cbranch_execz .LBB2_6013
; %bb.6006:                             ;   in Loop: Header=BB2_5776 Depth=3
	v_cmp_ne_u32_e32 vcc, 0, v6
	v_mov_b32_e32 v46, 0
	s_and_saveexec_b64 s[70:71], vcc
	s_cbranch_execz .LBB2_6012
; %bb.6007:                             ;   in Loop: Header=BB2_5776 Depth=3
	v_bfe_u32 v6, v6, 23, 8
	v_sub_u32_e32 v13, 0x71, v6
	v_cmp_gt_u32_e32 vcc, s38, v6
	v_add_u32_e32 v7, 0xffffff81, v6
	v_cndmask_b32_e32 v13, 0, v13, vcc
	v_cmp_eq_u32_e32 vcc, 0, v6
	v_mov_b32_e32 v6, 0xffffff82
	v_cndmask_b32_e32 v25, v7, v6, vcc
	v_mov_b32_e32 v6, 0x70
	v_cndmask_b32_e32 v13, v13, v6, vcc
	v_add_u32_e32 v6, 21, v13
	v_or_b32_e32 v24, 0x800000, v14
	v_lshlrev_b64 v[6:7], v6, -1
	v_cndmask_b32_e32 v14, v24, v14, vcc
	v_not_b32_e32 v6, v6
	v_and_b32_e32 v30, v14, v6
	v_add_u32_e32 v6, 20, v13
	v_lshrrev_b64 v[14:15], v13, v[14:15]
	v_not_b32_e32 v7, v7
	v_lshlrev_b64 v[36:37], v6, 1
	v_lshrrev_b32_e32 v6, 23, v14
	v_and_b32_e32 v31, 0, v7
	v_add3_u32 v13, v13, v25, v6
	v_bfe_u32 v6, v14, 21, 1
	v_add_u32_e32 v6, -1, v6
	v_cmp_eq_u64_e32 vcc, v[30:31], v[36:37]
	v_cndmask_b32_e32 v6, 0, v6, vcc
	v_add_u32_e32 v6, v6, v14
	v_and_b32_e32 v6, 0x1fffff, v6
	v_add_co_u32_e32 v14, vcc, v6, v14
	v_add_u32_e32 v7, 14, v13
	v_addc_co_u32_e32 v15, vcc, 0, v15, vcc
	v_cmp_ne_u32_e32 vcc, 0, v7
                                        ; implicit-def: $vgpr6
	s_and_saveexec_b64 s[28:29], vcc
	s_xor_b64 s[28:29], exec, s[28:29]
; %bb.6008:                             ;   in Loop: Header=BB2_5776 Depth=3
	v_add_u32_e32 v6, 15, v13
	v_cmp_lt_u64_e32 vcc, s[56:57], v[14:15]
	v_cndmask_b32_e32 v6, v7, v6, vcc
	v_cndmask_b32_e64 v7, 0, 1, vcc
	v_lshrrev_b64 v[14:15], v7, v[14:15]
; %bb.6009:                             ;   in Loop: Header=BB2_5776 Depth=3
	s_andn2_saveexec_b64 s[28:29], s[28:29]
; %bb.6010:                             ;   in Loop: Header=BB2_5776 Depth=3
	v_bfe_u32 v6, v14, 23, 1
; %bb.6011:                             ;   in Loop: Header=BB2_5776 Depth=3
	s_or_b64 exec, exec, s[28:29]
	v_lshrrev_b64 v[14:15], 21, v[14:15]
	v_cmp_gt_i32_e32 vcc, 32, v6
	v_cndmask_b32_e32 v15, 0, v15, vcc
	v_cndmask_b32_e32 v14, 3, v14, vcc
	v_cmp_eq_u32_e32 vcc, 0, v6
	v_min_i32_e32 v6, 31, v6
	v_cmp_eq_u64_e64 s[28:29], 0, v[14:15]
	v_lshlrev_b32_e32 v6, 2, v6
	v_and_or_b32 v6, v14, 3, v6
	s_and_b64 s[28:29], vcc, s[28:29]
	v_cndmask_b32_e64 v6, v6, 0, s[28:29]
	v_or_b32_e32 v46, v6, v0
.LBB2_6012:                             ;   in Loop: Header=BB2_5776 Depth=3
	s_or_b64 exec, exec, s[70:71]
.LBB2_6013:                             ;   in Loop: Header=BB2_5776 Depth=3
	s_or_b64 exec, exec, s[68:69]
                                        ; implicit-def: $vgpr6
                                        ; implicit-def: $vgpr14_vgpr15
.LBB2_6014:                             ;   in Loop: Header=BB2_5776 Depth=3
	s_andn2_saveexec_b64 s[28:29], s[30:31]
; %bb.6015:                             ;   in Loop: Header=BB2_5776 Depth=3
	v_or_b32_sdwa v0, v6, s39 dst_sel:DWORD dst_unused:UNUSED_PAD src0_sel:BYTE_3 src1_sel:DWORD
	v_cmp_eq_u64_e32 vcc, 0, v[14:15]
	v_cndmask_b32_e32 v46, v0, v46, vcc
; %bb.6016:                             ;   in Loop: Header=BB2_5776 Depth=3
	s_or_b64 exec, exec, s[28:29]
	v_lshrrev_b16_e32 v14, 8, v50
	v_lshrrev_b16_e32 v52, 8, v12
	v_cmp_ne_u16_e64 s[28:29], 0, v14
	s_and_b64 vcc, exec, s[66:67]
	s_cbranch_vccz .LBB2_6034
; %bb.6017:                             ;   in Loop: Header=BB2_5776 Depth=3
	v_mov_b32_e32 v6, 0
	v_mov_b32_e32 v0, 0
	s_and_saveexec_b64 s[30:31], s[28:29]
	s_cbranch_execz .LBB2_6025
; %bb.6018:                             ;   in Loop: Header=BB2_5776 Depth=3
	v_cmp_ne_u16_e32 vcc, s97, v14
	v_bfrev_b32_e32 v0, 1
	s_and_saveexec_b64 s[68:69], vcc
	s_cbranch_execz .LBB2_6024
; %bb.6019:                             ;   in Loop: Header=BB2_5776 Depth=3
	v_and_b32_e32 v0, 0x7c, v14
	v_and_b32_e32 v7, 3, v14
	v_cmp_ne_u32_e32 vcc, s95, v0
                                        ; implicit-def: $vgpr0
	s_and_saveexec_b64 s[70:71], vcc
	s_xor_b64 s[70:71], exec, s[70:71]
	s_cbranch_execz .LBB2_6021
; %bb.6020:                             ;   in Loop: Header=BB2_5776 Depth=3
	v_ffbh_u32_e32 v13, v7
	v_min_u32_e32 v13, 32, v13
	v_mov_b32_e32 v15, v51
	v_subrev_u32_e32 v24, 29, v13
	v_bfe_u32 v0, v14, 2, 5
	v_lshlrev_b64 v[30:31], v24, v[14:15]
	v_sub_u32_e32 v13, 30, v13
	v_and_b32_e32 v15, 3, v30
	v_cmp_eq_u32_e32 vcc, 0, v0
	v_cndmask_b32_e32 v0, v0, v13, vcc
	v_cndmask_b32_e32 v7, v7, v15, vcc
	v_bfrev_b32_e32 v15, 28
	v_lshlrev_b32_e32 v13, 16, v50
	v_lshl_add_u32 v0, v0, 23, v15
	v_and_or_b32 v0, v13, s96, v0
	v_lshl_or_b32 v0, v7, 21, v0
                                        ; implicit-def: $vgpr7
.LBB2_6021:                             ;   in Loop: Header=BB2_5776 Depth=3
	s_andn2_saveexec_b64 s[70:71], s[70:71]
; %bb.6022:                             ;   in Loop: Header=BB2_5776 Depth=3
	v_cmp_lt_i16_e32 vcc, -1, v50
	v_mov_b32_e32 v0, 0xc7600000
	v_mov_b32_e32 v13, 0x47600000
	v_cndmask_b32_e32 v0, v0, v13, vcc
	v_cmp_eq_u32_e32 vcc, 0, v7
	v_mov_b32_e32 v7, 0x7f800001
	v_cndmask_b32_e32 v0, v7, v0, vcc
; %bb.6023:                             ;   in Loop: Header=BB2_5776 Depth=3
	s_or_b64 exec, exec, s[70:71]
.LBB2_6024:                             ;   in Loop: Header=BB2_5776 Depth=3
	s_or_b64 exec, exec, s[68:69]
.LBB2_6025:                             ;   in Loop: Header=BB2_5776 Depth=3
	s_or_b64 exec, exec, s[30:31]
	v_cmp_ne_u16_e32 vcc, 0, v52
	s_and_saveexec_b64 s[30:31], vcc
	s_cbranch_execz .LBB2_6033
; %bb.6026:                             ;   in Loop: Header=BB2_5776 Depth=3
	v_cmp_ne_u16_e32 vcc, s97, v52
	v_bfrev_b32_e32 v6, 1
	s_and_saveexec_b64 s[68:69], vcc
	s_cbranch_execz .LBB2_6032
; %bb.6027:                             ;   in Loop: Header=BB2_5776 Depth=3
	v_and_b32_e32 v6, 0x7c, v52
	v_and_b32_e32 v7, 3, v52
	v_cmp_ne_u32_e32 vcc, s95, v6
                                        ; implicit-def: $vgpr6
	s_and_saveexec_b64 s[70:71], vcc
	s_xor_b64 s[70:71], exec, s[70:71]
	s_cbranch_execz .LBB2_6029
; %bb.6028:                             ;   in Loop: Header=BB2_5776 Depth=3
	v_ffbh_u32_e32 v13, v7
	v_min_u32_e32 v13, 32, v13
	v_mov_b32_e32 v53, v51
	v_subrev_u32_e32 v15, 29, v13
	v_bfe_u32 v6, v52, 2, 5
	v_lshlrev_b64 v[30:31], v15, v[52:53]
	v_sub_u32_e32 v13, 30, v13
	v_and_b32_e32 v15, 3, v30
	v_cmp_eq_u32_e32 vcc, 0, v6
	v_cndmask_b32_e32 v6, v6, v13, vcc
	v_cndmask_b32_e32 v7, v7, v15, vcc
	v_bfrev_b32_e32 v15, 28
	v_lshlrev_b32_e32 v13, 16, v12
	v_lshl_add_u32 v6, v6, 23, v15
	v_and_or_b32 v6, v13, s96, v6
	v_lshl_or_b32 v6, v7, 21, v6
                                        ; implicit-def: $vgpr7
.LBB2_6029:                             ;   in Loop: Header=BB2_5776 Depth=3
	s_andn2_saveexec_b64 s[70:71], s[70:71]
; %bb.6030:                             ;   in Loop: Header=BB2_5776 Depth=3
	v_cmp_lt_i16_e32 vcc, -1, v12
	v_mov_b32_e32 v6, 0xc7600000
	v_mov_b32_e32 v13, 0x47600000
	v_cndmask_b32_e32 v6, v6, v13, vcc
	v_cmp_eq_u32_e32 vcc, 0, v7
	v_mov_b32_e32 v7, 0x7f800001
	v_cndmask_b32_e32 v6, v7, v6, vcc
; %bb.6031:                             ;   in Loop: Header=BB2_5776 Depth=3
	s_or_b64 exec, exec, s[70:71]
.LBB2_6032:                             ;   in Loop: Header=BB2_5776 Depth=3
	s_or_b64 exec, exec, s[68:69]
.LBB2_6033:                             ;   in Loop: Header=BB2_5776 Depth=3
	s_or_b64 exec, exec, s[30:31]
	v_max_f32_e32 v6, v6, v6
	v_max_f32_e32 v0, v0, v0
	;; [unrolled: 1-line block ×3, first 2 shown]
	s_branch .LBB2_6052
.LBB2_6034:                             ;   in Loop: Header=BB2_5776 Depth=3
                                        ; implicit-def: $vgpr6
	s_cbranch_execz .LBB2_6052
; %bb.6035:                             ;   in Loop: Header=BB2_5776 Depth=3
	v_mov_b32_e32 v6, 0
	v_mov_b32_e32 v0, 0
	s_and_saveexec_b64 s[30:31], s[28:29]
	s_cbranch_execz .LBB2_6043
; %bb.6036:                             ;   in Loop: Header=BB2_5776 Depth=3
	v_cmp_ne_u16_e32 vcc, s97, v14
	v_bfrev_b32_e32 v0, 1
	s_and_saveexec_b64 s[28:29], vcc
	s_cbranch_execz .LBB2_6042
; %bb.6037:                             ;   in Loop: Header=BB2_5776 Depth=3
	v_and_b32_e32 v0, 0x7c, v14
	v_and_b32_e32 v7, 3, v14
	v_cmp_ne_u32_e32 vcc, s95, v0
                                        ; implicit-def: $vgpr0
	s_and_saveexec_b64 s[68:69], vcc
	s_xor_b64 s[68:69], exec, s[68:69]
	s_cbranch_execz .LBB2_6039
; %bb.6038:                             ;   in Loop: Header=BB2_5776 Depth=3
	v_ffbh_u32_e32 v13, v7
	v_min_u32_e32 v13, 32, v13
	v_mov_b32_e32 v15, v51
	v_subrev_u32_e32 v24, 29, v13
	v_bfe_u32 v0, v14, 2, 5
	v_lshlrev_b64 v[14:15], v24, v[14:15]
	v_sub_u32_e32 v13, 30, v13
	v_and_b32_e32 v14, 3, v14
	v_cmp_eq_u32_e32 vcc, 0, v0
	v_cndmask_b32_e32 v0, v0, v13, vcc
	v_cndmask_b32_e32 v7, v7, v14, vcc
	v_bfrev_b32_e32 v14, 28
	v_lshlrev_b32_e32 v13, 16, v50
	v_lshl_add_u32 v0, v0, 23, v14
	v_and_or_b32 v0, v13, s96, v0
	v_lshl_or_b32 v0, v7, 21, v0
                                        ; implicit-def: $vgpr7
.LBB2_6039:                             ;   in Loop: Header=BB2_5776 Depth=3
	s_andn2_saveexec_b64 s[68:69], s[68:69]
; %bb.6040:                             ;   in Loop: Header=BB2_5776 Depth=3
	v_cmp_lt_i16_e32 vcc, -1, v50
	v_mov_b32_e32 v0, 0xc7600000
	v_mov_b32_e32 v13, 0x47600000
	v_cndmask_b32_e32 v0, v0, v13, vcc
	v_cmp_eq_u32_e32 vcc, 0, v7
	v_mov_b32_e32 v7, 0x7f800001
	v_cndmask_b32_e32 v0, v7, v0, vcc
; %bb.6041:                             ;   in Loop: Header=BB2_5776 Depth=3
	s_or_b64 exec, exec, s[68:69]
.LBB2_6042:                             ;   in Loop: Header=BB2_5776 Depth=3
	s_or_b64 exec, exec, s[28:29]
.LBB2_6043:                             ;   in Loop: Header=BB2_5776 Depth=3
	s_or_b64 exec, exec, s[30:31]
	v_cmp_ne_u16_e32 vcc, 0, v52
	s_and_saveexec_b64 s[28:29], vcc
	s_cbranch_execz .LBB2_6051
; %bb.6044:                             ;   in Loop: Header=BB2_5776 Depth=3
	v_cmp_ne_u16_e32 vcc, s97, v52
	v_bfrev_b32_e32 v6, 1
	s_and_saveexec_b64 s[30:31], vcc
	s_cbranch_execz .LBB2_6050
; %bb.6045:                             ;   in Loop: Header=BB2_5776 Depth=3
	v_and_b32_e32 v6, 0x7c, v52
	v_and_b32_e32 v7, 3, v52
	v_cmp_ne_u32_e32 vcc, s95, v6
                                        ; implicit-def: $vgpr6
	s_and_saveexec_b64 s[68:69], vcc
	s_xor_b64 s[68:69], exec, s[68:69]
	s_cbranch_execz .LBB2_6047
; %bb.6046:                             ;   in Loop: Header=BB2_5776 Depth=3
	v_ffbh_u32_e32 v13, v7
	v_bfe_u32 v6, v52, 2, 5
	v_min_u32_e32 v13, 32, v13
	v_mov_b32_e32 v53, v51
	v_subrev_u32_e32 v14, 29, v13
	v_sub_u32_e32 v13, 30, v13
	v_cmp_eq_u32_e32 vcc, 0, v6
	v_lshlrev_b64 v[14:15], v14, v[52:53]
	v_cndmask_b32_e32 v6, v6, v13, vcc
	v_bfrev_b32_e32 v13, 28
	v_and_b32_e32 v14, 3, v14
	v_lshlrev_b32_e32 v12, 16, v12
	v_lshl_add_u32 v6, v6, 23, v13
	v_cndmask_b32_e32 v7, v7, v14, vcc
	v_and_or_b32 v6, v12, s96, v6
	v_lshl_or_b32 v6, v7, 21, v6
                                        ; implicit-def: $vgpr7
                                        ; implicit-def: $vgpr12_vgpr13
.LBB2_6047:                             ;   in Loop: Header=BB2_5776 Depth=3
	s_andn2_saveexec_b64 s[68:69], s[68:69]
; %bb.6048:                             ;   in Loop: Header=BB2_5776 Depth=3
	v_cmp_lt_i16_e32 vcc, -1, v12
	v_mov_b32_e32 v6, 0xc7600000
	v_mov_b32_e32 v12, 0x47600000
	v_cndmask_b32_e32 v6, v6, v12, vcc
	v_cmp_eq_u32_e32 vcc, 0, v7
	v_mov_b32_e32 v7, 0x7f800001
	v_cndmask_b32_e32 v6, v7, v6, vcc
; %bb.6049:                             ;   in Loop: Header=BB2_5776 Depth=3
	s_or_b64 exec, exec, s[68:69]
.LBB2_6050:                             ;   in Loop: Header=BB2_5776 Depth=3
	s_or_b64 exec, exec, s[30:31]
.LBB2_6051:                             ;   in Loop: Header=BB2_5776 Depth=3
	s_or_b64 exec, exec, s[28:29]
	v_max_f32_e32 v6, v6, v6
	v_max_f32_e32 v0, v0, v0
	v_min_f32_e32 v6, v0, v6
.LBB2_6052:                             ;   in Loop: Header=BB2_5776 Depth=3
	v_and_b32_sdwa v0, v6, s97 dst_sel:DWORD dst_unused:UNUSED_PAD src0_sel:BYTE_3 src1_sel:DWORD
	v_and_b32_e32 v12, 0x7f800000, v6
	v_mov_b32_e32 v13, v51
	v_and_b32_e32 v50, 0x7fffff, v6
	v_or_b32_e32 v58, 0x7b, v0
	v_cmp_ne_u64_e32 vcc, s[52:53], v[12:13]
	s_and_saveexec_b64 s[28:29], vcc
	s_xor_b64 s[30:31], exec, s[28:29]
	s_cbranch_execz .LBB2_6062
; %bb.6053:                             ;   in Loop: Header=BB2_5776 Depth=3
	v_and_b32_e32 v12, 0x7fffffff, v6
	v_mov_b32_e32 v13, v51
	v_cmp_gt_u64_e32 vcc, s[54:55], v[12:13]
	s_and_saveexec_b64 s[68:69], vcc
	s_cbranch_execz .LBB2_6061
; %bb.6054:                             ;   in Loop: Header=BB2_5776 Depth=3
	v_cmp_ne_u32_e32 vcc, 0, v6
	v_mov_b32_e32 v58, 0
	s_and_saveexec_b64 s[70:71], vcc
	s_cbranch_execz .LBB2_6060
; %bb.6055:                             ;   in Loop: Header=BB2_5776 Depth=3
	v_bfe_u32 v6, v6, 23, 8
	v_sub_u32_e32 v12, 0x71, v6
	v_cmp_gt_u32_e32 vcc, s38, v6
	v_add_u32_e32 v7, 0xffffff81, v6
	v_cndmask_b32_e32 v12, 0, v12, vcc
	v_cmp_eq_u32_e32 vcc, 0, v6
	v_mov_b32_e32 v6, 0xffffff82
	v_cndmask_b32_e32 v14, v7, v6, vcc
	v_mov_b32_e32 v6, 0x70
	v_cndmask_b32_e32 v15, v12, v6, vcc
	v_add_u32_e32 v6, 21, v15
	v_or_b32_e32 v13, 0x800000, v50
	v_lshlrev_b64 v[6:7], v6, -1
	v_cndmask_b32_e32 v50, v13, v50, vcc
	v_not_b32_e32 v6, v6
	v_and_b32_e32 v12, v50, v6
	v_add_u32_e32 v6, 20, v15
	v_lshrrev_b64 v[38:39], v15, v[50:51]
	v_not_b32_e32 v7, v7
	v_lshlrev_b64 v[30:31], v6, 1
	v_lshrrev_b32_e32 v6, 23, v38
	v_and_b32_e32 v13, 0, v7
	v_add3_u32 v14, v15, v14, v6
	v_bfe_u32 v6, v38, 21, 1
	v_add_u32_e32 v6, -1, v6
	v_cmp_eq_u64_e32 vcc, v[12:13], v[30:31]
	v_cndmask_b32_e32 v6, 0, v6, vcc
	v_add_u32_e32 v6, v6, v38
	v_and_b32_e32 v6, 0x1fffff, v6
	v_add_co_u32_e32 v12, vcc, v6, v38
	v_add_u32_e32 v7, 14, v14
	v_addc_co_u32_e32 v13, vcc, 0, v39, vcc
	v_cmp_ne_u32_e32 vcc, 0, v7
                                        ; implicit-def: $vgpr6
	s_and_saveexec_b64 s[28:29], vcc
	s_xor_b64 s[28:29], exec, s[28:29]
; %bb.6056:                             ;   in Loop: Header=BB2_5776 Depth=3
	v_add_u32_e32 v6, 15, v14
	v_cmp_lt_u64_e32 vcc, s[56:57], v[12:13]
	v_cndmask_b32_e32 v6, v7, v6, vcc
	v_cndmask_b32_e64 v7, 0, 1, vcc
	v_lshrrev_b64 v[12:13], v7, v[12:13]
; %bb.6057:                             ;   in Loop: Header=BB2_5776 Depth=3
	s_andn2_saveexec_b64 s[28:29], s[28:29]
; %bb.6058:                             ;   in Loop: Header=BB2_5776 Depth=3
	v_bfe_u32 v6, v12, 23, 1
; %bb.6059:                             ;   in Loop: Header=BB2_5776 Depth=3
	s_or_b64 exec, exec, s[28:29]
	v_lshrrev_b64 v[12:13], 21, v[12:13]
	v_cmp_gt_i32_e32 vcc, 32, v6
	v_cndmask_b32_e32 v13, 0, v13, vcc
	v_cndmask_b32_e32 v12, 3, v12, vcc
	v_cmp_eq_u32_e32 vcc, 0, v6
	v_min_i32_e32 v6, 31, v6
	v_cmp_eq_u64_e64 s[28:29], 0, v[12:13]
	v_lshlrev_b32_e32 v6, 2, v6
	v_and_or_b32 v6, v12, 3, v6
	s_and_b64 s[28:29], vcc, s[28:29]
	v_cndmask_b32_e64 v6, v6, 0, s[28:29]
	v_or_b32_e32 v58, v6, v0
.LBB2_6060:                             ;   in Loop: Header=BB2_5776 Depth=3
	s_or_b64 exec, exec, s[70:71]
.LBB2_6061:                             ;   in Loop: Header=BB2_5776 Depth=3
	s_or_b64 exec, exec, s[68:69]
                                        ; implicit-def: $vgpr6
.LBB2_6062:                             ;   in Loop: Header=BB2_5776 Depth=3
	s_andn2_saveexec_b64 s[28:29], s[30:31]
; %bb.6063:                             ;   in Loop: Header=BB2_5776 Depth=3
	v_or_b32_sdwa v0, v6, s39 dst_sel:DWORD dst_unused:UNUSED_PAD src0_sel:BYTE_3 src1_sel:DWORD
	v_cmp_eq_u64_e32 vcc, 0, v[50:51]
	v_cndmask_b32_e32 v58, v0, v58, vcc
; %bb.6064:                             ;   in Loop: Header=BB2_5776 Depth=3
	s_or_b64 exec, exec, s[28:29]
	v_lshrrev_b32_e32 v14, 16, v21
	v_lshrrev_b32_e32 v12, 16, v17
	v_cmp_ne_u16_sdwa s[28:29], v14, v51 src0_sel:BYTE_0 src1_sel:DWORD
	s_and_b64 vcc, exec, s[66:67]
	s_cbranch_vccz .LBB2_6082
; %bb.6065:                             ;   in Loop: Header=BB2_5776 Depth=3
	v_mov_b32_e32 v6, 0
	v_mov_b32_e32 v0, 0
	s_and_saveexec_b64 s[30:31], s[28:29]
	s_cbranch_execz .LBB2_6073
; %bb.6066:                             ;   in Loop: Header=BB2_5776 Depth=3
	v_cmp_ne_u16_sdwa vcc, v14, s97 src0_sel:BYTE_0 src1_sel:DWORD
	v_bfrev_b32_e32 v0, 1
	s_and_saveexec_b64 s[68:69], vcc
	s_cbranch_execz .LBB2_6072
; %bb.6067:                             ;   in Loop: Header=BB2_5776 Depth=3
	v_and_b32_e32 v0, 0x7c0000, v21
	v_bfe_u32 v7, v21, 16, 2
	v_cmp_ne_u32_e32 vcc, s36, v0
                                        ; implicit-def: $vgpr0
	s_and_saveexec_b64 s[70:71], vcc
	s_xor_b64 s[70:71], exec, s[70:71]
	s_cbranch_execz .LBB2_6069
; %bb.6068:                             ;   in Loop: Header=BB2_5776 Depth=3
	v_ffbh_u32_e32 v13, v7
	v_min_u32_e32 v13, 32, v13
	v_subrev_u32_e32 v15, 29, v13
	v_bfe_u32 v0, v21, 18, 5
	v_lshlrev_b64 v[30:31], v15, v[14:15]
	v_sub_u32_e32 v13, 30, v13
	v_and_b32_e32 v15, 3, v30
	v_cmp_eq_u32_e32 vcc, 0, v0
	v_cndmask_b32_e32 v0, v0, v13, vcc
	v_cndmask_b32_e32 v7, v7, v15, vcc
	v_bfrev_b32_e32 v15, 28
	v_lshlrev_b32_e32 v13, 24, v14
	v_lshl_add_u32 v0, v0, 23, v15
	v_and_or_b32 v0, v13, s96, v0
	v_lshl_or_b32 v0, v7, 21, v0
                                        ; implicit-def: $vgpr7
.LBB2_6069:                             ;   in Loop: Header=BB2_5776 Depth=3
	s_andn2_saveexec_b64 s[70:71], s[70:71]
; %bb.6070:                             ;   in Loop: Header=BB2_5776 Depth=3
	v_mov_b32_e32 v0, -1
	v_cmp_gt_i16_sdwa vcc, sext(v14), v0 src0_sel:BYTE_0 src1_sel:DWORD
	v_mov_b32_e32 v0, 0xc7600000
	v_mov_b32_e32 v13, 0x47600000
	v_cndmask_b32_e32 v0, v0, v13, vcc
	v_cmp_eq_u32_e32 vcc, 0, v7
	v_mov_b32_e32 v7, 0x7f800001
	v_cndmask_b32_e32 v0, v7, v0, vcc
; %bb.6071:                             ;   in Loop: Header=BB2_5776 Depth=3
	s_or_b64 exec, exec, s[70:71]
.LBB2_6072:                             ;   in Loop: Header=BB2_5776 Depth=3
	s_or_b64 exec, exec, s[68:69]
.LBB2_6073:                             ;   in Loop: Header=BB2_5776 Depth=3
	s_or_b64 exec, exec, s[30:31]
	v_cmp_ne_u16_sdwa vcc, v12, v51 src0_sel:BYTE_0 src1_sel:DWORD
	s_and_saveexec_b64 s[30:31], vcc
	s_cbranch_execz .LBB2_6081
; %bb.6074:                             ;   in Loop: Header=BB2_5776 Depth=3
	v_cmp_ne_u16_sdwa vcc, v12, s97 src0_sel:BYTE_0 src1_sel:DWORD
	v_bfrev_b32_e32 v6, 1
	s_and_saveexec_b64 s[68:69], vcc
	s_cbranch_execz .LBB2_6080
; %bb.6075:                             ;   in Loop: Header=BB2_5776 Depth=3
	v_and_b32_e32 v6, 0x7c0000, v17
	v_bfe_u32 v7, v17, 16, 2
	v_cmp_ne_u32_e32 vcc, s36, v6
                                        ; implicit-def: $vgpr6
	s_and_saveexec_b64 s[70:71], vcc
	s_xor_b64 s[70:71], exec, s[70:71]
	s_cbranch_execz .LBB2_6077
; %bb.6076:                             ;   in Loop: Header=BB2_5776 Depth=3
	v_ffbh_u32_e32 v13, v7
	v_min_u32_e32 v13, 32, v13
	v_subrev_u32_e32 v15, 29, v13
	v_bfe_u32 v6, v17, 18, 5
	v_lshlrev_b64 v[30:31], v15, v[12:13]
	v_sub_u32_e32 v13, 30, v13
	v_and_b32_e32 v15, 3, v30
	v_cmp_eq_u32_e32 vcc, 0, v6
	v_cndmask_b32_e32 v6, v6, v13, vcc
	v_cndmask_b32_e32 v7, v7, v15, vcc
	v_bfrev_b32_e32 v15, 28
	v_lshlrev_b32_e32 v13, 24, v12
	v_lshl_add_u32 v6, v6, 23, v15
	v_and_or_b32 v6, v13, s96, v6
	v_lshl_or_b32 v6, v7, 21, v6
                                        ; implicit-def: $vgpr7
.LBB2_6077:                             ;   in Loop: Header=BB2_5776 Depth=3
	s_andn2_saveexec_b64 s[70:71], s[70:71]
; %bb.6078:                             ;   in Loop: Header=BB2_5776 Depth=3
	v_mov_b32_e32 v6, -1
	v_cmp_gt_i16_sdwa vcc, sext(v12), v6 src0_sel:BYTE_0 src1_sel:DWORD
	v_mov_b32_e32 v6, 0xc7600000
	v_mov_b32_e32 v13, 0x47600000
	v_cndmask_b32_e32 v6, v6, v13, vcc
	v_cmp_eq_u32_e32 vcc, 0, v7
	v_mov_b32_e32 v7, 0x7f800001
	v_cndmask_b32_e32 v6, v7, v6, vcc
; %bb.6079:                             ;   in Loop: Header=BB2_5776 Depth=3
	s_or_b64 exec, exec, s[70:71]
.LBB2_6080:                             ;   in Loop: Header=BB2_5776 Depth=3
	s_or_b64 exec, exec, s[68:69]
.LBB2_6081:                             ;   in Loop: Header=BB2_5776 Depth=3
	s_or_b64 exec, exec, s[30:31]
	v_max_f32_e32 v6, v6, v6
	v_max_f32_e32 v0, v0, v0
	v_max_f32_e32 v6, v0, v6
	s_branch .LBB2_6100
.LBB2_6082:                             ;   in Loop: Header=BB2_5776 Depth=3
                                        ; implicit-def: $vgpr6
	s_cbranch_execz .LBB2_6100
; %bb.6083:                             ;   in Loop: Header=BB2_5776 Depth=3
	v_mov_b32_e32 v6, 0
	v_mov_b32_e32 v0, 0
	s_and_saveexec_b64 s[30:31], s[28:29]
	s_cbranch_execz .LBB2_6091
; %bb.6084:                             ;   in Loop: Header=BB2_5776 Depth=3
	v_cmp_ne_u16_sdwa vcc, v14, s97 src0_sel:BYTE_0 src1_sel:DWORD
	v_bfrev_b32_e32 v0, 1
	s_and_saveexec_b64 s[28:29], vcc
	s_cbranch_execz .LBB2_6090
; %bb.6085:                             ;   in Loop: Header=BB2_5776 Depth=3
	v_and_b32_e32 v0, 0x7c0000, v21
	v_bfe_u32 v7, v21, 16, 2
	v_cmp_ne_u32_e32 vcc, s36, v0
                                        ; implicit-def: $vgpr0
	s_and_saveexec_b64 s[68:69], vcc
	s_xor_b64 s[68:69], exec, s[68:69]
	s_cbranch_execz .LBB2_6087
; %bb.6086:                             ;   in Loop: Header=BB2_5776 Depth=3
	v_ffbh_u32_e32 v13, v7
	v_bfe_u32 v0, v21, 18, 5
	v_min_u32_e32 v13, 32, v13
	v_subrev_u32_e32 v15, 29, v13
	v_sub_u32_e32 v13, 30, v13
	v_cmp_eq_u32_e32 vcc, 0, v0
	v_lshlrev_b64 v[30:31], v15, v[14:15]
	v_cndmask_b32_e32 v0, v0, v13, vcc
	v_lshlrev_b32_e32 v13, 24, v14
	v_bfrev_b32_e32 v14, 28
	v_and_b32_e32 v15, 3, v30
	v_lshl_add_u32 v0, v0, 23, v14
	v_cndmask_b32_e32 v7, v7, v15, vcc
	v_and_or_b32 v0, v13, s96, v0
	v_lshl_or_b32 v0, v7, 21, v0
                                        ; implicit-def: $vgpr7
                                        ; implicit-def: $vgpr14
.LBB2_6087:                             ;   in Loop: Header=BB2_5776 Depth=3
	s_andn2_saveexec_b64 s[68:69], s[68:69]
; %bb.6088:                             ;   in Loop: Header=BB2_5776 Depth=3
	v_mov_b32_e32 v0, -1
	v_cmp_gt_i16_sdwa vcc, sext(v14), v0 src0_sel:BYTE_0 src1_sel:DWORD
	v_mov_b32_e32 v0, 0xc7600000
	v_mov_b32_e32 v13, 0x47600000
	v_cndmask_b32_e32 v0, v0, v13, vcc
	v_cmp_eq_u32_e32 vcc, 0, v7
	v_mov_b32_e32 v7, 0x7f800001
	v_cndmask_b32_e32 v0, v7, v0, vcc
; %bb.6089:                             ;   in Loop: Header=BB2_5776 Depth=3
	s_or_b64 exec, exec, s[68:69]
.LBB2_6090:                             ;   in Loop: Header=BB2_5776 Depth=3
	s_or_b64 exec, exec, s[28:29]
.LBB2_6091:                             ;   in Loop: Header=BB2_5776 Depth=3
	s_or_b64 exec, exec, s[30:31]
	v_cmp_ne_u16_sdwa vcc, v12, v51 src0_sel:BYTE_0 src1_sel:DWORD
	s_and_saveexec_b64 s[28:29], vcc
	s_cbranch_execz .LBB2_6099
; %bb.6092:                             ;   in Loop: Header=BB2_5776 Depth=3
	v_cmp_ne_u16_sdwa vcc, v12, s97 src0_sel:BYTE_0 src1_sel:DWORD
	v_bfrev_b32_e32 v6, 1
	s_and_saveexec_b64 s[30:31], vcc
	s_cbranch_execz .LBB2_6098
; %bb.6093:                             ;   in Loop: Header=BB2_5776 Depth=3
	v_and_b32_e32 v6, 0x7c0000, v17
	v_bfe_u32 v7, v17, 16, 2
	v_cmp_ne_u32_e32 vcc, s36, v6
                                        ; implicit-def: $vgpr6
	s_and_saveexec_b64 s[68:69], vcc
	s_xor_b64 s[68:69], exec, s[68:69]
	s_cbranch_execz .LBB2_6095
; %bb.6094:                             ;   in Loop: Header=BB2_5776 Depth=3
	v_ffbh_u32_e32 v13, v7
	v_min_u32_e32 v13, 32, v13
	v_bfe_u32 v6, v17, 18, 5
	v_subrev_u32_e32 v14, 29, v13
	v_lshlrev_b64 v[14:15], v14, v[12:13]
	v_sub_u32_e32 v13, 30, v13
	v_cmp_eq_u32_e32 vcc, 0, v6
	v_cndmask_b32_e32 v6, v6, v13, vcc
	v_bfrev_b32_e32 v13, 28
	v_and_b32_e32 v14, 3, v14
	v_lshlrev_b32_e32 v12, 24, v12
	v_lshl_add_u32 v6, v6, 23, v13
	v_cndmask_b32_e32 v7, v7, v14, vcc
	v_and_or_b32 v6, v12, s96, v6
	v_lshl_or_b32 v6, v7, 21, v6
                                        ; implicit-def: $vgpr7
                                        ; implicit-def: $vgpr12
.LBB2_6095:                             ;   in Loop: Header=BB2_5776 Depth=3
	s_andn2_saveexec_b64 s[68:69], s[68:69]
; %bb.6096:                             ;   in Loop: Header=BB2_5776 Depth=3
	v_mov_b32_e32 v6, -1
	v_cmp_gt_i16_sdwa vcc, sext(v12), v6 src0_sel:BYTE_0 src1_sel:DWORD
	v_mov_b32_e32 v6, 0xc7600000
	v_mov_b32_e32 v12, 0x47600000
	v_cndmask_b32_e32 v6, v6, v12, vcc
	v_cmp_eq_u32_e32 vcc, 0, v7
	v_mov_b32_e32 v7, 0x7f800001
	v_cndmask_b32_e32 v6, v7, v6, vcc
; %bb.6097:                             ;   in Loop: Header=BB2_5776 Depth=3
	s_or_b64 exec, exec, s[68:69]
.LBB2_6098:                             ;   in Loop: Header=BB2_5776 Depth=3
	s_or_b64 exec, exec, s[30:31]
.LBB2_6099:                             ;   in Loop: Header=BB2_5776 Depth=3
	s_or_b64 exec, exec, s[28:29]
	v_max_f32_e32 v6, v6, v6
	v_max_f32_e32 v0, v0, v0
	v_min_f32_e32 v6, v0, v6
.LBB2_6100:                             ;   in Loop: Header=BB2_5776 Depth=3
	v_and_b32_sdwa v0, v6, s97 dst_sel:DWORD dst_unused:UNUSED_PAD src0_sel:BYTE_3 src1_sel:DWORD
	v_and_b32_e32 v12, 0x7f800000, v6
	v_mov_b32_e32 v13, v51
	v_and_b32_e32 v50, 0x7fffff, v6
	v_or_b32_e32 v52, 0x7b, v0
	v_cmp_ne_u64_e32 vcc, s[52:53], v[12:13]
	s_and_saveexec_b64 s[28:29], vcc
	s_xor_b64 s[30:31], exec, s[28:29]
	s_cbranch_execz .LBB2_6110
; %bb.6101:                             ;   in Loop: Header=BB2_5776 Depth=3
	v_and_b32_e32 v12, 0x7fffffff, v6
	v_mov_b32_e32 v13, v51
	v_cmp_gt_u64_e32 vcc, s[54:55], v[12:13]
	s_and_saveexec_b64 s[68:69], vcc
	s_cbranch_execz .LBB2_6109
; %bb.6102:                             ;   in Loop: Header=BB2_5776 Depth=3
	v_cmp_ne_u32_e32 vcc, 0, v6
	v_mov_b32_e32 v52, 0
	s_and_saveexec_b64 s[70:71], vcc
	s_cbranch_execz .LBB2_6108
; %bb.6103:                             ;   in Loop: Header=BB2_5776 Depth=3
	v_bfe_u32 v6, v6, 23, 8
	v_sub_u32_e32 v12, 0x71, v6
	v_cmp_gt_u32_e32 vcc, s38, v6
	v_add_u32_e32 v7, 0xffffff81, v6
	v_cndmask_b32_e32 v12, 0, v12, vcc
	v_cmp_eq_u32_e32 vcc, 0, v6
	v_mov_b32_e32 v6, 0xffffff82
	v_cndmask_b32_e32 v14, v7, v6, vcc
	v_mov_b32_e32 v6, 0x70
	v_cndmask_b32_e32 v15, v12, v6, vcc
	v_add_u32_e32 v6, 21, v15
	v_or_b32_e32 v13, 0x800000, v50
	v_lshlrev_b64 v[6:7], v6, -1
	v_cndmask_b32_e32 v50, v13, v50, vcc
	v_not_b32_e32 v6, v6
	v_and_b32_e32 v12, v50, v6
	v_add_u32_e32 v6, 20, v15
	v_lshrrev_b64 v[38:39], v15, v[50:51]
	v_not_b32_e32 v7, v7
	v_lshlrev_b64 v[30:31], v6, 1
	v_lshrrev_b32_e32 v6, 23, v38
	v_and_b32_e32 v13, 0, v7
	v_add3_u32 v14, v15, v14, v6
	v_bfe_u32 v6, v38, 21, 1
	v_add_u32_e32 v6, -1, v6
	v_cmp_eq_u64_e32 vcc, v[12:13], v[30:31]
	v_cndmask_b32_e32 v6, 0, v6, vcc
	v_add_u32_e32 v6, v6, v38
	v_and_b32_e32 v6, 0x1fffff, v6
	v_add_co_u32_e32 v12, vcc, v6, v38
	v_add_u32_e32 v7, 14, v14
	v_addc_co_u32_e32 v13, vcc, 0, v39, vcc
	v_cmp_ne_u32_e32 vcc, 0, v7
                                        ; implicit-def: $vgpr6
	s_and_saveexec_b64 s[28:29], vcc
	s_xor_b64 s[28:29], exec, s[28:29]
; %bb.6104:                             ;   in Loop: Header=BB2_5776 Depth=3
	v_add_u32_e32 v6, 15, v14
	v_cmp_lt_u64_e32 vcc, s[56:57], v[12:13]
	v_cndmask_b32_e32 v6, v7, v6, vcc
	v_cndmask_b32_e64 v7, 0, 1, vcc
	v_lshrrev_b64 v[12:13], v7, v[12:13]
; %bb.6105:                             ;   in Loop: Header=BB2_5776 Depth=3
	s_andn2_saveexec_b64 s[28:29], s[28:29]
; %bb.6106:                             ;   in Loop: Header=BB2_5776 Depth=3
	v_bfe_u32 v6, v12, 23, 1
; %bb.6107:                             ;   in Loop: Header=BB2_5776 Depth=3
	s_or_b64 exec, exec, s[28:29]
	v_lshrrev_b64 v[12:13], 21, v[12:13]
	v_cmp_gt_i32_e32 vcc, 32, v6
	v_cndmask_b32_e32 v13, 0, v13, vcc
	v_cndmask_b32_e32 v12, 3, v12, vcc
	v_cmp_eq_u32_e32 vcc, 0, v6
	v_min_i32_e32 v6, 31, v6
	v_cmp_eq_u64_e64 s[28:29], 0, v[12:13]
	v_lshlrev_b32_e32 v6, 2, v6
	v_and_or_b32 v6, v12, 3, v6
	s_and_b64 s[28:29], vcc, s[28:29]
	v_cndmask_b32_e64 v6, v6, 0, s[28:29]
	v_or_b32_e32 v52, v6, v0
.LBB2_6108:                             ;   in Loop: Header=BB2_5776 Depth=3
	s_or_b64 exec, exec, s[70:71]
.LBB2_6109:                             ;   in Loop: Header=BB2_5776 Depth=3
	s_or_b64 exec, exec, s[68:69]
                                        ; implicit-def: $vgpr6
.LBB2_6110:                             ;   in Loop: Header=BB2_5776 Depth=3
	s_andn2_saveexec_b64 s[28:29], s[30:31]
; %bb.6111:                             ;   in Loop: Header=BB2_5776 Depth=3
	v_or_b32_sdwa v0, v6, s39 dst_sel:DWORD dst_unused:UNUSED_PAD src0_sel:BYTE_3 src1_sel:DWORD
	v_cmp_eq_u64_e32 vcc, 0, v[50:51]
	v_cndmask_b32_e32 v52, v0, v52, vcc
; %bb.6112:                             ;   in Loop: Header=BB2_5776 Depth=3
	s_or_b64 exec, exec, s[28:29]
	v_lshrrev_b32_e32 v14, 24, v21
	v_lshrrev_b32_e32 v12, 24, v17
	v_cmp_lt_u64_e64 s[28:29], s[42:43], v[20:21]
	s_and_b64 vcc, exec, s[66:67]
	s_cbranch_vccz .LBB2_6130
; %bb.6113:                             ;   in Loop: Header=BB2_5776 Depth=3
	v_mov_b32_e32 v6, 0
	v_mov_b32_e32 v0, 0
	s_and_saveexec_b64 s[30:31], s[28:29]
	s_cbranch_execz .LBB2_6121
; %bb.6114:                             ;   in Loop: Header=BB2_5776 Depth=3
	v_cmp_ne_u32_e32 vcc, s97, v14
	v_bfrev_b32_e32 v0, 1
	s_and_saveexec_b64 s[68:69], vcc
	s_cbranch_execz .LBB2_6120
; %bb.6115:                             ;   in Loop: Header=BB2_5776 Depth=3
	v_and_b32_e32 v0, 0x7c000000, v21
	v_bfe_u32 v7, v21, 24, 2
	v_cmp_ne_u32_e32 vcc, s37, v0
                                        ; implicit-def: $vgpr0
	s_and_saveexec_b64 s[70:71], vcc
	s_xor_b64 s[70:71], exec, s[70:71]
	s_cbranch_execz .LBB2_6117
; %bb.6116:                             ;   in Loop: Header=BB2_5776 Depth=3
	v_ffbh_u32_e32 v13, v7
	v_bfe_u32 v0, v21, 26, 5
	v_min_u32_e32 v13, 32, v13
	v_subrev_u32_e32 v15, 29, v13
	v_sub_u32_e32 v13, 30, v13
	v_cmp_eq_u32_e32 vcc, 0, v0
	v_lshlrev_b64 v[30:31], v15, v[14:15]
	v_cndmask_b32_e32 v0, v0, v13, vcc
	v_bfrev_b32_e32 v13, 28
	v_and_b32_e32 v15, 3, v30
	v_lshl_add_u32 v0, v0, 23, v13
	v_cndmask_b32_e32 v7, v7, v15, vcc
	v_and_or_b32 v0, v21, s96, v0
	v_lshl_or_b32 v0, v7, 21, v0
                                        ; implicit-def: $vgpr7
.LBB2_6117:                             ;   in Loop: Header=BB2_5776 Depth=3
	s_andn2_saveexec_b64 s[70:71], s[70:71]
; %bb.6118:                             ;   in Loop: Header=BB2_5776 Depth=3
	v_cmp_lt_i64_e32 vcc, -1, v[20:21]
	v_mov_b32_e32 v0, 0xc7600000
	v_mov_b32_e32 v13, 0x47600000
	v_cndmask_b32_e32 v0, v0, v13, vcc
	v_cmp_eq_u32_e32 vcc, 0, v7
	v_mov_b32_e32 v7, 0x7f800001
	v_cndmask_b32_e32 v0, v7, v0, vcc
; %bb.6119:                             ;   in Loop: Header=BB2_5776 Depth=3
	s_or_b64 exec, exec, s[70:71]
.LBB2_6120:                             ;   in Loop: Header=BB2_5776 Depth=3
	s_or_b64 exec, exec, s[68:69]
.LBB2_6121:                             ;   in Loop: Header=BB2_5776 Depth=3
	s_or_b64 exec, exec, s[30:31]
	v_cmp_lt_u64_e32 vcc, s[42:43], v[16:17]
	s_and_saveexec_b64 s[30:31], vcc
	s_cbranch_execz .LBB2_6129
; %bb.6122:                             ;   in Loop: Header=BB2_5776 Depth=3
	v_cmp_ne_u32_e32 vcc, s97, v12
	v_bfrev_b32_e32 v6, 1
	s_and_saveexec_b64 s[68:69], vcc
	s_cbranch_execz .LBB2_6128
; %bb.6123:                             ;   in Loop: Header=BB2_5776 Depth=3
	v_and_b32_e32 v6, 0x7c000000, v17
	v_bfe_u32 v7, v17, 24, 2
	v_cmp_ne_u32_e32 vcc, s37, v6
                                        ; implicit-def: $vgpr6
	s_and_saveexec_b64 s[70:71], vcc
	s_xor_b64 s[70:71], exec, s[70:71]
	s_cbranch_execz .LBB2_6125
; %bb.6124:                             ;   in Loop: Header=BB2_5776 Depth=3
	v_ffbh_u32_e32 v13, v7
	v_min_u32_e32 v13, 32, v13
	v_bfe_u32 v6, v17, 26, 5
	v_subrev_u32_e32 v15, 29, v13
	v_lshlrev_b64 v[30:31], v15, v[12:13]
	v_sub_u32_e32 v13, 30, v13
	v_cmp_eq_u32_e32 vcc, 0, v6
	v_cndmask_b32_e32 v6, v6, v13, vcc
	v_bfrev_b32_e32 v13, 28
	v_and_b32_e32 v15, 3, v30
	v_lshl_add_u32 v6, v6, 23, v13
	v_cndmask_b32_e32 v7, v7, v15, vcc
	v_and_or_b32 v6, v17, s96, v6
	v_lshl_or_b32 v6, v7, 21, v6
                                        ; implicit-def: $vgpr7
.LBB2_6125:                             ;   in Loop: Header=BB2_5776 Depth=3
	s_andn2_saveexec_b64 s[70:71], s[70:71]
; %bb.6126:                             ;   in Loop: Header=BB2_5776 Depth=3
	v_cmp_lt_i64_e32 vcc, -1, v[16:17]
	v_mov_b32_e32 v6, 0xc7600000
	v_mov_b32_e32 v13, 0x47600000
	v_cndmask_b32_e32 v6, v6, v13, vcc
	v_cmp_eq_u32_e32 vcc, 0, v7
	v_mov_b32_e32 v7, 0x7f800001
	v_cndmask_b32_e32 v6, v7, v6, vcc
; %bb.6127:                             ;   in Loop: Header=BB2_5776 Depth=3
	s_or_b64 exec, exec, s[70:71]
.LBB2_6128:                             ;   in Loop: Header=BB2_5776 Depth=3
	s_or_b64 exec, exec, s[68:69]
.LBB2_6129:                             ;   in Loop: Header=BB2_5776 Depth=3
	s_or_b64 exec, exec, s[30:31]
	v_max_f32_e32 v6, v6, v6
	v_max_f32_e32 v0, v0, v0
	v_max_f32_e32 v6, v0, v6
	s_branch .LBB2_6148
.LBB2_6130:                             ;   in Loop: Header=BB2_5776 Depth=3
                                        ; implicit-def: $vgpr6
	s_cbranch_execz .LBB2_6148
; %bb.6131:                             ;   in Loop: Header=BB2_5776 Depth=3
	v_mov_b32_e32 v6, 0
	v_mov_b32_e32 v0, 0
	s_and_saveexec_b64 s[30:31], s[28:29]
	s_cbranch_execz .LBB2_6139
; %bb.6132:                             ;   in Loop: Header=BB2_5776 Depth=3
	v_cmp_ne_u32_e32 vcc, s97, v14
	v_bfrev_b32_e32 v0, 1
	s_and_saveexec_b64 s[28:29], vcc
	s_cbranch_execz .LBB2_6138
; %bb.6133:                             ;   in Loop: Header=BB2_5776 Depth=3
	v_and_b32_e32 v0, 0x7c000000, v21
	v_bfe_u32 v7, v21, 24, 2
	v_cmp_ne_u32_e32 vcc, s37, v0
                                        ; implicit-def: $vgpr0
	s_and_saveexec_b64 s[68:69], vcc
	s_xor_b64 s[68:69], exec, s[68:69]
	s_cbranch_execz .LBB2_6135
; %bb.6134:                             ;   in Loop: Header=BB2_5776 Depth=3
	v_ffbh_u32_e32 v13, v7
	v_bfe_u32 v0, v21, 26, 5
	v_min_u32_e32 v13, 32, v13
	v_subrev_u32_e32 v15, 29, v13
	v_sub_u32_e32 v13, 30, v13
	v_cmp_eq_u32_e32 vcc, 0, v0
	v_lshlrev_b64 v[14:15], v15, v[14:15]
	v_cndmask_b32_e32 v0, v0, v13, vcc
	v_bfrev_b32_e32 v13, 28
	v_and_b32_e32 v14, 3, v14
	v_lshl_add_u32 v0, v0, 23, v13
	v_cndmask_b32_e32 v7, v7, v14, vcc
	v_and_or_b32 v0, v21, s96, v0
	v_lshl_or_b32 v0, v7, 21, v0
                                        ; implicit-def: $vgpr7
.LBB2_6135:                             ;   in Loop: Header=BB2_5776 Depth=3
	s_andn2_saveexec_b64 s[68:69], s[68:69]
; %bb.6136:                             ;   in Loop: Header=BB2_5776 Depth=3
	v_cmp_lt_i64_e32 vcc, -1, v[20:21]
	v_mov_b32_e32 v0, 0xc7600000
	v_mov_b32_e32 v13, 0x47600000
	v_cndmask_b32_e32 v0, v0, v13, vcc
	v_cmp_eq_u32_e32 vcc, 0, v7
	v_mov_b32_e32 v7, 0x7f800001
	v_cndmask_b32_e32 v0, v7, v0, vcc
; %bb.6137:                             ;   in Loop: Header=BB2_5776 Depth=3
	s_or_b64 exec, exec, s[68:69]
.LBB2_6138:                             ;   in Loop: Header=BB2_5776 Depth=3
	s_or_b64 exec, exec, s[28:29]
.LBB2_6139:                             ;   in Loop: Header=BB2_5776 Depth=3
	s_or_b64 exec, exec, s[30:31]
	v_cmp_lt_u64_e32 vcc, s[42:43], v[16:17]
	s_and_saveexec_b64 s[28:29], vcc
	s_cbranch_execz .LBB2_6147
; %bb.6140:                             ;   in Loop: Header=BB2_5776 Depth=3
	v_cmp_ne_u32_e32 vcc, s97, v12
	v_bfrev_b32_e32 v6, 1
	s_and_saveexec_b64 s[30:31], vcc
	s_cbranch_execz .LBB2_6146
; %bb.6141:                             ;   in Loop: Header=BB2_5776 Depth=3
	v_and_b32_e32 v6, 0x7c000000, v17
	v_bfe_u32 v7, v17, 24, 2
	v_cmp_ne_u32_e32 vcc, s37, v6
                                        ; implicit-def: $vgpr6
	s_and_saveexec_b64 s[68:69], vcc
	s_xor_b64 s[68:69], exec, s[68:69]
	s_cbranch_execz .LBB2_6143
; %bb.6142:                             ;   in Loop: Header=BB2_5776 Depth=3
	v_ffbh_u32_e32 v13, v7
	v_min_u32_e32 v14, 32, v13
	v_subrev_u32_e32 v13, 29, v14
	v_bfe_u32 v6, v17, 26, 5
	v_lshlrev_b64 v[12:13], v13, v[12:13]
	v_sub_u32_e32 v13, 30, v14
	v_and_b32_e32 v12, 3, v12
	v_cmp_eq_u32_e32 vcc, 0, v6
	v_cndmask_b32_e32 v6, v6, v13, vcc
	v_cndmask_b32_e32 v7, v7, v12, vcc
	v_bfrev_b32_e32 v12, 28
	v_lshl_add_u32 v6, v6, 23, v12
	v_and_or_b32 v6, v17, s96, v6
	v_lshl_or_b32 v6, v7, 21, v6
                                        ; implicit-def: $vgpr7
.LBB2_6143:                             ;   in Loop: Header=BB2_5776 Depth=3
	s_andn2_saveexec_b64 s[68:69], s[68:69]
; %bb.6144:                             ;   in Loop: Header=BB2_5776 Depth=3
	v_cmp_lt_i64_e32 vcc, -1, v[16:17]
	v_mov_b32_e32 v6, 0xc7600000
	v_mov_b32_e32 v12, 0x47600000
	v_cndmask_b32_e32 v6, v6, v12, vcc
	v_cmp_eq_u32_e32 vcc, 0, v7
	v_mov_b32_e32 v7, 0x7f800001
	v_cndmask_b32_e32 v6, v7, v6, vcc
; %bb.6145:                             ;   in Loop: Header=BB2_5776 Depth=3
	s_or_b64 exec, exec, s[68:69]
.LBB2_6146:                             ;   in Loop: Header=BB2_5776 Depth=3
	s_or_b64 exec, exec, s[30:31]
.LBB2_6147:                             ;   in Loop: Header=BB2_5776 Depth=3
	s_or_b64 exec, exec, s[28:29]
	v_max_f32_e32 v6, v6, v6
	v_max_f32_e32 v0, v0, v0
	v_min_f32_e32 v6, v0, v6
.LBB2_6148:                             ;   in Loop: Header=BB2_5776 Depth=3
	v_and_b32_sdwa v0, v6, s97 dst_sel:DWORD dst_unused:UNUSED_PAD src0_sel:BYTE_3 src1_sel:DWORD
	v_and_b32_e32 v12, 0x7f800000, v6
	v_mov_b32_e32 v13, v51
	v_and_b32_e32 v50, 0x7fffff, v6
	v_or_b32_e32 v20, 0x7b, v0
	v_cmp_ne_u64_e32 vcc, s[52:53], v[12:13]
	s_and_saveexec_b64 s[28:29], vcc
	s_xor_b64 s[30:31], exec, s[28:29]
	s_cbranch_execz .LBB2_6176
; %bb.6149:                             ;   in Loop: Header=BB2_5776 Depth=3
	v_and_b32_e32 v12, 0x7fffffff, v6
	v_mov_b32_e32 v13, v51
	v_cmp_gt_u64_e32 vcc, s[54:55], v[12:13]
	s_and_saveexec_b64 s[68:69], vcc
	s_cbranch_execz .LBB2_6157
; %bb.6150:                             ;   in Loop: Header=BB2_5776 Depth=3
	v_cmp_ne_u32_e32 vcc, 0, v6
	v_mov_b32_e32 v20, 0
	s_and_saveexec_b64 s[70:71], vcc
	s_cbranch_execz .LBB2_6156
; %bb.6151:                             ;   in Loop: Header=BB2_5776 Depth=3
	v_bfe_u32 v6, v6, 23, 8
	v_sub_u32_e32 v12, 0x71, v6
	v_cmp_gt_u32_e32 vcc, s38, v6
	v_add_u32_e32 v7, 0xffffff81, v6
	v_cndmask_b32_e32 v12, 0, v12, vcc
	v_cmp_eq_u32_e32 vcc, 0, v6
	v_mov_b32_e32 v6, 0xffffff82
	v_cndmask_b32_e32 v14, v7, v6, vcc
	v_mov_b32_e32 v6, 0x70
	v_cndmask_b32_e32 v15, v12, v6, vcc
	v_add_u32_e32 v6, 21, v15
	v_or_b32_e32 v13, 0x800000, v50
	v_lshlrev_b64 v[6:7], v6, -1
	v_cndmask_b32_e32 v50, v13, v50, vcc
	v_not_b32_e32 v6, v6
	v_and_b32_e32 v12, v50, v6
	v_add_u32_e32 v6, 20, v15
	v_lshrrev_b64 v[20:21], v15, v[50:51]
	v_not_b32_e32 v7, v7
	v_lshlrev_b64 v[16:17], v6, 1
	v_lshrrev_b32_e32 v6, 23, v20
	v_and_b32_e32 v13, 0, v7
	v_add3_u32 v14, v15, v14, v6
	v_bfe_u32 v6, v20, 21, 1
	v_add_u32_e32 v6, -1, v6
	v_cmp_eq_u64_e32 vcc, v[12:13], v[16:17]
	v_cndmask_b32_e32 v6, 0, v6, vcc
	v_add_u32_e32 v6, v6, v20
	v_and_b32_e32 v6, 0x1fffff, v6
	v_add_co_u32_e32 v12, vcc, v6, v20
	v_add_u32_e32 v7, 14, v14
	v_addc_co_u32_e32 v13, vcc, 0, v21, vcc
	v_cmp_ne_u32_e32 vcc, 0, v7
                                        ; implicit-def: $vgpr6
	s_and_saveexec_b64 s[28:29], vcc
	s_xor_b64 s[28:29], exec, s[28:29]
; %bb.6152:                             ;   in Loop: Header=BB2_5776 Depth=3
	v_add_u32_e32 v6, 15, v14
	v_cmp_lt_u64_e32 vcc, s[56:57], v[12:13]
	v_cndmask_b32_e32 v6, v7, v6, vcc
	v_cndmask_b32_e64 v7, 0, 1, vcc
	v_lshrrev_b64 v[12:13], v7, v[12:13]
; %bb.6153:                             ;   in Loop: Header=BB2_5776 Depth=3
	s_andn2_saveexec_b64 s[28:29], s[28:29]
; %bb.6154:                             ;   in Loop: Header=BB2_5776 Depth=3
	v_bfe_u32 v6, v12, 23, 1
; %bb.6155:                             ;   in Loop: Header=BB2_5776 Depth=3
	s_or_b64 exec, exec, s[28:29]
	v_lshrrev_b64 v[12:13], 21, v[12:13]
	v_cmp_gt_i32_e32 vcc, 32, v6
	v_cndmask_b32_e32 v13, 0, v13, vcc
	v_cndmask_b32_e32 v12, 3, v12, vcc
	v_cmp_eq_u32_e32 vcc, 0, v6
	v_min_i32_e32 v6, 31, v6
	v_lshlrev_b32_e32 v6, 2, v6
	v_cmp_eq_u64_e64 s[28:29], 0, v[12:13]
	v_and_b32_e32 v6, 0xfc, v6
	v_and_or_b32 v6, v12, 3, v6
	s_and_b64 s[28:29], vcc, s[28:29]
	v_cndmask_b32_e64 v6, v6, 0, s[28:29]
	v_or_b32_e32 v20, v6, v0
.LBB2_6156:                             ;   in Loop: Header=BB2_5776 Depth=3
	s_or_b64 exec, exec, s[70:71]
.LBB2_6157:                             ;   in Loop: Header=BB2_5776 Depth=3
	s_or_b64 exec, exec, s[68:69]
                                        ; implicit-def: $vgpr6
	s_andn2_saveexec_b64 s[28:29], s[30:31]
	s_cbranch_execnz .LBB2_6177
.LBB2_6158:                             ;   in Loop: Header=BB2_5776 Depth=3
	s_or_b64 exec, exec, s[28:29]
	v_cmp_ne_u16_sdwa s[28:29], v22, v51 src0_sel:BYTE_0 src1_sel:DWORD
	s_and_b64 vcc, exec, s[66:67]
	s_cbranch_vccz .LBB2_6178
.LBB2_6159:                             ;   in Loop: Header=BB2_5776 Depth=3
	v_mov_b32_e32 v6, 0
	v_mov_b32_e32 v0, 0
	s_and_saveexec_b64 s[30:31], s[28:29]
	s_cbranch_execz .LBB2_6167
; %bb.6160:                             ;   in Loop: Header=BB2_5776 Depth=3
	v_cmp_ne_u16_sdwa vcc, sext(v22), s94 src0_sel:BYTE_0 src1_sel:DWORD
	v_bfrev_b32_e32 v0, 1
	s_and_saveexec_b64 s[68:69], vcc
	s_cbranch_execz .LBB2_6166
; %bb.6161:                             ;   in Loop: Header=BB2_5776 Depth=3
	v_and_b32_e32 v0, 0x7c, v22
	v_and_b32_e32 v7, 3, v22
	v_cmp_ne_u32_e32 vcc, s95, v0
                                        ; implicit-def: $vgpr0
	s_and_saveexec_b64 s[70:71], vcc
	s_xor_b64 s[70:71], exec, s[70:71]
	s_cbranch_execz .LBB2_6163
; %bb.6162:                             ;   in Loop: Header=BB2_5776 Depth=3
	v_ffbh_u32_e32 v12, v7
	v_min_u32_e32 v14, 32, v12
	v_subrev_u32_e32 v12, 29, v14
	v_bfe_u32 v0, v22, 2, 5
	v_lshlrev_b64 v[12:13], v12, v[22:23]
	v_sub_u32_e32 v13, 30, v14
	v_cmp_eq_u32_e32 vcc, 0, v0
	v_and_b32_e32 v12, 3, v12
	v_cndmask_b32_e32 v0, v0, v13, vcc
	v_bfrev_b32_e32 v13, 28
	v_cndmask_b32_e32 v7, v7, v12, vcc
	v_lshlrev_b32_e32 v12, 24, v22
	v_lshl_add_u32 v0, v0, 23, v13
	v_and_or_b32 v0, v12, s96, v0
	v_lshl_or_b32 v0, v7, 21, v0
                                        ; implicit-def: $vgpr7
.LBB2_6163:                             ;   in Loop: Header=BB2_5776 Depth=3
	s_andn2_saveexec_b64 s[70:71], s[70:71]
; %bb.6164:                             ;   in Loop: Header=BB2_5776 Depth=3
	v_mov_b32_e32 v0, -1
	v_cmp_gt_i16_sdwa vcc, sext(v22), v0 src0_sel:BYTE_0 src1_sel:DWORD
	v_mov_b32_e32 v0, 0xc7600000
	v_mov_b32_e32 v12, 0x47600000
	v_cndmask_b32_e32 v0, v0, v12, vcc
	v_cmp_eq_u32_e32 vcc, 0, v7
	v_mov_b32_e32 v7, 0x7f800001
	v_cndmask_b32_e32 v0, v7, v0, vcc
; %bb.6165:                             ;   in Loop: Header=BB2_5776 Depth=3
	s_or_b64 exec, exec, s[70:71]
.LBB2_6166:                             ;   in Loop: Header=BB2_5776 Depth=3
	s_or_b64 exec, exec, s[68:69]
.LBB2_6167:                             ;   in Loop: Header=BB2_5776 Depth=3
	s_or_b64 exec, exec, s[30:31]
	v_cmp_ne_u16_sdwa vcc, sext(v18), v51 src0_sel:BYTE_0 src1_sel:DWORD
	s_and_saveexec_b64 s[30:31], vcc
	s_cbranch_execz .LBB2_6175
; %bb.6168:                             ;   in Loop: Header=BB2_5776 Depth=3
	v_cmp_ne_u16_sdwa vcc, sext(v18), s94 src0_sel:BYTE_0 src1_sel:DWORD
	v_bfrev_b32_e32 v6, 1
	s_and_saveexec_b64 s[68:69], vcc
	s_cbranch_execz .LBB2_6174
; %bb.6169:                             ;   in Loop: Header=BB2_5776 Depth=3
	v_and_b32_e32 v6, 0x7c, v18
	v_and_b32_e32 v7, 3, v18
	v_cmp_ne_u32_e32 vcc, s95, v6
                                        ; implicit-def: $vgpr6
	s_and_saveexec_b64 s[70:71], vcc
	s_xor_b64 s[70:71], exec, s[70:71]
	s_cbranch_execz .LBB2_6171
; %bb.6170:                             ;   in Loop: Header=BB2_5776 Depth=3
	v_ffbh_u32_e32 v12, v7
	v_min_u32_e32 v14, 32, v12
	v_subrev_u32_e32 v12, 29, v14
	v_bfe_u32 v6, v18, 2, 5
	v_lshlrev_b64 v[12:13], v12, v[18:19]
	v_sub_u32_e32 v13, 30, v14
	v_cmp_eq_u32_e32 vcc, 0, v6
	v_and_b32_e32 v12, 3, v12
	v_cndmask_b32_e32 v6, v6, v13, vcc
	v_bfrev_b32_e32 v13, 28
	v_cndmask_b32_e32 v7, v7, v12, vcc
	v_lshlrev_b32_e32 v12, 24, v18
	v_lshl_add_u32 v6, v6, 23, v13
	v_and_or_b32 v6, v12, s96, v6
	v_lshl_or_b32 v6, v7, 21, v6
                                        ; implicit-def: $vgpr7
.LBB2_6171:                             ;   in Loop: Header=BB2_5776 Depth=3
	s_andn2_saveexec_b64 s[70:71], s[70:71]
; %bb.6172:                             ;   in Loop: Header=BB2_5776 Depth=3
	v_mov_b32_e32 v6, -1
	v_cmp_gt_i16_sdwa vcc, sext(v18), v6 src0_sel:BYTE_0 src1_sel:DWORD
	v_mov_b32_e32 v6, 0xc7600000
	v_mov_b32_e32 v12, 0x47600000
	v_cndmask_b32_e32 v6, v6, v12, vcc
	v_cmp_eq_u32_e32 vcc, 0, v7
	v_mov_b32_e32 v7, 0x7f800001
	v_cndmask_b32_e32 v6, v7, v6, vcc
; %bb.6173:                             ;   in Loop: Header=BB2_5776 Depth=3
	s_or_b64 exec, exec, s[70:71]
.LBB2_6174:                             ;   in Loop: Header=BB2_5776 Depth=3
	s_or_b64 exec, exec, s[68:69]
.LBB2_6175:                             ;   in Loop: Header=BB2_5776 Depth=3
	s_or_b64 exec, exec, s[30:31]
	v_max_f32_e32 v6, v6, v6
	v_max_f32_e32 v0, v0, v0
	;; [unrolled: 1-line block ×3, first 2 shown]
	s_branch .LBB2_6196
.LBB2_6176:                             ;   in Loop: Header=BB2_5776 Depth=3
	s_andn2_saveexec_b64 s[28:29], s[30:31]
	s_cbranch_execz .LBB2_6158
.LBB2_6177:                             ;   in Loop: Header=BB2_5776 Depth=3
	v_or_b32_sdwa v0, v6, s39 dst_sel:DWORD dst_unused:UNUSED_PAD src0_sel:BYTE_3 src1_sel:DWORD
	v_cmp_eq_u64_e32 vcc, 0, v[50:51]
	v_cndmask_b32_e32 v20, v0, v20, vcc
	s_or_b64 exec, exec, s[28:29]
	v_cmp_ne_u16_sdwa s[28:29], v22, v51 src0_sel:BYTE_0 src1_sel:DWORD
	s_and_b64 vcc, exec, s[66:67]
	s_cbranch_vccnz .LBB2_6159
.LBB2_6178:                             ;   in Loop: Header=BB2_5776 Depth=3
                                        ; implicit-def: $vgpr6
	s_cbranch_execz .LBB2_6196
; %bb.6179:                             ;   in Loop: Header=BB2_5776 Depth=3
	v_mov_b32_e32 v6, 0
	v_mov_b32_e32 v0, 0
	s_and_saveexec_b64 s[30:31], s[28:29]
	s_cbranch_execz .LBB2_6187
; %bb.6180:                             ;   in Loop: Header=BB2_5776 Depth=3
	v_cmp_ne_u16_sdwa vcc, sext(v22), s94 src0_sel:BYTE_0 src1_sel:DWORD
	v_bfrev_b32_e32 v0, 1
	s_and_saveexec_b64 s[28:29], vcc
	s_cbranch_execz .LBB2_6186
; %bb.6181:                             ;   in Loop: Header=BB2_5776 Depth=3
	v_and_b32_e32 v0, 0x7c, v22
	v_and_b32_e32 v7, 3, v22
	v_cmp_ne_u32_e32 vcc, s95, v0
                                        ; implicit-def: $vgpr0
	s_and_saveexec_b64 s[68:69], vcc
	s_xor_b64 s[68:69], exec, s[68:69]
	s_cbranch_execz .LBB2_6183
; %bb.6182:                             ;   in Loop: Header=BB2_5776 Depth=3
	v_ffbh_u32_e32 v12, v7
	v_min_u32_e32 v14, 32, v12
	v_subrev_u32_e32 v12, 29, v14
	v_bfe_u32 v0, v22, 2, 5
	v_lshlrev_b64 v[12:13], v12, v[22:23]
	v_sub_u32_e32 v13, 30, v14
	v_cmp_eq_u32_e32 vcc, 0, v0
	v_and_b32_e32 v12, 3, v12
	v_cndmask_b32_e32 v0, v0, v13, vcc
	v_bfrev_b32_e32 v13, 28
	v_cndmask_b32_e32 v7, v7, v12, vcc
	v_lshlrev_b32_e32 v12, 24, v22
	v_lshl_add_u32 v0, v0, 23, v13
	v_and_or_b32 v0, v12, s96, v0
	v_lshl_or_b32 v0, v7, 21, v0
                                        ; implicit-def: $vgpr7
.LBB2_6183:                             ;   in Loop: Header=BB2_5776 Depth=3
	s_andn2_saveexec_b64 s[68:69], s[68:69]
; %bb.6184:                             ;   in Loop: Header=BB2_5776 Depth=3
	v_mov_b32_e32 v0, -1
	v_cmp_gt_i16_sdwa vcc, sext(v22), v0 src0_sel:BYTE_0 src1_sel:DWORD
	v_mov_b32_e32 v0, 0xc7600000
	v_mov_b32_e32 v12, 0x47600000
	v_cndmask_b32_e32 v0, v0, v12, vcc
	v_cmp_eq_u32_e32 vcc, 0, v7
	v_mov_b32_e32 v7, 0x7f800001
	v_cndmask_b32_e32 v0, v7, v0, vcc
; %bb.6185:                             ;   in Loop: Header=BB2_5776 Depth=3
	s_or_b64 exec, exec, s[68:69]
.LBB2_6186:                             ;   in Loop: Header=BB2_5776 Depth=3
	s_or_b64 exec, exec, s[28:29]
.LBB2_6187:                             ;   in Loop: Header=BB2_5776 Depth=3
	s_or_b64 exec, exec, s[30:31]
	v_cmp_ne_u16_sdwa vcc, sext(v18), v51 src0_sel:BYTE_0 src1_sel:DWORD
	s_and_saveexec_b64 s[28:29], vcc
	s_cbranch_execz .LBB2_6195
; %bb.6188:                             ;   in Loop: Header=BB2_5776 Depth=3
	v_cmp_ne_u16_sdwa vcc, sext(v18), s94 src0_sel:BYTE_0 src1_sel:DWORD
	v_bfrev_b32_e32 v6, 1
	s_and_saveexec_b64 s[30:31], vcc
	s_cbranch_execz .LBB2_6194
; %bb.6189:                             ;   in Loop: Header=BB2_5776 Depth=3
	v_and_b32_e32 v6, 0x7c, v18
	v_and_b32_e32 v7, 3, v18
	v_cmp_ne_u32_e32 vcc, s95, v6
                                        ; implicit-def: $vgpr6
	s_and_saveexec_b64 s[68:69], vcc
	s_xor_b64 s[68:69], exec, s[68:69]
	s_cbranch_execz .LBB2_6191
; %bb.6190:                             ;   in Loop: Header=BB2_5776 Depth=3
	v_ffbh_u32_e32 v12, v7
	v_min_u32_e32 v14, 32, v12
	v_subrev_u32_e32 v12, 29, v14
	v_bfe_u32 v6, v18, 2, 5
	v_lshlrev_b64 v[12:13], v12, v[18:19]
	v_sub_u32_e32 v13, 30, v14
	v_cmp_eq_u32_e32 vcc, 0, v6
	v_and_b32_e32 v12, 3, v12
	v_cndmask_b32_e32 v6, v6, v13, vcc
	v_bfrev_b32_e32 v13, 28
	v_cndmask_b32_e32 v7, v7, v12, vcc
	v_lshlrev_b32_e32 v12, 24, v18
	v_lshl_add_u32 v6, v6, 23, v13
	v_and_or_b32 v6, v12, s96, v6
	v_lshl_or_b32 v6, v7, 21, v6
                                        ; implicit-def: $vgpr7
.LBB2_6191:                             ;   in Loop: Header=BB2_5776 Depth=3
	s_andn2_saveexec_b64 s[68:69], s[68:69]
; %bb.6192:                             ;   in Loop: Header=BB2_5776 Depth=3
	v_mov_b32_e32 v6, -1
	v_cmp_gt_i16_sdwa vcc, sext(v18), v6 src0_sel:BYTE_0 src1_sel:DWORD
	v_mov_b32_e32 v6, 0xc7600000
	v_mov_b32_e32 v12, 0x47600000
	v_cndmask_b32_e32 v6, v6, v12, vcc
	v_cmp_eq_u32_e32 vcc, 0, v7
	v_mov_b32_e32 v7, 0x7f800001
	v_cndmask_b32_e32 v6, v7, v6, vcc
; %bb.6193:                             ;   in Loop: Header=BB2_5776 Depth=3
	s_or_b64 exec, exec, s[68:69]
.LBB2_6194:                             ;   in Loop: Header=BB2_5776 Depth=3
	s_or_b64 exec, exec, s[30:31]
.LBB2_6195:                             ;   in Loop: Header=BB2_5776 Depth=3
	s_or_b64 exec, exec, s[28:29]
	v_max_f32_e32 v6, v6, v6
	v_max_f32_e32 v0, v0, v0
	v_min_f32_e32 v6, v0, v6
.LBB2_6196:                             ;   in Loop: Header=BB2_5776 Depth=3
	v_and_b32_sdwa v0, v6, s97 dst_sel:DWORD dst_unused:UNUSED_PAD src0_sel:BYTE_3 src1_sel:DWORD
	v_and_b32_e32 v12, 0x7f800000, v6
	v_mov_b32_e32 v13, v51
	v_and_b32_e32 v50, 0x7fffff, v6
	v_or_b32_e32 v21, 0x7b, v0
	v_cmp_ne_u64_e32 vcc, s[52:53], v[12:13]
	s_and_saveexec_b64 s[28:29], vcc
	s_xor_b64 s[30:31], exec, s[28:29]
	s_cbranch_execz .LBB2_6206
; %bb.6197:                             ;   in Loop: Header=BB2_5776 Depth=3
	v_and_b32_e32 v12, 0x7fffffff, v6
	v_mov_b32_e32 v13, v51
	v_cmp_gt_u64_e32 vcc, s[54:55], v[12:13]
	s_and_saveexec_b64 s[68:69], vcc
	s_cbranch_execz .LBB2_6205
; %bb.6198:                             ;   in Loop: Header=BB2_5776 Depth=3
	v_cmp_ne_u32_e32 vcc, 0, v6
	v_mov_b32_e32 v21, 0
	s_and_saveexec_b64 s[70:71], vcc
	s_cbranch_execz .LBB2_6204
; %bb.6199:                             ;   in Loop: Header=BB2_5776 Depth=3
	v_bfe_u32 v6, v6, 23, 8
	v_sub_u32_e32 v12, 0x71, v6
	v_cmp_gt_u32_e32 vcc, s38, v6
	v_add_u32_e32 v7, 0xffffff81, v6
	v_cndmask_b32_e32 v12, 0, v12, vcc
	v_cmp_eq_u32_e32 vcc, 0, v6
	v_mov_b32_e32 v6, 0xffffff82
	v_cndmask_b32_e32 v14, v7, v6, vcc
	v_mov_b32_e32 v6, 0x70
	v_cndmask_b32_e32 v15, v12, v6, vcc
	v_add_u32_e32 v6, 21, v15
	v_or_b32_e32 v13, 0x800000, v50
	v_lshlrev_b64 v[6:7], v6, -1
	v_cndmask_b32_e32 v50, v13, v50, vcc
	v_not_b32_e32 v6, v6
	v_and_b32_e32 v12, v50, v6
	v_add_u32_e32 v6, 20, v15
	v_lshrrev_b64 v[30:31], v15, v[50:51]
	v_not_b32_e32 v7, v7
	v_lshlrev_b64 v[16:17], v6, 1
	v_lshrrev_b32_e32 v6, 23, v30
	v_and_b32_e32 v13, 0, v7
	v_add3_u32 v14, v15, v14, v6
	v_bfe_u32 v6, v30, 21, 1
	v_add_u32_e32 v6, -1, v6
	v_cmp_eq_u64_e32 vcc, v[12:13], v[16:17]
	v_cndmask_b32_e32 v6, 0, v6, vcc
	v_add_u32_e32 v6, v6, v30
	v_and_b32_e32 v6, 0x1fffff, v6
	v_add_co_u32_e32 v12, vcc, v6, v30
	v_add_u32_e32 v7, 14, v14
	v_addc_co_u32_e32 v13, vcc, 0, v31, vcc
	v_cmp_ne_u32_e32 vcc, 0, v7
                                        ; implicit-def: $vgpr6
	s_and_saveexec_b64 s[28:29], vcc
	s_xor_b64 s[28:29], exec, s[28:29]
; %bb.6200:                             ;   in Loop: Header=BB2_5776 Depth=3
	v_add_u32_e32 v6, 15, v14
	v_cmp_lt_u64_e32 vcc, s[56:57], v[12:13]
	v_cndmask_b32_e32 v6, v7, v6, vcc
	v_cndmask_b32_e64 v7, 0, 1, vcc
	v_lshrrev_b64 v[12:13], v7, v[12:13]
; %bb.6201:                             ;   in Loop: Header=BB2_5776 Depth=3
	s_andn2_saveexec_b64 s[28:29], s[28:29]
; %bb.6202:                             ;   in Loop: Header=BB2_5776 Depth=3
	v_bfe_u32 v6, v12, 23, 1
; %bb.6203:                             ;   in Loop: Header=BB2_5776 Depth=3
	s_or_b64 exec, exec, s[28:29]
	v_lshrrev_b64 v[12:13], 21, v[12:13]
	v_cmp_gt_i32_e32 vcc, 32, v6
	v_cndmask_b32_e32 v13, 0, v13, vcc
	v_cndmask_b32_e32 v12, 3, v12, vcc
	v_cmp_eq_u32_e32 vcc, 0, v6
	v_min_i32_e32 v6, 31, v6
	v_cmp_eq_u64_e64 s[28:29], 0, v[12:13]
	v_lshlrev_b32_e32 v6, 2, v6
	v_and_or_b32 v6, v12, 3, v6
	s_and_b64 s[28:29], vcc, s[28:29]
	v_cndmask_b32_e64 v6, v6, 0, s[28:29]
	v_or_b32_e32 v21, v6, v0
.LBB2_6204:                             ;   in Loop: Header=BB2_5776 Depth=3
	s_or_b64 exec, exec, s[70:71]
.LBB2_6205:                             ;   in Loop: Header=BB2_5776 Depth=3
	s_or_b64 exec, exec, s[68:69]
                                        ; implicit-def: $vgpr6
.LBB2_6206:                             ;   in Loop: Header=BB2_5776 Depth=3
	s_andn2_saveexec_b64 s[28:29], s[30:31]
; %bb.6207:                             ;   in Loop: Header=BB2_5776 Depth=3
	v_or_b32_sdwa v0, v6, s39 dst_sel:DWORD dst_unused:UNUSED_PAD src0_sel:BYTE_3 src1_sel:DWORD
	v_cmp_eq_u64_e32 vcc, 0, v[50:51]
	v_cndmask_b32_e32 v21, v0, v21, vcc
; %bb.6208:                             ;   in Loop: Header=BB2_5776 Depth=3
	s_or_b64 exec, exec, s[28:29]
	v_lshrrev_b16_e32 v50, 8, v22
	v_lshrrev_b16_e32 v12, 8, v18
	v_cmp_ne_u16_e64 s[28:29], 0, v50
	s_and_b64 vcc, exec, s[66:67]
	s_cbranch_vccz .LBB2_6226
; %bb.6209:                             ;   in Loop: Header=BB2_5776 Depth=3
	v_mov_b32_e32 v6, 0
	v_mov_b32_e32 v0, 0
	s_and_saveexec_b64 s[30:31], s[28:29]
	s_cbranch_execz .LBB2_6217
; %bb.6210:                             ;   in Loop: Header=BB2_5776 Depth=3
	v_cmp_ne_u16_e32 vcc, s97, v50
	v_bfrev_b32_e32 v0, 1
	s_and_saveexec_b64 s[68:69], vcc
	s_cbranch_execz .LBB2_6216
; %bb.6211:                             ;   in Loop: Header=BB2_5776 Depth=3
	v_and_b32_e32 v0, 0x7c, v50
	v_and_b32_e32 v7, 3, v50
	v_cmp_ne_u32_e32 vcc, s95, v0
                                        ; implicit-def: $vgpr0
	s_and_saveexec_b64 s[70:71], vcc
	s_xor_b64 s[70:71], exec, s[70:71]
	s_cbranch_execz .LBB2_6213
; %bb.6212:                             ;   in Loop: Header=BB2_5776 Depth=3
	v_ffbh_u32_e32 v13, v7
	v_min_u32_e32 v13, 32, v13
	v_subrev_u32_e32 v14, 29, v13
	v_bfe_u32 v0, v50, 2, 5
	v_lshlrev_b64 v[14:15], v14, v[50:51]
	v_sub_u32_e32 v13, 30, v13
	v_and_b32_e32 v14, 3, v14
	v_cmp_eq_u32_e32 vcc, 0, v0
	v_cndmask_b32_e32 v0, v0, v13, vcc
	v_cndmask_b32_e32 v7, v7, v14, vcc
	v_bfrev_b32_e32 v14, 28
	v_lshlrev_b32_e32 v13, 16, v22
	v_lshl_add_u32 v0, v0, 23, v14
	v_and_or_b32 v0, v13, s96, v0
	v_lshl_or_b32 v0, v7, 21, v0
                                        ; implicit-def: $vgpr7
.LBB2_6213:                             ;   in Loop: Header=BB2_5776 Depth=3
	s_andn2_saveexec_b64 s[70:71], s[70:71]
; %bb.6214:                             ;   in Loop: Header=BB2_5776 Depth=3
	v_cmp_lt_i16_e32 vcc, -1, v22
	v_mov_b32_e32 v0, 0xc7600000
	v_mov_b32_e32 v13, 0x47600000
	v_cndmask_b32_e32 v0, v0, v13, vcc
	v_cmp_eq_u32_e32 vcc, 0, v7
	v_mov_b32_e32 v7, 0x7f800001
	v_cndmask_b32_e32 v0, v7, v0, vcc
; %bb.6215:                             ;   in Loop: Header=BB2_5776 Depth=3
	s_or_b64 exec, exec, s[70:71]
.LBB2_6216:                             ;   in Loop: Header=BB2_5776 Depth=3
	s_or_b64 exec, exec, s[68:69]
.LBB2_6217:                             ;   in Loop: Header=BB2_5776 Depth=3
	s_or_b64 exec, exec, s[30:31]
	v_cmp_ne_u16_e32 vcc, 0, v12
	s_and_saveexec_b64 s[30:31], vcc
	s_cbranch_execz .LBB2_6225
; %bb.6218:                             ;   in Loop: Header=BB2_5776 Depth=3
	v_cmp_ne_u16_e32 vcc, s97, v12
	v_bfrev_b32_e32 v6, 1
	s_and_saveexec_b64 s[68:69], vcc
	s_cbranch_execz .LBB2_6224
; %bb.6219:                             ;   in Loop: Header=BB2_5776 Depth=3
	v_and_b32_e32 v6, 0x7c, v12
	v_and_b32_e32 v7, 3, v12
	v_cmp_ne_u32_e32 vcc, s95, v6
                                        ; implicit-def: $vgpr6
	s_and_saveexec_b64 s[70:71], vcc
	s_xor_b64 s[70:71], exec, s[70:71]
	s_cbranch_execz .LBB2_6221
; %bb.6220:                             ;   in Loop: Header=BB2_5776 Depth=3
	v_ffbh_u32_e32 v14, v7
	v_min_u32_e32 v16, 32, v14
	v_mov_b32_e32 v13, v51
	v_subrev_u32_e32 v14, 29, v16
	v_bfe_u32 v6, v12, 2, 5
	v_lshlrev_b64 v[14:15], v14, v[12:13]
	v_sub_u32_e32 v13, 30, v16
	v_and_b32_e32 v14, 3, v14
	v_cmp_eq_u32_e32 vcc, 0, v6
	v_cndmask_b32_e32 v6, v6, v13, vcc
	v_cndmask_b32_e32 v7, v7, v14, vcc
	v_bfrev_b32_e32 v14, 28
	v_lshlrev_b32_e32 v13, 16, v18
	v_lshl_add_u32 v6, v6, 23, v14
	v_and_or_b32 v6, v13, s96, v6
	v_lshl_or_b32 v6, v7, 21, v6
                                        ; implicit-def: $vgpr7
.LBB2_6221:                             ;   in Loop: Header=BB2_5776 Depth=3
	s_andn2_saveexec_b64 s[70:71], s[70:71]
; %bb.6222:                             ;   in Loop: Header=BB2_5776 Depth=3
	v_cmp_lt_i16_e32 vcc, -1, v18
	v_mov_b32_e32 v6, 0xc7600000
	v_mov_b32_e32 v13, 0x47600000
	v_cndmask_b32_e32 v6, v6, v13, vcc
	v_cmp_eq_u32_e32 vcc, 0, v7
	v_mov_b32_e32 v7, 0x7f800001
	v_cndmask_b32_e32 v6, v7, v6, vcc
; %bb.6223:                             ;   in Loop: Header=BB2_5776 Depth=3
	s_or_b64 exec, exec, s[70:71]
.LBB2_6224:                             ;   in Loop: Header=BB2_5776 Depth=3
	s_or_b64 exec, exec, s[68:69]
.LBB2_6225:                             ;   in Loop: Header=BB2_5776 Depth=3
	s_or_b64 exec, exec, s[30:31]
	v_max_f32_e32 v6, v6, v6
	v_max_f32_e32 v0, v0, v0
	;; [unrolled: 1-line block ×3, first 2 shown]
	s_branch .LBB2_6244
.LBB2_6226:                             ;   in Loop: Header=BB2_5776 Depth=3
                                        ; implicit-def: $vgpr6
	s_cbranch_execz .LBB2_6244
; %bb.6227:                             ;   in Loop: Header=BB2_5776 Depth=3
	v_mov_b32_e32 v6, 0
	v_mov_b32_e32 v0, 0
	s_and_saveexec_b64 s[30:31], s[28:29]
	s_cbranch_execz .LBB2_6235
; %bb.6228:                             ;   in Loop: Header=BB2_5776 Depth=3
	v_cmp_ne_u16_e32 vcc, s97, v50
	v_bfrev_b32_e32 v0, 1
	s_and_saveexec_b64 s[28:29], vcc
	s_cbranch_execz .LBB2_6234
; %bb.6229:                             ;   in Loop: Header=BB2_5776 Depth=3
	v_and_b32_e32 v0, 0x7c, v50
	v_and_b32_e32 v7, 3, v50
	v_cmp_ne_u32_e32 vcc, s95, v0
                                        ; implicit-def: $vgpr0
	s_and_saveexec_b64 s[68:69], vcc
	s_xor_b64 s[68:69], exec, s[68:69]
	s_cbranch_execz .LBB2_6231
; %bb.6230:                             ;   in Loop: Header=BB2_5776 Depth=3
	v_ffbh_u32_e32 v13, v7
	v_min_u32_e32 v13, 32, v13
	v_subrev_u32_e32 v14, 29, v13
	v_bfe_u32 v0, v50, 2, 5
	v_lshlrev_b64 v[14:15], v14, v[50:51]
	v_sub_u32_e32 v13, 30, v13
	v_and_b32_e32 v14, 3, v14
	v_cmp_eq_u32_e32 vcc, 0, v0
	v_cndmask_b32_e32 v0, v0, v13, vcc
	v_cndmask_b32_e32 v7, v7, v14, vcc
	v_bfrev_b32_e32 v14, 28
	v_lshlrev_b32_e32 v13, 16, v22
	v_lshl_add_u32 v0, v0, 23, v14
	v_and_or_b32 v0, v13, s96, v0
	v_lshl_or_b32 v0, v7, 21, v0
                                        ; implicit-def: $vgpr7
.LBB2_6231:                             ;   in Loop: Header=BB2_5776 Depth=3
	s_andn2_saveexec_b64 s[68:69], s[68:69]
; %bb.6232:                             ;   in Loop: Header=BB2_5776 Depth=3
	v_cmp_lt_i16_e32 vcc, -1, v22
	v_mov_b32_e32 v0, 0xc7600000
	v_mov_b32_e32 v13, 0x47600000
	v_cndmask_b32_e32 v0, v0, v13, vcc
	v_cmp_eq_u32_e32 vcc, 0, v7
	v_mov_b32_e32 v7, 0x7f800001
	v_cndmask_b32_e32 v0, v7, v0, vcc
; %bb.6233:                             ;   in Loop: Header=BB2_5776 Depth=3
	s_or_b64 exec, exec, s[68:69]
.LBB2_6234:                             ;   in Loop: Header=BB2_5776 Depth=3
	s_or_b64 exec, exec, s[28:29]
.LBB2_6235:                             ;   in Loop: Header=BB2_5776 Depth=3
	s_or_b64 exec, exec, s[30:31]
	v_cmp_ne_u16_e32 vcc, 0, v12
	s_and_saveexec_b64 s[28:29], vcc
	s_cbranch_execz .LBB2_6243
; %bb.6236:                             ;   in Loop: Header=BB2_5776 Depth=3
	v_cmp_ne_u16_e32 vcc, s97, v12
	v_bfrev_b32_e32 v6, 1
	s_and_saveexec_b64 s[30:31], vcc
	s_cbranch_execz .LBB2_6242
; %bb.6237:                             ;   in Loop: Header=BB2_5776 Depth=3
	v_and_b32_e32 v6, 0x7c, v12
	v_and_b32_e32 v7, 3, v12
	v_cmp_ne_u32_e32 vcc, s95, v6
                                        ; implicit-def: $vgpr6
	s_and_saveexec_b64 s[68:69], vcc
	s_xor_b64 s[68:69], exec, s[68:69]
	s_cbranch_execz .LBB2_6239
; %bb.6238:                             ;   in Loop: Header=BB2_5776 Depth=3
	v_ffbh_u32_e32 v14, v7
	v_min_u32_e32 v14, 32, v14
	v_mov_b32_e32 v13, v51
	v_subrev_u32_e32 v15, 29, v14
	v_bfe_u32 v6, v12, 2, 5
	v_lshlrev_b64 v[12:13], v15, v[12:13]
	v_sub_u32_e32 v13, 30, v14
	v_cmp_eq_u32_e32 vcc, 0, v6
	v_and_b32_e32 v12, 3, v12
	v_cndmask_b32_e32 v6, v6, v13, vcc
	v_bfrev_b32_e32 v13, 28
	v_cndmask_b32_e32 v7, v7, v12, vcc
	v_lshlrev_b32_e32 v12, 16, v18
	v_lshl_add_u32 v6, v6, 23, v13
	v_and_or_b32 v6, v12, s96, v6
	v_lshl_or_b32 v6, v7, 21, v6
                                        ; implicit-def: $vgpr7
.LBB2_6239:                             ;   in Loop: Header=BB2_5776 Depth=3
	s_andn2_saveexec_b64 s[68:69], s[68:69]
; %bb.6240:                             ;   in Loop: Header=BB2_5776 Depth=3
	v_cmp_lt_i16_e32 vcc, -1, v18
	v_mov_b32_e32 v6, 0xc7600000
	v_mov_b32_e32 v12, 0x47600000
	v_cndmask_b32_e32 v6, v6, v12, vcc
	v_cmp_eq_u32_e32 vcc, 0, v7
	v_mov_b32_e32 v7, 0x7f800001
	v_cndmask_b32_e32 v6, v7, v6, vcc
; %bb.6241:                             ;   in Loop: Header=BB2_5776 Depth=3
	s_or_b64 exec, exec, s[68:69]
.LBB2_6242:                             ;   in Loop: Header=BB2_5776 Depth=3
	s_or_b64 exec, exec, s[30:31]
.LBB2_6243:                             ;   in Loop: Header=BB2_5776 Depth=3
	s_or_b64 exec, exec, s[28:29]
	v_max_f32_e32 v6, v6, v6
	v_max_f32_e32 v0, v0, v0
	v_min_f32_e32 v6, v0, v6
.LBB2_6244:                             ;   in Loop: Header=BB2_5776 Depth=3
	v_and_b32_sdwa v0, v6, s97 dst_sel:DWORD dst_unused:UNUSED_PAD src0_sel:BYTE_3 src1_sel:DWORD
	v_and_b32_e32 v12, 0x7f800000, v6
	v_mov_b32_e32 v13, v51
	v_and_b32_e32 v50, 0x7fffff, v6
	v_or_b32_e32 v53, 0x7b, v0
	v_cmp_ne_u64_e32 vcc, s[52:53], v[12:13]
	s_and_saveexec_b64 s[28:29], vcc
	s_xor_b64 s[30:31], exec, s[28:29]
	s_cbranch_execz .LBB2_6254
; %bb.6245:                             ;   in Loop: Header=BB2_5776 Depth=3
	v_and_b32_e32 v12, 0x7fffffff, v6
	v_mov_b32_e32 v13, v51
	v_cmp_gt_u64_e32 vcc, s[54:55], v[12:13]
	s_and_saveexec_b64 s[68:69], vcc
	s_cbranch_execz .LBB2_6253
; %bb.6246:                             ;   in Loop: Header=BB2_5776 Depth=3
	v_cmp_ne_u32_e32 vcc, 0, v6
	v_mov_b32_e32 v53, 0
	s_and_saveexec_b64 s[70:71], vcc
	s_cbranch_execz .LBB2_6252
; %bb.6247:                             ;   in Loop: Header=BB2_5776 Depth=3
	v_bfe_u32 v6, v6, 23, 8
	v_sub_u32_e32 v12, 0x71, v6
	v_cmp_gt_u32_e32 vcc, s38, v6
	v_add_u32_e32 v7, 0xffffff81, v6
	v_cndmask_b32_e32 v12, 0, v12, vcc
	v_cmp_eq_u32_e32 vcc, 0, v6
	v_mov_b32_e32 v6, 0xffffff82
	v_cndmask_b32_e32 v14, v7, v6, vcc
	v_mov_b32_e32 v6, 0x70
	v_cndmask_b32_e32 v15, v12, v6, vcc
	v_add_u32_e32 v6, 21, v15
	v_or_b32_e32 v13, 0x800000, v50
	v_lshlrev_b64 v[6:7], v6, -1
	v_cndmask_b32_e32 v50, v13, v50, vcc
	v_not_b32_e32 v6, v6
	v_and_b32_e32 v12, v50, v6
	v_add_u32_e32 v6, 20, v15
	v_lshrrev_b64 v[30:31], v15, v[50:51]
	v_not_b32_e32 v7, v7
	v_lshlrev_b64 v[16:17], v6, 1
	v_lshrrev_b32_e32 v6, 23, v30
	v_and_b32_e32 v13, 0, v7
	v_add3_u32 v14, v15, v14, v6
	v_bfe_u32 v6, v30, 21, 1
	v_add_u32_e32 v6, -1, v6
	v_cmp_eq_u64_e32 vcc, v[12:13], v[16:17]
	v_cndmask_b32_e32 v6, 0, v6, vcc
	v_add_u32_e32 v6, v6, v30
	v_and_b32_e32 v6, 0x1fffff, v6
	v_add_co_u32_e32 v12, vcc, v6, v30
	v_add_u32_e32 v7, 14, v14
	v_addc_co_u32_e32 v13, vcc, 0, v31, vcc
	v_cmp_ne_u32_e32 vcc, 0, v7
                                        ; implicit-def: $vgpr6
	s_and_saveexec_b64 s[28:29], vcc
	s_xor_b64 s[28:29], exec, s[28:29]
; %bb.6248:                             ;   in Loop: Header=BB2_5776 Depth=3
	v_add_u32_e32 v6, 15, v14
	v_cmp_lt_u64_e32 vcc, s[56:57], v[12:13]
	v_cndmask_b32_e32 v6, v7, v6, vcc
	v_cndmask_b32_e64 v7, 0, 1, vcc
	v_lshrrev_b64 v[12:13], v7, v[12:13]
; %bb.6249:                             ;   in Loop: Header=BB2_5776 Depth=3
	s_andn2_saveexec_b64 s[28:29], s[28:29]
; %bb.6250:                             ;   in Loop: Header=BB2_5776 Depth=3
	v_bfe_u32 v6, v12, 23, 1
; %bb.6251:                             ;   in Loop: Header=BB2_5776 Depth=3
	s_or_b64 exec, exec, s[28:29]
	v_lshrrev_b64 v[12:13], 21, v[12:13]
	v_cmp_gt_i32_e32 vcc, 32, v6
	v_cndmask_b32_e32 v13, 0, v13, vcc
	v_cndmask_b32_e32 v12, 3, v12, vcc
	v_cmp_eq_u32_e32 vcc, 0, v6
	v_min_i32_e32 v6, 31, v6
	v_cmp_eq_u64_e64 s[28:29], 0, v[12:13]
	v_lshlrev_b32_e32 v6, 2, v6
	v_and_or_b32 v6, v12, 3, v6
	s_and_b64 s[28:29], vcc, s[28:29]
	v_cndmask_b32_e64 v6, v6, 0, s[28:29]
	v_or_b32_e32 v53, v6, v0
.LBB2_6252:                             ;   in Loop: Header=BB2_5776 Depth=3
	s_or_b64 exec, exec, s[70:71]
.LBB2_6253:                             ;   in Loop: Header=BB2_5776 Depth=3
	s_or_b64 exec, exec, s[68:69]
                                        ; implicit-def: $vgpr6
.LBB2_6254:                             ;   in Loop: Header=BB2_5776 Depth=3
	s_andn2_saveexec_b64 s[28:29], s[30:31]
; %bb.6255:                             ;   in Loop: Header=BB2_5776 Depth=3
	v_or_b32_sdwa v0, v6, s39 dst_sel:DWORD dst_unused:UNUSED_PAD src0_sel:BYTE_3 src1_sel:DWORD
	v_cmp_eq_u64_e32 vcc, 0, v[50:51]
	v_cndmask_b32_e32 v53, v0, v53, vcc
; %bb.6256:                             ;   in Loop: Header=BB2_5776 Depth=3
	s_or_b64 exec, exec, s[28:29]
	v_lshrrev_b32_e32 v14, 16, v22
	v_lshrrev_b32_e32 v12, 16, v18
	v_cmp_ne_u16_sdwa s[28:29], v14, v51 src0_sel:BYTE_0 src1_sel:DWORD
	s_and_b64 vcc, exec, s[66:67]
	s_cbranch_vccz .LBB2_6274
; %bb.6257:                             ;   in Loop: Header=BB2_5776 Depth=3
	v_mov_b32_e32 v6, 0
	v_mov_b32_e32 v0, 0
	s_and_saveexec_b64 s[30:31], s[28:29]
	s_cbranch_execz .LBB2_6265
; %bb.6258:                             ;   in Loop: Header=BB2_5776 Depth=3
	v_cmp_ne_u16_sdwa vcc, v14, s97 src0_sel:BYTE_0 src1_sel:DWORD
	v_bfrev_b32_e32 v0, 1
	s_and_saveexec_b64 s[68:69], vcc
	s_cbranch_execz .LBB2_6264
; %bb.6259:                             ;   in Loop: Header=BB2_5776 Depth=3
	v_and_b32_e32 v0, 0x7c0000, v22
	v_bfe_u32 v7, v22, 16, 2
	v_cmp_ne_u32_e32 vcc, s36, v0
                                        ; implicit-def: $vgpr0
	s_and_saveexec_b64 s[70:71], vcc
	s_xor_b64 s[70:71], exec, s[70:71]
	s_cbranch_execz .LBB2_6261
; %bb.6260:                             ;   in Loop: Header=BB2_5776 Depth=3
	v_ffbh_u32_e32 v13, v7
	v_min_u32_e32 v13, 32, v13
	v_subrev_u32_e32 v15, 29, v13
	v_bfe_u32 v0, v22, 18, 5
	v_lshlrev_b64 v[16:17], v15, v[14:15]
	v_sub_u32_e32 v13, 30, v13
	v_and_b32_e32 v15, 3, v16
	v_cmp_eq_u32_e32 vcc, 0, v0
	v_cndmask_b32_e32 v0, v0, v13, vcc
	v_cndmask_b32_e32 v7, v7, v15, vcc
	v_bfrev_b32_e32 v15, 28
	v_lshlrev_b32_e32 v13, 24, v14
	v_lshl_add_u32 v0, v0, 23, v15
	v_and_or_b32 v0, v13, s96, v0
	v_lshl_or_b32 v0, v7, 21, v0
                                        ; implicit-def: $vgpr7
.LBB2_6261:                             ;   in Loop: Header=BB2_5776 Depth=3
	s_andn2_saveexec_b64 s[70:71], s[70:71]
; %bb.6262:                             ;   in Loop: Header=BB2_5776 Depth=3
	v_mov_b32_e32 v0, -1
	v_cmp_gt_i16_sdwa vcc, sext(v14), v0 src0_sel:BYTE_0 src1_sel:DWORD
	v_mov_b32_e32 v0, 0xc7600000
	v_mov_b32_e32 v13, 0x47600000
	v_cndmask_b32_e32 v0, v0, v13, vcc
	v_cmp_eq_u32_e32 vcc, 0, v7
	v_mov_b32_e32 v7, 0x7f800001
	v_cndmask_b32_e32 v0, v7, v0, vcc
; %bb.6263:                             ;   in Loop: Header=BB2_5776 Depth=3
	s_or_b64 exec, exec, s[70:71]
.LBB2_6264:                             ;   in Loop: Header=BB2_5776 Depth=3
	s_or_b64 exec, exec, s[68:69]
.LBB2_6265:                             ;   in Loop: Header=BB2_5776 Depth=3
	s_or_b64 exec, exec, s[30:31]
	v_cmp_ne_u16_sdwa vcc, v12, v51 src0_sel:BYTE_0 src1_sel:DWORD
	s_and_saveexec_b64 s[30:31], vcc
	s_cbranch_execz .LBB2_6273
; %bb.6266:                             ;   in Loop: Header=BB2_5776 Depth=3
	v_cmp_ne_u16_sdwa vcc, v12, s97 src0_sel:BYTE_0 src1_sel:DWORD
	v_bfrev_b32_e32 v6, 1
	s_and_saveexec_b64 s[68:69], vcc
	s_cbranch_execz .LBB2_6272
; %bb.6267:                             ;   in Loop: Header=BB2_5776 Depth=3
	v_and_b32_e32 v6, 0x7c0000, v18
	v_bfe_u32 v7, v18, 16, 2
	v_cmp_ne_u32_e32 vcc, s36, v6
                                        ; implicit-def: $vgpr6
	s_and_saveexec_b64 s[70:71], vcc
	s_xor_b64 s[70:71], exec, s[70:71]
	s_cbranch_execz .LBB2_6269
; %bb.6268:                             ;   in Loop: Header=BB2_5776 Depth=3
	v_ffbh_u32_e32 v13, v7
	v_min_u32_e32 v13, 32, v13
	v_subrev_u32_e32 v15, 29, v13
	v_bfe_u32 v6, v18, 18, 5
	v_lshlrev_b64 v[16:17], v15, v[12:13]
	v_sub_u32_e32 v13, 30, v13
	v_and_b32_e32 v15, 3, v16
	v_cmp_eq_u32_e32 vcc, 0, v6
	v_cndmask_b32_e32 v6, v6, v13, vcc
	v_cndmask_b32_e32 v7, v7, v15, vcc
	v_bfrev_b32_e32 v15, 28
	v_lshlrev_b32_e32 v13, 24, v12
	v_lshl_add_u32 v6, v6, 23, v15
	v_and_or_b32 v6, v13, s96, v6
	v_lshl_or_b32 v6, v7, 21, v6
                                        ; implicit-def: $vgpr7
.LBB2_6269:                             ;   in Loop: Header=BB2_5776 Depth=3
	s_andn2_saveexec_b64 s[70:71], s[70:71]
; %bb.6270:                             ;   in Loop: Header=BB2_5776 Depth=3
	v_mov_b32_e32 v6, -1
	v_cmp_gt_i16_sdwa vcc, sext(v12), v6 src0_sel:BYTE_0 src1_sel:DWORD
	v_mov_b32_e32 v6, 0xc7600000
	v_mov_b32_e32 v13, 0x47600000
	v_cndmask_b32_e32 v6, v6, v13, vcc
	v_cmp_eq_u32_e32 vcc, 0, v7
	v_mov_b32_e32 v7, 0x7f800001
	v_cndmask_b32_e32 v6, v7, v6, vcc
; %bb.6271:                             ;   in Loop: Header=BB2_5776 Depth=3
	s_or_b64 exec, exec, s[70:71]
.LBB2_6272:                             ;   in Loop: Header=BB2_5776 Depth=3
	s_or_b64 exec, exec, s[68:69]
.LBB2_6273:                             ;   in Loop: Header=BB2_5776 Depth=3
	s_or_b64 exec, exec, s[30:31]
	v_max_f32_e32 v6, v6, v6
	v_max_f32_e32 v0, v0, v0
	;; [unrolled: 1-line block ×3, first 2 shown]
	s_branch .LBB2_6292
.LBB2_6274:                             ;   in Loop: Header=BB2_5776 Depth=3
                                        ; implicit-def: $vgpr6
	s_cbranch_execz .LBB2_6292
; %bb.6275:                             ;   in Loop: Header=BB2_5776 Depth=3
	v_mov_b32_e32 v6, 0
	v_mov_b32_e32 v0, 0
	s_and_saveexec_b64 s[30:31], s[28:29]
	s_cbranch_execz .LBB2_6283
; %bb.6276:                             ;   in Loop: Header=BB2_5776 Depth=3
	v_cmp_ne_u16_sdwa vcc, v14, s97 src0_sel:BYTE_0 src1_sel:DWORD
	v_bfrev_b32_e32 v0, 1
	s_and_saveexec_b64 s[28:29], vcc
	s_cbranch_execz .LBB2_6282
; %bb.6277:                             ;   in Loop: Header=BB2_5776 Depth=3
	v_and_b32_e32 v0, 0x7c0000, v22
	v_bfe_u32 v7, v22, 16, 2
	v_cmp_ne_u32_e32 vcc, s36, v0
                                        ; implicit-def: $vgpr0
	s_and_saveexec_b64 s[68:69], vcc
	s_xor_b64 s[68:69], exec, s[68:69]
	s_cbranch_execz .LBB2_6279
; %bb.6278:                             ;   in Loop: Header=BB2_5776 Depth=3
	v_ffbh_u32_e32 v13, v7
	v_bfe_u32 v0, v22, 18, 5
	v_min_u32_e32 v13, 32, v13
	v_subrev_u32_e32 v15, 29, v13
	v_sub_u32_e32 v13, 30, v13
	v_cmp_eq_u32_e32 vcc, 0, v0
	v_lshlrev_b64 v[16:17], v15, v[14:15]
	v_cndmask_b32_e32 v0, v0, v13, vcc
	v_lshlrev_b32_e32 v13, 24, v14
	v_bfrev_b32_e32 v14, 28
	v_and_b32_e32 v15, 3, v16
	v_lshl_add_u32 v0, v0, 23, v14
	v_cndmask_b32_e32 v7, v7, v15, vcc
	v_and_or_b32 v0, v13, s96, v0
	v_lshl_or_b32 v0, v7, 21, v0
                                        ; implicit-def: $vgpr7
                                        ; implicit-def: $vgpr14
.LBB2_6279:                             ;   in Loop: Header=BB2_5776 Depth=3
	s_andn2_saveexec_b64 s[68:69], s[68:69]
; %bb.6280:                             ;   in Loop: Header=BB2_5776 Depth=3
	v_mov_b32_e32 v0, -1
	v_cmp_gt_i16_sdwa vcc, sext(v14), v0 src0_sel:BYTE_0 src1_sel:DWORD
	v_mov_b32_e32 v0, 0xc7600000
	v_mov_b32_e32 v13, 0x47600000
	v_cndmask_b32_e32 v0, v0, v13, vcc
	v_cmp_eq_u32_e32 vcc, 0, v7
	v_mov_b32_e32 v7, 0x7f800001
	v_cndmask_b32_e32 v0, v7, v0, vcc
; %bb.6281:                             ;   in Loop: Header=BB2_5776 Depth=3
	s_or_b64 exec, exec, s[68:69]
.LBB2_6282:                             ;   in Loop: Header=BB2_5776 Depth=3
	s_or_b64 exec, exec, s[28:29]
.LBB2_6283:                             ;   in Loop: Header=BB2_5776 Depth=3
	s_or_b64 exec, exec, s[30:31]
	v_cmp_ne_u16_sdwa vcc, v12, v51 src0_sel:BYTE_0 src1_sel:DWORD
	s_and_saveexec_b64 s[28:29], vcc
	s_cbranch_execz .LBB2_6291
; %bb.6284:                             ;   in Loop: Header=BB2_5776 Depth=3
	v_cmp_ne_u16_sdwa vcc, v12, s97 src0_sel:BYTE_0 src1_sel:DWORD
	v_bfrev_b32_e32 v6, 1
	s_and_saveexec_b64 s[30:31], vcc
	s_cbranch_execz .LBB2_6290
; %bb.6285:                             ;   in Loop: Header=BB2_5776 Depth=3
	v_and_b32_e32 v6, 0x7c0000, v18
	v_bfe_u32 v7, v18, 16, 2
	v_cmp_ne_u32_e32 vcc, s36, v6
                                        ; implicit-def: $vgpr6
	s_and_saveexec_b64 s[68:69], vcc
	s_xor_b64 s[68:69], exec, s[68:69]
	s_cbranch_execz .LBB2_6287
; %bb.6286:                             ;   in Loop: Header=BB2_5776 Depth=3
	v_ffbh_u32_e32 v13, v7
	v_min_u32_e32 v13, 32, v13
	v_bfe_u32 v6, v18, 18, 5
	v_subrev_u32_e32 v14, 29, v13
	v_lshlrev_b64 v[14:15], v14, v[12:13]
	v_sub_u32_e32 v13, 30, v13
	v_cmp_eq_u32_e32 vcc, 0, v6
	v_cndmask_b32_e32 v6, v6, v13, vcc
	v_bfrev_b32_e32 v13, 28
	v_and_b32_e32 v14, 3, v14
	v_lshlrev_b32_e32 v12, 24, v12
	v_lshl_add_u32 v6, v6, 23, v13
	v_cndmask_b32_e32 v7, v7, v14, vcc
	v_and_or_b32 v6, v12, s96, v6
	v_lshl_or_b32 v6, v7, 21, v6
                                        ; implicit-def: $vgpr7
                                        ; implicit-def: $vgpr12
.LBB2_6287:                             ;   in Loop: Header=BB2_5776 Depth=3
	s_andn2_saveexec_b64 s[68:69], s[68:69]
; %bb.6288:                             ;   in Loop: Header=BB2_5776 Depth=3
	v_mov_b32_e32 v6, -1
	v_cmp_gt_i16_sdwa vcc, sext(v12), v6 src0_sel:BYTE_0 src1_sel:DWORD
	v_mov_b32_e32 v6, 0xc7600000
	v_mov_b32_e32 v12, 0x47600000
	v_cndmask_b32_e32 v6, v6, v12, vcc
	v_cmp_eq_u32_e32 vcc, 0, v7
	v_mov_b32_e32 v7, 0x7f800001
	v_cndmask_b32_e32 v6, v7, v6, vcc
; %bb.6289:                             ;   in Loop: Header=BB2_5776 Depth=3
	s_or_b64 exec, exec, s[68:69]
.LBB2_6290:                             ;   in Loop: Header=BB2_5776 Depth=3
	s_or_b64 exec, exec, s[30:31]
.LBB2_6291:                             ;   in Loop: Header=BB2_5776 Depth=3
	s_or_b64 exec, exec, s[28:29]
	v_max_f32_e32 v6, v6, v6
	v_max_f32_e32 v0, v0, v0
	v_min_f32_e32 v6, v0, v6
.LBB2_6292:                             ;   in Loop: Header=BB2_5776 Depth=3
	v_and_b32_sdwa v0, v6, s97 dst_sel:DWORD dst_unused:UNUSED_PAD src0_sel:BYTE_3 src1_sel:DWORD
	v_and_b32_e32 v12, 0x7f800000, v6
	v_mov_b32_e32 v13, v51
	v_and_b32_e32 v50, 0x7fffff, v6
	v_or_b32_e32 v45, 0x7b, v0
	v_cmp_ne_u64_e32 vcc, s[52:53], v[12:13]
	s_and_saveexec_b64 s[28:29], vcc
	s_xor_b64 s[30:31], exec, s[28:29]
	s_cbranch_execz .LBB2_6302
; %bb.6293:                             ;   in Loop: Header=BB2_5776 Depth=3
	v_and_b32_e32 v12, 0x7fffffff, v6
	v_mov_b32_e32 v13, v51
	v_cmp_gt_u64_e32 vcc, s[54:55], v[12:13]
	s_and_saveexec_b64 s[68:69], vcc
	s_cbranch_execz .LBB2_6301
; %bb.6294:                             ;   in Loop: Header=BB2_5776 Depth=3
	v_cmp_ne_u32_e32 vcc, 0, v6
	v_mov_b32_e32 v45, 0
	s_and_saveexec_b64 s[70:71], vcc
	s_cbranch_execz .LBB2_6300
; %bb.6295:                             ;   in Loop: Header=BB2_5776 Depth=3
	v_bfe_u32 v6, v6, 23, 8
	v_sub_u32_e32 v12, 0x71, v6
	v_cmp_gt_u32_e32 vcc, s38, v6
	v_add_u32_e32 v7, 0xffffff81, v6
	v_cndmask_b32_e32 v12, 0, v12, vcc
	v_cmp_eq_u32_e32 vcc, 0, v6
	v_mov_b32_e32 v6, 0xffffff82
	v_cndmask_b32_e32 v14, v7, v6, vcc
	v_mov_b32_e32 v6, 0x70
	v_cndmask_b32_e32 v15, v12, v6, vcc
	v_add_u32_e32 v6, 21, v15
	v_or_b32_e32 v13, 0x800000, v50
	v_lshlrev_b64 v[6:7], v6, -1
	v_cndmask_b32_e32 v50, v13, v50, vcc
	v_not_b32_e32 v6, v6
	v_and_b32_e32 v12, v50, v6
	v_add_u32_e32 v6, 20, v15
	v_lshrrev_b64 v[30:31], v15, v[50:51]
	v_not_b32_e32 v7, v7
	v_lshlrev_b64 v[16:17], v6, 1
	v_lshrrev_b32_e32 v6, 23, v30
	v_and_b32_e32 v13, 0, v7
	v_add3_u32 v14, v15, v14, v6
	v_bfe_u32 v6, v30, 21, 1
	v_add_u32_e32 v6, -1, v6
	v_cmp_eq_u64_e32 vcc, v[12:13], v[16:17]
	v_cndmask_b32_e32 v6, 0, v6, vcc
	v_add_u32_e32 v6, v6, v30
	v_and_b32_e32 v6, 0x1fffff, v6
	v_add_co_u32_e32 v12, vcc, v6, v30
	v_add_u32_e32 v7, 14, v14
	v_addc_co_u32_e32 v13, vcc, 0, v31, vcc
	v_cmp_ne_u32_e32 vcc, 0, v7
                                        ; implicit-def: $vgpr6
	s_and_saveexec_b64 s[28:29], vcc
	s_xor_b64 s[28:29], exec, s[28:29]
; %bb.6296:                             ;   in Loop: Header=BB2_5776 Depth=3
	v_add_u32_e32 v6, 15, v14
	v_cmp_lt_u64_e32 vcc, s[56:57], v[12:13]
	v_cndmask_b32_e32 v6, v7, v6, vcc
	v_cndmask_b32_e64 v7, 0, 1, vcc
	v_lshrrev_b64 v[12:13], v7, v[12:13]
; %bb.6297:                             ;   in Loop: Header=BB2_5776 Depth=3
	s_andn2_saveexec_b64 s[28:29], s[28:29]
; %bb.6298:                             ;   in Loop: Header=BB2_5776 Depth=3
	v_bfe_u32 v6, v12, 23, 1
; %bb.6299:                             ;   in Loop: Header=BB2_5776 Depth=3
	s_or_b64 exec, exec, s[28:29]
	v_lshrrev_b64 v[12:13], 21, v[12:13]
	v_cmp_gt_i32_e32 vcc, 32, v6
	v_cndmask_b32_e32 v13, 0, v13, vcc
	v_cndmask_b32_e32 v12, 3, v12, vcc
	v_cmp_eq_u32_e32 vcc, 0, v6
	v_min_i32_e32 v6, 31, v6
	v_cmp_eq_u64_e64 s[28:29], 0, v[12:13]
	v_lshlrev_b32_e32 v6, 2, v6
	v_and_or_b32 v6, v12, 3, v6
	s_and_b64 s[28:29], vcc, s[28:29]
	v_cndmask_b32_e64 v6, v6, 0, s[28:29]
	v_or_b32_e32 v45, v6, v0
.LBB2_6300:                             ;   in Loop: Header=BB2_5776 Depth=3
	s_or_b64 exec, exec, s[70:71]
.LBB2_6301:                             ;   in Loop: Header=BB2_5776 Depth=3
	s_or_b64 exec, exec, s[68:69]
                                        ; implicit-def: $vgpr6
.LBB2_6302:                             ;   in Loop: Header=BB2_5776 Depth=3
	s_andn2_saveexec_b64 s[28:29], s[30:31]
; %bb.6303:                             ;   in Loop: Header=BB2_5776 Depth=3
	v_or_b32_sdwa v0, v6, s39 dst_sel:DWORD dst_unused:UNUSED_PAD src0_sel:BYTE_3 src1_sel:DWORD
	v_cmp_eq_u64_e32 vcc, 0, v[50:51]
	v_cndmask_b32_e32 v45, v0, v45, vcc
; %bb.6304:                             ;   in Loop: Header=BB2_5776 Depth=3
	s_or_b64 exec, exec, s[28:29]
	v_lshrrev_b32_e32 v14, 24, v22
	v_lshrrev_b32_e32 v12, 24, v18
	v_cmp_lt_u32_e64 s[28:29], s43, v22
	s_and_b64 vcc, exec, s[66:67]
	s_cbranch_vccz .LBB2_6322
; %bb.6305:                             ;   in Loop: Header=BB2_5776 Depth=3
	v_mov_b32_e32 v6, 0
	v_mov_b32_e32 v0, 0
	s_and_saveexec_b64 s[30:31], s[28:29]
	s_cbranch_execz .LBB2_6313
; %bb.6306:                             ;   in Loop: Header=BB2_5776 Depth=3
	v_cmp_ne_u32_e32 vcc, s97, v14
	v_bfrev_b32_e32 v0, 1
	s_and_saveexec_b64 s[68:69], vcc
	s_cbranch_execz .LBB2_6312
; %bb.6307:                             ;   in Loop: Header=BB2_5776 Depth=3
	v_and_b32_e32 v0, 0x7c000000, v22
	v_bfe_u32 v7, v22, 24, 2
	v_cmp_ne_u32_e32 vcc, s37, v0
                                        ; implicit-def: $vgpr0
	s_and_saveexec_b64 s[70:71], vcc
	s_xor_b64 s[70:71], exec, s[70:71]
	s_cbranch_execz .LBB2_6309
; %bb.6308:                             ;   in Loop: Header=BB2_5776 Depth=3
	v_ffbh_u32_e32 v13, v7
	v_bfe_u32 v0, v22, 26, 5
	v_min_u32_e32 v13, 32, v13
	v_subrev_u32_e32 v15, 29, v13
	v_sub_u32_e32 v13, 30, v13
	v_cmp_eq_u32_e32 vcc, 0, v0
	v_lshlrev_b64 v[16:17], v15, v[14:15]
	v_cndmask_b32_e32 v0, v0, v13, vcc
	v_bfrev_b32_e32 v13, 28
	v_and_b32_e32 v15, 3, v16
	v_lshl_add_u32 v0, v0, 23, v13
	v_cndmask_b32_e32 v7, v7, v15, vcc
	v_and_or_b32 v0, v22, s96, v0
	v_lshl_or_b32 v0, v7, 21, v0
                                        ; implicit-def: $vgpr7
.LBB2_6309:                             ;   in Loop: Header=BB2_5776 Depth=3
	s_andn2_saveexec_b64 s[70:71], s[70:71]
; %bb.6310:                             ;   in Loop: Header=BB2_5776 Depth=3
	v_cmp_lt_i32_e32 vcc, -1, v22
	v_mov_b32_e32 v0, 0xc7600000
	v_mov_b32_e32 v13, 0x47600000
	v_cndmask_b32_e32 v0, v0, v13, vcc
	v_cmp_eq_u32_e32 vcc, 0, v7
	v_mov_b32_e32 v7, 0x7f800001
	v_cndmask_b32_e32 v0, v7, v0, vcc
; %bb.6311:                             ;   in Loop: Header=BB2_5776 Depth=3
	s_or_b64 exec, exec, s[70:71]
.LBB2_6312:                             ;   in Loop: Header=BB2_5776 Depth=3
	s_or_b64 exec, exec, s[68:69]
.LBB2_6313:                             ;   in Loop: Header=BB2_5776 Depth=3
	s_or_b64 exec, exec, s[30:31]
	v_cmp_lt_u32_e32 vcc, s43, v18
	s_and_saveexec_b64 s[30:31], vcc
	s_cbranch_execz .LBB2_6321
; %bb.6314:                             ;   in Loop: Header=BB2_5776 Depth=3
	v_cmp_ne_u32_e32 vcc, s97, v12
	v_bfrev_b32_e32 v6, 1
	s_and_saveexec_b64 s[68:69], vcc
	s_cbranch_execz .LBB2_6320
; %bb.6315:                             ;   in Loop: Header=BB2_5776 Depth=3
	v_and_b32_e32 v6, 0x7c000000, v18
	v_bfe_u32 v7, v18, 24, 2
	v_cmp_ne_u32_e32 vcc, s37, v6
                                        ; implicit-def: $vgpr6
	s_and_saveexec_b64 s[70:71], vcc
	s_xor_b64 s[70:71], exec, s[70:71]
	s_cbranch_execz .LBB2_6317
; %bb.6316:                             ;   in Loop: Header=BB2_5776 Depth=3
	v_ffbh_u32_e32 v13, v7
	v_min_u32_e32 v13, 32, v13
	v_bfe_u32 v6, v18, 26, 5
	v_subrev_u32_e32 v15, 29, v13
	v_lshlrev_b64 v[16:17], v15, v[12:13]
	v_sub_u32_e32 v13, 30, v13
	v_cmp_eq_u32_e32 vcc, 0, v6
	v_cndmask_b32_e32 v6, v6, v13, vcc
	v_bfrev_b32_e32 v13, 28
	v_and_b32_e32 v15, 3, v16
	v_lshl_add_u32 v6, v6, 23, v13
	v_cndmask_b32_e32 v7, v7, v15, vcc
	v_and_or_b32 v6, v18, s96, v6
	v_lshl_or_b32 v6, v7, 21, v6
                                        ; implicit-def: $vgpr7
.LBB2_6317:                             ;   in Loop: Header=BB2_5776 Depth=3
	s_andn2_saveexec_b64 s[70:71], s[70:71]
; %bb.6318:                             ;   in Loop: Header=BB2_5776 Depth=3
	v_cmp_lt_i32_e32 vcc, -1, v18
	v_mov_b32_e32 v6, 0xc7600000
	v_mov_b32_e32 v13, 0x47600000
	v_cndmask_b32_e32 v6, v6, v13, vcc
	v_cmp_eq_u32_e32 vcc, 0, v7
	v_mov_b32_e32 v7, 0x7f800001
	v_cndmask_b32_e32 v6, v7, v6, vcc
; %bb.6319:                             ;   in Loop: Header=BB2_5776 Depth=3
	s_or_b64 exec, exec, s[70:71]
.LBB2_6320:                             ;   in Loop: Header=BB2_5776 Depth=3
	s_or_b64 exec, exec, s[68:69]
.LBB2_6321:                             ;   in Loop: Header=BB2_5776 Depth=3
	s_or_b64 exec, exec, s[30:31]
	v_max_f32_e32 v6, v6, v6
	v_max_f32_e32 v0, v0, v0
	;; [unrolled: 1-line block ×3, first 2 shown]
	s_branch .LBB2_6340
.LBB2_6322:                             ;   in Loop: Header=BB2_5776 Depth=3
                                        ; implicit-def: $vgpr6
	s_cbranch_execz .LBB2_6340
; %bb.6323:                             ;   in Loop: Header=BB2_5776 Depth=3
	v_mov_b32_e32 v6, 0
	v_mov_b32_e32 v0, 0
	s_and_saveexec_b64 s[30:31], s[28:29]
	s_cbranch_execz .LBB2_6331
; %bb.6324:                             ;   in Loop: Header=BB2_5776 Depth=3
	v_cmp_ne_u32_e32 vcc, s97, v14
	v_bfrev_b32_e32 v0, 1
	s_and_saveexec_b64 s[28:29], vcc
	s_cbranch_execz .LBB2_6330
; %bb.6325:                             ;   in Loop: Header=BB2_5776 Depth=3
	v_and_b32_e32 v0, 0x7c000000, v22
	v_bfe_u32 v7, v22, 24, 2
	v_cmp_ne_u32_e32 vcc, s37, v0
                                        ; implicit-def: $vgpr0
	s_and_saveexec_b64 s[68:69], vcc
	s_xor_b64 s[68:69], exec, s[68:69]
	s_cbranch_execz .LBB2_6327
; %bb.6326:                             ;   in Loop: Header=BB2_5776 Depth=3
	v_ffbh_u32_e32 v13, v7
	v_bfe_u32 v0, v22, 26, 5
	v_min_u32_e32 v13, 32, v13
	v_subrev_u32_e32 v15, 29, v13
	v_sub_u32_e32 v13, 30, v13
	v_cmp_eq_u32_e32 vcc, 0, v0
	v_lshlrev_b64 v[14:15], v15, v[14:15]
	v_cndmask_b32_e32 v0, v0, v13, vcc
	v_bfrev_b32_e32 v13, 28
	v_and_b32_e32 v14, 3, v14
	v_lshl_add_u32 v0, v0, 23, v13
	v_cndmask_b32_e32 v7, v7, v14, vcc
	v_and_or_b32 v0, v22, s96, v0
	v_lshl_or_b32 v0, v7, 21, v0
                                        ; implicit-def: $vgpr7
.LBB2_6327:                             ;   in Loop: Header=BB2_5776 Depth=3
	s_andn2_saveexec_b64 s[68:69], s[68:69]
; %bb.6328:                             ;   in Loop: Header=BB2_5776 Depth=3
	v_cmp_lt_i32_e32 vcc, -1, v22
	v_mov_b32_e32 v0, 0xc7600000
	v_mov_b32_e32 v13, 0x47600000
	v_cndmask_b32_e32 v0, v0, v13, vcc
	v_cmp_eq_u32_e32 vcc, 0, v7
	v_mov_b32_e32 v7, 0x7f800001
	v_cndmask_b32_e32 v0, v7, v0, vcc
; %bb.6329:                             ;   in Loop: Header=BB2_5776 Depth=3
	s_or_b64 exec, exec, s[68:69]
.LBB2_6330:                             ;   in Loop: Header=BB2_5776 Depth=3
	s_or_b64 exec, exec, s[28:29]
.LBB2_6331:                             ;   in Loop: Header=BB2_5776 Depth=3
	s_or_b64 exec, exec, s[30:31]
	v_cmp_lt_u32_e32 vcc, s43, v18
	s_and_saveexec_b64 s[28:29], vcc
	s_cbranch_execz .LBB2_6339
; %bb.6332:                             ;   in Loop: Header=BB2_5776 Depth=3
	v_cmp_ne_u32_e32 vcc, s97, v12
	v_bfrev_b32_e32 v6, 1
	s_and_saveexec_b64 s[30:31], vcc
	s_cbranch_execz .LBB2_6338
; %bb.6333:                             ;   in Loop: Header=BB2_5776 Depth=3
	v_and_b32_e32 v6, 0x7c000000, v18
	v_bfe_u32 v7, v18, 24, 2
	v_cmp_ne_u32_e32 vcc, s37, v6
                                        ; implicit-def: $vgpr6
	s_and_saveexec_b64 s[68:69], vcc
	s_xor_b64 s[68:69], exec, s[68:69]
	s_cbranch_execz .LBB2_6335
; %bb.6334:                             ;   in Loop: Header=BB2_5776 Depth=3
	v_ffbh_u32_e32 v13, v7
	v_min_u32_e32 v14, 32, v13
	v_subrev_u32_e32 v13, 29, v14
	v_bfe_u32 v6, v18, 26, 5
	v_lshlrev_b64 v[12:13], v13, v[12:13]
	v_sub_u32_e32 v13, 30, v14
	v_and_b32_e32 v12, 3, v12
	v_cmp_eq_u32_e32 vcc, 0, v6
	v_cndmask_b32_e32 v6, v6, v13, vcc
	v_cndmask_b32_e32 v7, v7, v12, vcc
	v_bfrev_b32_e32 v12, 28
	v_lshl_add_u32 v6, v6, 23, v12
	v_and_or_b32 v6, v18, s96, v6
	v_lshl_or_b32 v6, v7, 21, v6
                                        ; implicit-def: $vgpr7
.LBB2_6335:                             ;   in Loop: Header=BB2_5776 Depth=3
	s_andn2_saveexec_b64 s[68:69], s[68:69]
; %bb.6336:                             ;   in Loop: Header=BB2_5776 Depth=3
	v_cmp_lt_i32_e32 vcc, -1, v18
	v_mov_b32_e32 v6, 0xc7600000
	v_mov_b32_e32 v12, 0x47600000
	v_cndmask_b32_e32 v6, v6, v12, vcc
	v_cmp_eq_u32_e32 vcc, 0, v7
	v_mov_b32_e32 v7, 0x7f800001
	v_cndmask_b32_e32 v6, v7, v6, vcc
; %bb.6337:                             ;   in Loop: Header=BB2_5776 Depth=3
	s_or_b64 exec, exec, s[68:69]
.LBB2_6338:                             ;   in Loop: Header=BB2_5776 Depth=3
	s_or_b64 exec, exec, s[30:31]
.LBB2_6339:                             ;   in Loop: Header=BB2_5776 Depth=3
	s_or_b64 exec, exec, s[28:29]
	v_max_f32_e32 v6, v6, v6
	v_max_f32_e32 v0, v0, v0
	v_min_f32_e32 v6, v0, v6
.LBB2_6340:                             ;   in Loop: Header=BB2_5776 Depth=3
	v_and_b32_sdwa v0, v6, s97 dst_sel:DWORD dst_unused:UNUSED_PAD src0_sel:BYTE_3 src1_sel:DWORD
	v_and_b32_e32 v12, 0x7f800000, v6
	v_mov_b32_e32 v13, v51
	v_and_b32_e32 v50, 0x7fffff, v6
	v_or_b32_e32 v38, 0x7b, v0
	v_cmp_ne_u64_e32 vcc, s[52:53], v[12:13]
	s_and_saveexec_b64 s[28:29], vcc
	s_xor_b64 s[30:31], exec, s[28:29]
	s_cbranch_execz .LBB2_6350
; %bb.6341:                             ;   in Loop: Header=BB2_5776 Depth=3
	v_and_b32_e32 v12, 0x7fffffff, v6
	v_mov_b32_e32 v13, v51
	v_cmp_gt_u64_e32 vcc, s[54:55], v[12:13]
	s_and_saveexec_b64 s[68:69], vcc
	s_cbranch_execz .LBB2_6349
; %bb.6342:                             ;   in Loop: Header=BB2_5776 Depth=3
	v_cmp_ne_u32_e32 vcc, 0, v6
	v_mov_b32_e32 v38, 0
	s_and_saveexec_b64 s[70:71], vcc
	s_cbranch_execz .LBB2_6348
; %bb.6343:                             ;   in Loop: Header=BB2_5776 Depth=3
	v_bfe_u32 v6, v6, 23, 8
	v_sub_u32_e32 v12, 0x71, v6
	v_cmp_gt_u32_e32 vcc, s38, v6
	v_add_u32_e32 v7, 0xffffff81, v6
	v_cndmask_b32_e32 v12, 0, v12, vcc
	v_cmp_eq_u32_e32 vcc, 0, v6
	v_mov_b32_e32 v6, 0xffffff82
	v_cndmask_b32_e32 v14, v7, v6, vcc
	v_mov_b32_e32 v6, 0x70
	v_cndmask_b32_e32 v15, v12, v6, vcc
	v_add_u32_e32 v6, 21, v15
	v_or_b32_e32 v13, 0x800000, v50
	v_lshlrev_b64 v[6:7], v6, -1
	v_cndmask_b32_e32 v50, v13, v50, vcc
	v_not_b32_e32 v6, v6
	v_and_b32_e32 v12, v50, v6
	v_add_u32_e32 v6, 20, v15
	v_lshrrev_b64 v[30:31], v15, v[50:51]
	v_not_b32_e32 v7, v7
	v_lshlrev_b64 v[16:17], v6, 1
	v_lshrrev_b32_e32 v6, 23, v30
	v_and_b32_e32 v13, 0, v7
	v_add3_u32 v14, v15, v14, v6
	v_bfe_u32 v6, v30, 21, 1
	v_add_u32_e32 v6, -1, v6
	v_cmp_eq_u64_e32 vcc, v[12:13], v[16:17]
	v_cndmask_b32_e32 v6, 0, v6, vcc
	v_add_u32_e32 v6, v6, v30
	v_and_b32_e32 v6, 0x1fffff, v6
	v_add_co_u32_e32 v12, vcc, v6, v30
	v_add_u32_e32 v7, 14, v14
	v_addc_co_u32_e32 v13, vcc, 0, v31, vcc
	v_cmp_ne_u32_e32 vcc, 0, v7
                                        ; implicit-def: $vgpr6
	s_and_saveexec_b64 s[28:29], vcc
	s_xor_b64 s[28:29], exec, s[28:29]
; %bb.6344:                             ;   in Loop: Header=BB2_5776 Depth=3
	v_add_u32_e32 v6, 15, v14
	v_cmp_lt_u64_e32 vcc, s[56:57], v[12:13]
	v_cndmask_b32_e32 v6, v7, v6, vcc
	v_cndmask_b32_e64 v7, 0, 1, vcc
	v_lshrrev_b64 v[12:13], v7, v[12:13]
; %bb.6345:                             ;   in Loop: Header=BB2_5776 Depth=3
	s_andn2_saveexec_b64 s[28:29], s[28:29]
; %bb.6346:                             ;   in Loop: Header=BB2_5776 Depth=3
	v_bfe_u32 v6, v12, 23, 1
; %bb.6347:                             ;   in Loop: Header=BB2_5776 Depth=3
	s_or_b64 exec, exec, s[28:29]
	v_lshrrev_b64 v[12:13], 21, v[12:13]
	v_cmp_gt_i32_e32 vcc, 32, v6
	v_cndmask_b32_e32 v13, 0, v13, vcc
	v_cndmask_b32_e32 v12, 3, v12, vcc
	v_cmp_eq_u32_e32 vcc, 0, v6
	v_min_i32_e32 v6, 31, v6
	v_cmp_eq_u64_e64 s[28:29], 0, v[12:13]
	v_lshlrev_b32_e32 v6, 2, v6
	v_and_or_b32 v6, v12, 3, v6
	s_and_b64 s[28:29], vcc, s[28:29]
	v_cndmask_b32_e64 v6, v6, 0, s[28:29]
	v_or_b32_e32 v38, v6, v0
.LBB2_6348:                             ;   in Loop: Header=BB2_5776 Depth=3
	s_or_b64 exec, exec, s[70:71]
.LBB2_6349:                             ;   in Loop: Header=BB2_5776 Depth=3
	s_or_b64 exec, exec, s[68:69]
                                        ; implicit-def: $vgpr6
.LBB2_6350:                             ;   in Loop: Header=BB2_5776 Depth=3
	s_andn2_saveexec_b64 s[28:29], s[30:31]
; %bb.6351:                             ;   in Loop: Header=BB2_5776 Depth=3
	v_or_b32_sdwa v0, v6, s39 dst_sel:DWORD dst_unused:UNUSED_PAD src0_sel:BYTE_3 src1_sel:DWORD
	v_cmp_eq_u64_e32 vcc, 0, v[50:51]
	v_cndmask_b32_e32 v38, v0, v38, vcc
; %bb.6352:                             ;   in Loop: Header=BB2_5776 Depth=3
	s_or_b64 exec, exec, s[28:29]
	v_mov_b32_e32 v50, v23
	v_mov_b32_e32 v12, v19
	;; [unrolled: 1-line block ×3, first 2 shown]
	v_cmp_ne_u16_sdwa s[28:29], v23, v51 src0_sel:BYTE_0 src1_sel:DWORD
	s_and_b64 vcc, exec, s[66:67]
	s_cbranch_vccz .LBB2_6370
; %bb.6353:                             ;   in Loop: Header=BB2_5776 Depth=3
	v_mov_b32_e32 v6, 0
	v_mov_b32_e32 v0, 0
	s_and_saveexec_b64 s[30:31], s[28:29]
	s_cbranch_execz .LBB2_6361
; %bb.6354:                             ;   in Loop: Header=BB2_5776 Depth=3
	v_cmp_ne_u16_sdwa vcc, v23, s97 src0_sel:BYTE_0 src1_sel:DWORD
	v_bfrev_b32_e32 v0, 1
	s_and_saveexec_b64 s[68:69], vcc
	s_cbranch_execz .LBB2_6360
; %bb.6355:                             ;   in Loop: Header=BB2_5776 Depth=3
	v_and_b32_e32 v0, 0x7c, v23
	v_and_b32_e32 v7, 3, v23
	v_cmp_ne_u32_e32 vcc, s95, v0
                                        ; implicit-def: $vgpr0
	s_and_saveexec_b64 s[70:71], vcc
	s_xor_b64 s[70:71], exec, s[70:71]
	s_cbranch_execz .LBB2_6357
; %bb.6356:                             ;   in Loop: Header=BB2_5776 Depth=3
	v_ffbh_u32_e32 v14, v7
	v_min_u32_e32 v16, 32, v14
	v_subrev_u32_e32 v14, 29, v16
	v_bfe_u32 v0, v23, 2, 5
	v_lshlrev_b64 v[14:15], v14, v[50:51]
	v_sub_u32_e32 v15, 30, v16
	v_cmp_eq_u32_e32 vcc, 0, v0
	v_and_b32_e32 v14, 3, v14
	v_cndmask_b32_e32 v0, v0, v15, vcc
	v_bfrev_b32_e32 v15, 28
	v_cndmask_b32_e32 v7, v7, v14, vcc
	v_lshlrev_b32_e32 v14, 24, v23
	v_lshl_add_u32 v0, v0, 23, v15
	v_and_or_b32 v0, v14, s96, v0
	v_lshl_or_b32 v0, v7, 21, v0
                                        ; implicit-def: $vgpr7
.LBB2_6357:                             ;   in Loop: Header=BB2_5776 Depth=3
	s_andn2_saveexec_b64 s[70:71], s[70:71]
; %bb.6358:                             ;   in Loop: Header=BB2_5776 Depth=3
	v_mov_b32_e32 v0, -1
	v_cmp_gt_i16_sdwa vcc, sext(v23), v0 src0_sel:BYTE_0 src1_sel:DWORD
	v_mov_b32_e32 v0, 0xc7600000
	v_mov_b32_e32 v14, 0x47600000
	v_cndmask_b32_e32 v0, v0, v14, vcc
	v_cmp_eq_u32_e32 vcc, 0, v7
	v_mov_b32_e32 v7, 0x7f800001
	v_cndmask_b32_e32 v0, v7, v0, vcc
; %bb.6359:                             ;   in Loop: Header=BB2_5776 Depth=3
	s_or_b64 exec, exec, s[70:71]
.LBB2_6360:                             ;   in Loop: Header=BB2_5776 Depth=3
	s_or_b64 exec, exec, s[68:69]
.LBB2_6361:                             ;   in Loop: Header=BB2_5776 Depth=3
	s_or_b64 exec, exec, s[30:31]
	v_cmp_ne_u16_sdwa vcc, v19, v51 src0_sel:BYTE_0 src1_sel:DWORD
	s_and_saveexec_b64 s[30:31], vcc
	s_cbranch_execz .LBB2_6369
; %bb.6362:                             ;   in Loop: Header=BB2_5776 Depth=3
	v_cmp_ne_u16_sdwa vcc, v19, s97 src0_sel:BYTE_0 src1_sel:DWORD
	v_bfrev_b32_e32 v6, 1
	s_and_saveexec_b64 s[68:69], vcc
	s_cbranch_execz .LBB2_6368
; %bb.6363:                             ;   in Loop: Header=BB2_5776 Depth=3
	v_and_b32_e32 v6, 0x7c, v19
	v_and_b32_e32 v7, 3, v19
	v_cmp_ne_u32_e32 vcc, s95, v6
                                        ; implicit-def: $vgpr6
	s_and_saveexec_b64 s[70:71], vcc
	s_xor_b64 s[70:71], exec, s[70:71]
	s_cbranch_execz .LBB2_6365
; %bb.6364:                             ;   in Loop: Header=BB2_5776 Depth=3
	v_ffbh_u32_e32 v14, v7
	v_min_u32_e32 v16, 32, v14
	v_subrev_u32_e32 v14, 29, v16
	v_bfe_u32 v6, v19, 2, 5
	v_lshlrev_b64 v[14:15], v14, v[12:13]
	v_sub_u32_e32 v15, 30, v16
	v_cmp_eq_u32_e32 vcc, 0, v6
	v_and_b32_e32 v14, 3, v14
	v_cndmask_b32_e32 v6, v6, v15, vcc
	v_bfrev_b32_e32 v15, 28
	v_cndmask_b32_e32 v7, v7, v14, vcc
	v_lshlrev_b32_e32 v14, 24, v19
	v_lshl_add_u32 v6, v6, 23, v15
	v_and_or_b32 v6, v14, s96, v6
	v_lshl_or_b32 v6, v7, 21, v6
                                        ; implicit-def: $vgpr7
.LBB2_6365:                             ;   in Loop: Header=BB2_5776 Depth=3
	s_andn2_saveexec_b64 s[70:71], s[70:71]
; %bb.6366:                             ;   in Loop: Header=BB2_5776 Depth=3
	v_mov_b32_e32 v6, -1
	v_cmp_gt_i16_sdwa vcc, sext(v19), v6 src0_sel:BYTE_0 src1_sel:DWORD
	v_mov_b32_e32 v6, 0xc7600000
	v_mov_b32_e32 v14, 0x47600000
	v_cndmask_b32_e32 v6, v6, v14, vcc
	v_cmp_eq_u32_e32 vcc, 0, v7
	v_mov_b32_e32 v7, 0x7f800001
	v_cndmask_b32_e32 v6, v7, v6, vcc
; %bb.6367:                             ;   in Loop: Header=BB2_5776 Depth=3
	s_or_b64 exec, exec, s[70:71]
.LBB2_6368:                             ;   in Loop: Header=BB2_5776 Depth=3
	s_or_b64 exec, exec, s[68:69]
.LBB2_6369:                             ;   in Loop: Header=BB2_5776 Depth=3
	s_or_b64 exec, exec, s[30:31]
	v_max_f32_e32 v6, v6, v6
	v_max_f32_e32 v0, v0, v0
	;; [unrolled: 1-line block ×3, first 2 shown]
	s_branch .LBB2_6388
.LBB2_6370:                             ;   in Loop: Header=BB2_5776 Depth=3
                                        ; implicit-def: $vgpr6
	s_cbranch_execz .LBB2_6388
; %bb.6371:                             ;   in Loop: Header=BB2_5776 Depth=3
	v_mov_b32_e32 v6, 0
	v_mov_b32_e32 v0, 0
	s_and_saveexec_b64 s[30:31], s[28:29]
	s_cbranch_execz .LBB2_6379
; %bb.6372:                             ;   in Loop: Header=BB2_5776 Depth=3
	v_cmp_ne_u16_sdwa vcc, v23, s97 src0_sel:BYTE_0 src1_sel:DWORD
	v_bfrev_b32_e32 v0, 1
	s_and_saveexec_b64 s[28:29], vcc
	s_cbranch_execz .LBB2_6378
; %bb.6373:                             ;   in Loop: Header=BB2_5776 Depth=3
	v_and_b32_e32 v0, 0x7c, v23
	v_and_b32_e32 v7, 3, v23
	v_cmp_ne_u32_e32 vcc, s95, v0
                                        ; implicit-def: $vgpr0
	s_and_saveexec_b64 s[68:69], vcc
	s_xor_b64 s[68:69], exec, s[68:69]
	s_cbranch_execz .LBB2_6375
; %bb.6374:                             ;   in Loop: Header=BB2_5776 Depth=3
	v_ffbh_u32_e32 v14, v7
	v_min_u32_e32 v16, 32, v14
	v_subrev_u32_e32 v14, 29, v16
	v_bfe_u32 v0, v23, 2, 5
	v_lshlrev_b64 v[14:15], v14, v[50:51]
	v_sub_u32_e32 v15, 30, v16
	v_cmp_eq_u32_e32 vcc, 0, v0
	v_and_b32_e32 v14, 3, v14
	v_cndmask_b32_e32 v0, v0, v15, vcc
	v_bfrev_b32_e32 v15, 28
	v_cndmask_b32_e32 v7, v7, v14, vcc
	v_lshlrev_b32_e32 v14, 24, v23
	v_lshl_add_u32 v0, v0, 23, v15
	v_and_or_b32 v0, v14, s96, v0
	v_lshl_or_b32 v0, v7, 21, v0
                                        ; implicit-def: $vgpr7
.LBB2_6375:                             ;   in Loop: Header=BB2_5776 Depth=3
	s_andn2_saveexec_b64 s[68:69], s[68:69]
; %bb.6376:                             ;   in Loop: Header=BB2_5776 Depth=3
	v_mov_b32_e32 v0, -1
	v_cmp_gt_i16_sdwa vcc, sext(v23), v0 src0_sel:BYTE_0 src1_sel:DWORD
	v_mov_b32_e32 v0, 0xc7600000
	v_mov_b32_e32 v14, 0x47600000
	v_cndmask_b32_e32 v0, v0, v14, vcc
	v_cmp_eq_u32_e32 vcc, 0, v7
	v_mov_b32_e32 v7, 0x7f800001
	v_cndmask_b32_e32 v0, v7, v0, vcc
; %bb.6377:                             ;   in Loop: Header=BB2_5776 Depth=3
	s_or_b64 exec, exec, s[68:69]
.LBB2_6378:                             ;   in Loop: Header=BB2_5776 Depth=3
	s_or_b64 exec, exec, s[28:29]
.LBB2_6379:                             ;   in Loop: Header=BB2_5776 Depth=3
	s_or_b64 exec, exec, s[30:31]
	v_cmp_ne_u16_sdwa vcc, v19, v51 src0_sel:BYTE_0 src1_sel:DWORD
	s_and_saveexec_b64 s[28:29], vcc
	s_cbranch_execz .LBB2_6387
; %bb.6380:                             ;   in Loop: Header=BB2_5776 Depth=3
	v_cmp_ne_u16_sdwa vcc, v19, s97 src0_sel:BYTE_0 src1_sel:DWORD
	v_bfrev_b32_e32 v6, 1
	s_and_saveexec_b64 s[30:31], vcc
	s_cbranch_execz .LBB2_6386
; %bb.6381:                             ;   in Loop: Header=BB2_5776 Depth=3
	v_and_b32_e32 v6, 0x7c, v19
	v_and_b32_e32 v7, 3, v19
	v_cmp_ne_u32_e32 vcc, s95, v6
                                        ; implicit-def: $vgpr6
	s_and_saveexec_b64 s[68:69], vcc
	s_xor_b64 s[68:69], exec, s[68:69]
	s_cbranch_execz .LBB2_6383
; %bb.6382:                             ;   in Loop: Header=BB2_5776 Depth=3
	v_ffbh_u32_e32 v14, v7
	v_min_u32_e32 v16, 32, v14
	v_subrev_u32_e32 v14, 29, v16
	v_bfe_u32 v6, v19, 2, 5
	v_lshlrev_b64 v[14:15], v14, v[12:13]
	v_sub_u32_e32 v13, 30, v16
	v_and_b32_e32 v14, 3, v14
	v_cmp_eq_u32_e32 vcc, 0, v6
	v_cndmask_b32_e32 v6, v6, v13, vcc
	v_cndmask_b32_e32 v7, v7, v14, vcc
	v_bfrev_b32_e32 v14, 28
	v_lshlrev_b32_e32 v13, 24, v19
	v_lshl_add_u32 v6, v6, 23, v14
	v_and_or_b32 v6, v13, s96, v6
	v_lshl_or_b32 v6, v7, 21, v6
                                        ; implicit-def: $vgpr7
.LBB2_6383:                             ;   in Loop: Header=BB2_5776 Depth=3
	s_andn2_saveexec_b64 s[68:69], s[68:69]
; %bb.6384:                             ;   in Loop: Header=BB2_5776 Depth=3
	v_mov_b32_e32 v6, -1
	v_cmp_gt_i16_sdwa vcc, sext(v19), v6 src0_sel:BYTE_0 src1_sel:DWORD
	v_mov_b32_e32 v6, 0xc7600000
	v_mov_b32_e32 v13, 0x47600000
	v_cndmask_b32_e32 v6, v6, v13, vcc
	v_cmp_eq_u32_e32 vcc, 0, v7
	v_mov_b32_e32 v7, 0x7f800001
	v_cndmask_b32_e32 v6, v7, v6, vcc
; %bb.6385:                             ;   in Loop: Header=BB2_5776 Depth=3
	s_or_b64 exec, exec, s[68:69]
.LBB2_6386:                             ;   in Loop: Header=BB2_5776 Depth=3
	s_or_b64 exec, exec, s[30:31]
.LBB2_6387:                             ;   in Loop: Header=BB2_5776 Depth=3
	s_or_b64 exec, exec, s[28:29]
	v_max_f32_e32 v6, v6, v6
	v_max_f32_e32 v0, v0, v0
	v_min_f32_e32 v6, v0, v6
.LBB2_6388:                             ;   in Loop: Header=BB2_5776 Depth=3
	v_and_b32_sdwa v0, v6, s97 dst_sel:DWORD dst_unused:UNUSED_PAD src0_sel:BYTE_3 src1_sel:DWORD
	v_and_b32_e32 v16, 0x7f800000, v6
	v_mov_b32_e32 v17, v51
	v_and_b32_e32 v14, 0x7fffff, v6
	v_mov_b32_e32 v15, v51
	v_or_b32_e32 v39, 0x7b, v0
	v_cmp_ne_u64_e32 vcc, s[52:53], v[16:17]
	s_and_saveexec_b64 s[28:29], vcc
	s_xor_b64 s[30:31], exec, s[28:29]
	s_cbranch_execz .LBB2_6398
; %bb.6389:                             ;   in Loop: Header=BB2_5776 Depth=3
	v_and_b32_e32 v16, 0x7fffffff, v6
	v_mov_b32_e32 v17, v51
	v_cmp_gt_u64_e32 vcc, s[54:55], v[16:17]
	s_and_saveexec_b64 s[68:69], vcc
	s_cbranch_execz .LBB2_6397
; %bb.6390:                             ;   in Loop: Header=BB2_5776 Depth=3
	v_cmp_ne_u32_e32 vcc, 0, v6
	v_mov_b32_e32 v39, 0
	s_and_saveexec_b64 s[70:71], vcc
	s_cbranch_execz .LBB2_6396
; %bb.6391:                             ;   in Loop: Header=BB2_5776 Depth=3
	v_bfe_u32 v6, v6, 23, 8
	v_sub_u32_e32 v13, 0x71, v6
	v_cmp_gt_u32_e32 vcc, s38, v6
	v_add_u32_e32 v7, 0xffffff81, v6
	v_cndmask_b32_e32 v13, 0, v13, vcc
	v_cmp_eq_u32_e32 vcc, 0, v6
	v_mov_b32_e32 v6, 0xffffff82
	v_cndmask_b32_e32 v24, v7, v6, vcc
	v_mov_b32_e32 v6, 0x70
	v_cndmask_b32_e32 v13, v13, v6, vcc
	v_add_u32_e32 v6, 21, v13
	v_or_b32_e32 v16, 0x800000, v14
	v_lshlrev_b64 v[6:7], v6, -1
	v_cndmask_b32_e32 v14, v16, v14, vcc
	v_not_b32_e32 v6, v6
	v_and_b32_e32 v16, v14, v6
	v_add_u32_e32 v6, 20, v13
	v_lshrrev_b64 v[14:15], v13, v[14:15]
	v_not_b32_e32 v7, v7
	v_lshlrev_b64 v[30:31], v6, 1
	v_lshrrev_b32_e32 v6, 23, v14
	v_and_b32_e32 v17, 0, v7
	v_add3_u32 v13, v13, v24, v6
	v_bfe_u32 v6, v14, 21, 1
	v_add_u32_e32 v6, -1, v6
	v_cmp_eq_u64_e32 vcc, v[16:17], v[30:31]
	v_cndmask_b32_e32 v6, 0, v6, vcc
	v_add_u32_e32 v6, v6, v14
	v_and_b32_e32 v6, 0x1fffff, v6
	v_add_co_u32_e32 v14, vcc, v6, v14
	v_add_u32_e32 v7, 14, v13
	v_addc_co_u32_e32 v15, vcc, 0, v15, vcc
	v_cmp_ne_u32_e32 vcc, 0, v7
                                        ; implicit-def: $vgpr6
	s_and_saveexec_b64 s[28:29], vcc
	s_xor_b64 s[28:29], exec, s[28:29]
; %bb.6392:                             ;   in Loop: Header=BB2_5776 Depth=3
	v_add_u32_e32 v6, 15, v13
	v_cmp_lt_u64_e32 vcc, s[56:57], v[14:15]
	v_cndmask_b32_e32 v6, v7, v6, vcc
	v_cndmask_b32_e64 v7, 0, 1, vcc
	v_lshrrev_b64 v[14:15], v7, v[14:15]
; %bb.6393:                             ;   in Loop: Header=BB2_5776 Depth=3
	s_andn2_saveexec_b64 s[28:29], s[28:29]
; %bb.6394:                             ;   in Loop: Header=BB2_5776 Depth=3
	v_bfe_u32 v6, v14, 23, 1
; %bb.6395:                             ;   in Loop: Header=BB2_5776 Depth=3
	s_or_b64 exec, exec, s[28:29]
	v_lshrrev_b64 v[14:15], 21, v[14:15]
	v_cmp_gt_i32_e32 vcc, 32, v6
	v_cndmask_b32_e32 v15, 0, v15, vcc
	v_cndmask_b32_e32 v14, 3, v14, vcc
	v_cmp_eq_u32_e32 vcc, 0, v6
	v_min_i32_e32 v6, 31, v6
	v_cmp_eq_u64_e64 s[28:29], 0, v[14:15]
	v_lshlrev_b32_e32 v6, 2, v6
	v_and_or_b32 v6, v14, 3, v6
	s_and_b64 s[28:29], vcc, s[28:29]
	v_cndmask_b32_e64 v6, v6, 0, s[28:29]
	v_or_b32_e32 v39, v6, v0
.LBB2_6396:                             ;   in Loop: Header=BB2_5776 Depth=3
	s_or_b64 exec, exec, s[70:71]
.LBB2_6397:                             ;   in Loop: Header=BB2_5776 Depth=3
	s_or_b64 exec, exec, s[68:69]
                                        ; implicit-def: $vgpr6
                                        ; implicit-def: $vgpr14_vgpr15
.LBB2_6398:                             ;   in Loop: Header=BB2_5776 Depth=3
	s_andn2_saveexec_b64 s[28:29], s[30:31]
; %bb.6399:                             ;   in Loop: Header=BB2_5776 Depth=3
	v_or_b32_sdwa v0, v6, s39 dst_sel:DWORD dst_unused:UNUSED_PAD src0_sel:BYTE_3 src1_sel:DWORD
	v_cmp_eq_u64_e32 vcc, 0, v[14:15]
	v_cndmask_b32_e32 v39, v0, v39, vcc
; %bb.6400:                             ;   in Loop: Header=BB2_5776 Depth=3
	s_or_b64 exec, exec, s[28:29]
	v_lshrrev_b16_e32 v14, 8, v50
	v_lshrrev_b16_e32 v16, 8, v12
	v_cmp_ne_u16_e64 s[28:29], 0, v14
	s_and_b64 vcc, exec, s[66:67]
	s_cbranch_vccz .LBB2_6418
; %bb.6401:                             ;   in Loop: Header=BB2_5776 Depth=3
	v_mov_b32_e32 v6, 0
	v_mov_b32_e32 v0, 0
	s_and_saveexec_b64 s[30:31], s[28:29]
	s_cbranch_execz .LBB2_6409
; %bb.6402:                             ;   in Loop: Header=BB2_5776 Depth=3
	v_cmp_ne_u16_e32 vcc, s97, v14
	v_bfrev_b32_e32 v0, 1
	s_and_saveexec_b64 s[68:69], vcc
	s_cbranch_execz .LBB2_6408
; %bb.6403:                             ;   in Loop: Header=BB2_5776 Depth=3
	v_and_b32_e32 v0, 0x7c, v14
	v_and_b32_e32 v7, 3, v14
	v_cmp_ne_u32_e32 vcc, s95, v0
                                        ; implicit-def: $vgpr0
	s_and_saveexec_b64 s[70:71], vcc
	s_xor_b64 s[70:71], exec, s[70:71]
	s_cbranch_execz .LBB2_6405
; %bb.6404:                             ;   in Loop: Header=BB2_5776 Depth=3
	v_ffbh_u32_e32 v13, v7
	v_min_u32_e32 v13, 32, v13
	v_mov_b32_e32 v15, v51
	v_subrev_u32_e32 v17, 29, v13
	v_bfe_u32 v0, v14, 2, 5
	v_lshlrev_b64 v[30:31], v17, v[14:15]
	v_sub_u32_e32 v13, 30, v13
	v_and_b32_e32 v15, 3, v30
	v_cmp_eq_u32_e32 vcc, 0, v0
	v_cndmask_b32_e32 v0, v0, v13, vcc
	v_cndmask_b32_e32 v7, v7, v15, vcc
	v_bfrev_b32_e32 v15, 28
	v_lshlrev_b32_e32 v13, 16, v50
	v_lshl_add_u32 v0, v0, 23, v15
	v_and_or_b32 v0, v13, s96, v0
	v_lshl_or_b32 v0, v7, 21, v0
                                        ; implicit-def: $vgpr7
.LBB2_6405:                             ;   in Loop: Header=BB2_5776 Depth=3
	s_andn2_saveexec_b64 s[70:71], s[70:71]
; %bb.6406:                             ;   in Loop: Header=BB2_5776 Depth=3
	v_cmp_lt_i16_e32 vcc, -1, v50
	v_mov_b32_e32 v0, 0xc7600000
	v_mov_b32_e32 v13, 0x47600000
	v_cndmask_b32_e32 v0, v0, v13, vcc
	v_cmp_eq_u32_e32 vcc, 0, v7
	v_mov_b32_e32 v7, 0x7f800001
	v_cndmask_b32_e32 v0, v7, v0, vcc
; %bb.6407:                             ;   in Loop: Header=BB2_5776 Depth=3
	s_or_b64 exec, exec, s[70:71]
.LBB2_6408:                             ;   in Loop: Header=BB2_5776 Depth=3
	s_or_b64 exec, exec, s[68:69]
.LBB2_6409:                             ;   in Loop: Header=BB2_5776 Depth=3
	s_or_b64 exec, exec, s[30:31]
	v_cmp_ne_u16_e32 vcc, 0, v16
	s_and_saveexec_b64 s[30:31], vcc
	s_cbranch_execz .LBB2_6417
; %bb.6410:                             ;   in Loop: Header=BB2_5776 Depth=3
	v_cmp_ne_u16_e32 vcc, s97, v16
	v_bfrev_b32_e32 v6, 1
	s_and_saveexec_b64 s[68:69], vcc
	s_cbranch_execz .LBB2_6416
; %bb.6411:                             ;   in Loop: Header=BB2_5776 Depth=3
	v_and_b32_e32 v6, 0x7c, v16
	v_and_b32_e32 v7, 3, v16
	v_cmp_ne_u32_e32 vcc, s95, v6
                                        ; implicit-def: $vgpr6
	s_and_saveexec_b64 s[70:71], vcc
	s_xor_b64 s[70:71], exec, s[70:71]
	s_cbranch_execz .LBB2_6413
; %bb.6412:                             ;   in Loop: Header=BB2_5776 Depth=3
	v_ffbh_u32_e32 v13, v7
	v_min_u32_e32 v13, 32, v13
	v_mov_b32_e32 v17, v51
	v_subrev_u32_e32 v15, 29, v13
	v_bfe_u32 v6, v16, 2, 5
	v_lshlrev_b64 v[30:31], v15, v[16:17]
	v_sub_u32_e32 v13, 30, v13
	v_and_b32_e32 v15, 3, v30
	v_cmp_eq_u32_e32 vcc, 0, v6
	v_cndmask_b32_e32 v6, v6, v13, vcc
	v_cndmask_b32_e32 v7, v7, v15, vcc
	v_bfrev_b32_e32 v15, 28
	v_lshlrev_b32_e32 v13, 16, v12
	v_lshl_add_u32 v6, v6, 23, v15
	v_and_or_b32 v6, v13, s96, v6
	v_lshl_or_b32 v6, v7, 21, v6
                                        ; implicit-def: $vgpr7
.LBB2_6413:                             ;   in Loop: Header=BB2_5776 Depth=3
	s_andn2_saveexec_b64 s[70:71], s[70:71]
; %bb.6414:                             ;   in Loop: Header=BB2_5776 Depth=3
	v_cmp_lt_i16_e32 vcc, -1, v12
	v_mov_b32_e32 v6, 0xc7600000
	v_mov_b32_e32 v13, 0x47600000
	v_cndmask_b32_e32 v6, v6, v13, vcc
	v_cmp_eq_u32_e32 vcc, 0, v7
	v_mov_b32_e32 v7, 0x7f800001
	v_cndmask_b32_e32 v6, v7, v6, vcc
; %bb.6415:                             ;   in Loop: Header=BB2_5776 Depth=3
	s_or_b64 exec, exec, s[70:71]
.LBB2_6416:                             ;   in Loop: Header=BB2_5776 Depth=3
	s_or_b64 exec, exec, s[68:69]
.LBB2_6417:                             ;   in Loop: Header=BB2_5776 Depth=3
	s_or_b64 exec, exec, s[30:31]
	v_max_f32_e32 v6, v6, v6
	v_max_f32_e32 v0, v0, v0
	;; [unrolled: 1-line block ×3, first 2 shown]
	s_branch .LBB2_6436
.LBB2_6418:                             ;   in Loop: Header=BB2_5776 Depth=3
                                        ; implicit-def: $vgpr7
	s_cbranch_execz .LBB2_6436
; %bb.6419:                             ;   in Loop: Header=BB2_5776 Depth=3
	v_mov_b32_e32 v6, 0
	v_mov_b32_e32 v0, 0
	s_and_saveexec_b64 s[30:31], s[28:29]
	s_cbranch_execz .LBB2_6427
; %bb.6420:                             ;   in Loop: Header=BB2_5776 Depth=3
	v_cmp_ne_u16_e32 vcc, s97, v14
	v_bfrev_b32_e32 v0, 1
	s_and_saveexec_b64 s[28:29], vcc
	s_cbranch_execz .LBB2_6426
; %bb.6421:                             ;   in Loop: Header=BB2_5776 Depth=3
	v_and_b32_e32 v0, 0x7c, v14
	v_and_b32_e32 v7, 3, v14
	v_cmp_ne_u32_e32 vcc, s95, v0
                                        ; implicit-def: $vgpr0
	s_and_saveexec_b64 s[68:69], vcc
	s_xor_b64 s[68:69], exec, s[68:69]
	s_cbranch_execz .LBB2_6423
; %bb.6422:                             ;   in Loop: Header=BB2_5776 Depth=3
	v_ffbh_u32_e32 v13, v7
	v_min_u32_e32 v13, 32, v13
	v_mov_b32_e32 v15, v51
	v_subrev_u32_e32 v17, 29, v13
	v_bfe_u32 v0, v14, 2, 5
	v_lshlrev_b64 v[14:15], v17, v[14:15]
	v_sub_u32_e32 v13, 30, v13
	v_and_b32_e32 v14, 3, v14
	v_cmp_eq_u32_e32 vcc, 0, v0
	v_cndmask_b32_e32 v0, v0, v13, vcc
	v_cndmask_b32_e32 v7, v7, v14, vcc
	v_bfrev_b32_e32 v14, 28
	v_lshlrev_b32_e32 v13, 16, v50
	v_lshl_add_u32 v0, v0, 23, v14
	v_and_or_b32 v0, v13, s96, v0
	v_lshl_or_b32 v0, v7, 21, v0
                                        ; implicit-def: $vgpr7
.LBB2_6423:                             ;   in Loop: Header=BB2_5776 Depth=3
	s_andn2_saveexec_b64 s[68:69], s[68:69]
; %bb.6424:                             ;   in Loop: Header=BB2_5776 Depth=3
	v_cmp_lt_i16_e32 vcc, -1, v50
	v_mov_b32_e32 v0, 0xc7600000
	v_mov_b32_e32 v13, 0x47600000
	v_cndmask_b32_e32 v0, v0, v13, vcc
	v_cmp_eq_u32_e32 vcc, 0, v7
	v_mov_b32_e32 v7, 0x7f800001
	v_cndmask_b32_e32 v0, v7, v0, vcc
; %bb.6425:                             ;   in Loop: Header=BB2_5776 Depth=3
	s_or_b64 exec, exec, s[68:69]
.LBB2_6426:                             ;   in Loop: Header=BB2_5776 Depth=3
	s_or_b64 exec, exec, s[28:29]
.LBB2_6427:                             ;   in Loop: Header=BB2_5776 Depth=3
	s_or_b64 exec, exec, s[30:31]
	v_cmp_ne_u16_e32 vcc, 0, v16
	s_and_saveexec_b64 s[28:29], vcc
	s_cbranch_execz .LBB2_6435
; %bb.6428:                             ;   in Loop: Header=BB2_5776 Depth=3
	v_cmp_ne_u16_e32 vcc, s97, v16
	v_bfrev_b32_e32 v6, 1
	s_and_saveexec_b64 s[30:31], vcc
	s_cbranch_execz .LBB2_6434
; %bb.6429:                             ;   in Loop: Header=BB2_5776 Depth=3
	v_and_b32_e32 v6, 0x7c, v16
	v_and_b32_e32 v7, 3, v16
	v_cmp_ne_u32_e32 vcc, s95, v6
                                        ; implicit-def: $vgpr6
	s_and_saveexec_b64 s[68:69], vcc
	s_xor_b64 s[68:69], exec, s[68:69]
	s_cbranch_execz .LBB2_6431
; %bb.6430:                             ;   in Loop: Header=BB2_5776 Depth=3
	v_ffbh_u32_e32 v13, v7
	v_bfe_u32 v6, v16, 2, 5
	v_min_u32_e32 v13, 32, v13
	v_mov_b32_e32 v17, v51
	v_subrev_u32_e32 v14, 29, v13
	v_sub_u32_e32 v13, 30, v13
	v_cmp_eq_u32_e32 vcc, 0, v6
	v_lshlrev_b64 v[14:15], v14, v[16:17]
	v_cndmask_b32_e32 v6, v6, v13, vcc
	v_bfrev_b32_e32 v13, 28
	v_and_b32_e32 v14, 3, v14
	v_lshlrev_b32_e32 v12, 16, v12
	v_lshl_add_u32 v6, v6, 23, v13
	v_cndmask_b32_e32 v7, v7, v14, vcc
	v_and_or_b32 v6, v12, s96, v6
	v_lshl_or_b32 v6, v7, 21, v6
                                        ; implicit-def: $vgpr7
                                        ; implicit-def: $vgpr12_vgpr13
.LBB2_6431:                             ;   in Loop: Header=BB2_5776 Depth=3
	s_andn2_saveexec_b64 s[68:69], s[68:69]
; %bb.6432:                             ;   in Loop: Header=BB2_5776 Depth=3
	v_cmp_lt_i16_e32 vcc, -1, v12
	v_mov_b32_e32 v6, 0xc7600000
	v_mov_b32_e32 v12, 0x47600000
	v_cndmask_b32_e32 v6, v6, v12, vcc
	v_cmp_eq_u32_e32 vcc, 0, v7
	v_mov_b32_e32 v7, 0x7f800001
	v_cndmask_b32_e32 v6, v7, v6, vcc
; %bb.6433:                             ;   in Loop: Header=BB2_5776 Depth=3
	s_or_b64 exec, exec, s[68:69]
.LBB2_6434:                             ;   in Loop: Header=BB2_5776 Depth=3
	s_or_b64 exec, exec, s[30:31]
.LBB2_6435:                             ;   in Loop: Header=BB2_5776 Depth=3
	s_or_b64 exec, exec, s[28:29]
	v_max_f32_e32 v6, v6, v6
	v_max_f32_e32 v0, v0, v0
	v_min_f32_e32 v7, v0, v6
.LBB2_6436:                             ;   in Loop: Header=BB2_5776 Depth=3
	v_and_b32_sdwa v0, v7, s97 dst_sel:DWORD dst_unused:UNUSED_PAD src0_sel:BYTE_3 src1_sel:DWORD
	v_and_b32_e32 v12, 0x7f800000, v7
	v_mov_b32_e32 v13, v51
	v_and_b32_e32 v50, 0x7fffff, v7
	v_or_b32_e32 v6, 0x7b, v0
	v_cmp_ne_u64_e32 vcc, s[52:53], v[12:13]
	s_and_saveexec_b64 s[28:29], vcc
	s_xor_b64 s[30:31], exec, s[28:29]
	s_cbranch_execz .LBB2_6446
; %bb.6437:                             ;   in Loop: Header=BB2_5776 Depth=3
	v_and_b32_e32 v12, 0x7fffffff, v7
	v_mov_b32_e32 v13, v51
	v_cmp_gt_u64_e32 vcc, s[54:55], v[12:13]
	s_and_saveexec_b64 s[68:69], vcc
	s_cbranch_execz .LBB2_6445
; %bb.6438:                             ;   in Loop: Header=BB2_5776 Depth=3
	v_cmp_ne_u32_e32 vcc, 0, v7
	v_mov_b32_e32 v6, 0
	s_and_saveexec_b64 s[70:71], vcc
	s_cbranch_execz .LBB2_6444
; %bb.6439:                             ;   in Loop: Header=BB2_5776 Depth=3
	v_bfe_u32 v6, v7, 23, 8
	v_sub_u32_e32 v12, 0x71, v6
	v_cmp_gt_u32_e32 vcc, s38, v6
	v_add_u32_e32 v7, 0xffffff81, v6
	v_cndmask_b32_e32 v12, 0, v12, vcc
	v_cmp_eq_u32_e32 vcc, 0, v6
	v_mov_b32_e32 v6, 0xffffff82
	v_cndmask_b32_e32 v14, v7, v6, vcc
	v_mov_b32_e32 v6, 0x70
	v_cndmask_b32_e32 v15, v12, v6, vcc
	v_add_u32_e32 v6, 21, v15
	v_or_b32_e32 v13, 0x800000, v50
	v_lshlrev_b64 v[6:7], v6, -1
	v_cndmask_b32_e32 v50, v13, v50, vcc
	v_not_b32_e32 v6, v6
	v_and_b32_e32 v12, v50, v6
	v_add_u32_e32 v6, 20, v15
	v_lshrrev_b64 v[30:31], v15, v[50:51]
	v_not_b32_e32 v7, v7
	v_lshlrev_b64 v[16:17], v6, 1
	v_lshrrev_b32_e32 v6, 23, v30
	v_and_b32_e32 v13, 0, v7
	v_add3_u32 v14, v15, v14, v6
	v_bfe_u32 v6, v30, 21, 1
	v_add_u32_e32 v6, -1, v6
	v_cmp_eq_u64_e32 vcc, v[12:13], v[16:17]
	v_cndmask_b32_e32 v6, 0, v6, vcc
	v_add_u32_e32 v6, v6, v30
	v_and_b32_e32 v6, 0x1fffff, v6
	v_add_co_u32_e32 v12, vcc, v6, v30
	v_add_u32_e32 v7, 14, v14
	v_addc_co_u32_e32 v13, vcc, 0, v31, vcc
	v_cmp_ne_u32_e32 vcc, 0, v7
                                        ; implicit-def: $vgpr6
	s_and_saveexec_b64 s[28:29], vcc
	s_xor_b64 s[28:29], exec, s[28:29]
; %bb.6440:                             ;   in Loop: Header=BB2_5776 Depth=3
	v_add_u32_e32 v6, 15, v14
	v_cmp_lt_u64_e32 vcc, s[56:57], v[12:13]
	v_cndmask_b32_e32 v6, v7, v6, vcc
	v_cndmask_b32_e64 v7, 0, 1, vcc
	v_lshrrev_b64 v[12:13], v7, v[12:13]
; %bb.6441:                             ;   in Loop: Header=BB2_5776 Depth=3
	s_andn2_saveexec_b64 s[28:29], s[28:29]
; %bb.6442:                             ;   in Loop: Header=BB2_5776 Depth=3
	v_bfe_u32 v6, v12, 23, 1
; %bb.6443:                             ;   in Loop: Header=BB2_5776 Depth=3
	s_or_b64 exec, exec, s[28:29]
	v_lshrrev_b64 v[12:13], 21, v[12:13]
	v_cmp_gt_i32_e32 vcc, 32, v6
	v_cndmask_b32_e32 v13, 0, v13, vcc
	v_cndmask_b32_e32 v12, 3, v12, vcc
	v_cmp_eq_u32_e32 vcc, 0, v6
	v_min_i32_e32 v6, 31, v6
	v_cmp_eq_u64_e64 s[28:29], 0, v[12:13]
	v_lshlrev_b32_e32 v6, 2, v6
	v_and_or_b32 v6, v12, 3, v6
	s_and_b64 s[28:29], vcc, s[28:29]
	v_cndmask_b32_e64 v6, v6, 0, s[28:29]
	v_or_b32_e32 v6, v6, v0
.LBB2_6444:                             ;   in Loop: Header=BB2_5776 Depth=3
	s_or_b64 exec, exec, s[70:71]
.LBB2_6445:                             ;   in Loop: Header=BB2_5776 Depth=3
	s_or_b64 exec, exec, s[68:69]
                                        ; implicit-def: $vgpr7
.LBB2_6446:                             ;   in Loop: Header=BB2_5776 Depth=3
	s_andn2_saveexec_b64 s[28:29], s[30:31]
; %bb.6447:                             ;   in Loop: Header=BB2_5776 Depth=3
	v_or_b32_sdwa v0, v7, s39 dst_sel:DWORD dst_unused:UNUSED_PAD src0_sel:BYTE_3 src1_sel:DWORD
	v_cmp_eq_u64_e32 vcc, 0, v[50:51]
	v_cndmask_b32_e32 v6, v0, v6, vcc
; %bb.6448:                             ;   in Loop: Header=BB2_5776 Depth=3
	s_or_b64 exec, exec, s[28:29]
	v_lshrrev_b32_e32 v14, 16, v23
	v_lshrrev_b32_e32 v12, 16, v19
	v_cmp_ne_u16_sdwa s[28:29], v14, v51 src0_sel:BYTE_0 src1_sel:DWORD
	s_and_b64 vcc, exec, s[66:67]
	s_cbranch_vccz .LBB2_6466
; %bb.6449:                             ;   in Loop: Header=BB2_5776 Depth=3
	v_mov_b32_e32 v7, 0
	v_mov_b32_e32 v0, 0
	s_and_saveexec_b64 s[30:31], s[28:29]
	s_cbranch_execz .LBB2_6457
; %bb.6450:                             ;   in Loop: Header=BB2_5776 Depth=3
	v_cmp_ne_u16_sdwa vcc, v14, s97 src0_sel:BYTE_0 src1_sel:DWORD
	v_bfrev_b32_e32 v0, 1
	s_and_saveexec_b64 s[68:69], vcc
	s_cbranch_execz .LBB2_6456
; %bb.6451:                             ;   in Loop: Header=BB2_5776 Depth=3
	v_and_b32_e32 v0, 0x7c0000, v23
	v_bfe_u32 v13, v23, 16, 2
	v_cmp_ne_u32_e32 vcc, s36, v0
                                        ; implicit-def: $vgpr0
	s_and_saveexec_b64 s[70:71], vcc
	s_xor_b64 s[70:71], exec, s[70:71]
	s_cbranch_execz .LBB2_6453
; %bb.6452:                             ;   in Loop: Header=BB2_5776 Depth=3
	v_ffbh_u32_e32 v15, v13
	v_min_u32_e32 v15, 32, v15
	v_subrev_u32_e32 v16, 29, v15
	v_bfe_u32 v0, v23, 18, 5
	v_lshlrev_b64 v[16:17], v16, v[14:15]
	v_sub_u32_e32 v15, 30, v15
	v_and_b32_e32 v16, 3, v16
	v_cmp_eq_u32_e32 vcc, 0, v0
	v_cndmask_b32_e32 v0, v0, v15, vcc
	v_cndmask_b32_e32 v13, v13, v16, vcc
	v_bfrev_b32_e32 v16, 28
	v_lshlrev_b32_e32 v15, 24, v14
	v_lshl_add_u32 v0, v0, 23, v16
	v_and_or_b32 v0, v15, s96, v0
	v_lshl_or_b32 v0, v13, 21, v0
                                        ; implicit-def: $vgpr13
.LBB2_6453:                             ;   in Loop: Header=BB2_5776 Depth=3
	s_andn2_saveexec_b64 s[70:71], s[70:71]
; %bb.6454:                             ;   in Loop: Header=BB2_5776 Depth=3
	v_mov_b32_e32 v0, -1
	v_cmp_gt_i16_sdwa vcc, sext(v14), v0 src0_sel:BYTE_0 src1_sel:DWORD
	v_mov_b32_e32 v0, 0xc7600000
	v_mov_b32_e32 v15, 0x47600000
	v_cndmask_b32_e32 v0, v0, v15, vcc
	v_cmp_eq_u32_e32 vcc, 0, v13
	v_mov_b32_e32 v13, 0x7f800001
	v_cndmask_b32_e32 v0, v13, v0, vcc
; %bb.6455:                             ;   in Loop: Header=BB2_5776 Depth=3
	s_or_b64 exec, exec, s[70:71]
.LBB2_6456:                             ;   in Loop: Header=BB2_5776 Depth=3
	s_or_b64 exec, exec, s[68:69]
.LBB2_6457:                             ;   in Loop: Header=BB2_5776 Depth=3
	s_or_b64 exec, exec, s[30:31]
	v_cmp_ne_u16_sdwa vcc, v12, v51 src0_sel:BYTE_0 src1_sel:DWORD
	s_and_saveexec_b64 s[30:31], vcc
	s_cbranch_execz .LBB2_6465
; %bb.6458:                             ;   in Loop: Header=BB2_5776 Depth=3
	v_cmp_ne_u16_sdwa vcc, v12, s97 src0_sel:BYTE_0 src1_sel:DWORD
	v_bfrev_b32_e32 v7, 1
	s_and_saveexec_b64 s[68:69], vcc
	s_cbranch_execz .LBB2_6464
; %bb.6459:                             ;   in Loop: Header=BB2_5776 Depth=3
	v_and_b32_e32 v7, 0x7c0000, v19
	v_bfe_u32 v13, v19, 16, 2
	v_cmp_ne_u32_e32 vcc, s36, v7
                                        ; implicit-def: $vgpr7
	s_and_saveexec_b64 s[70:71], vcc
	s_xor_b64 s[70:71], exec, s[70:71]
	s_cbranch_execz .LBB2_6461
; %bb.6460:                             ;   in Loop: Header=BB2_5776 Depth=3
	v_ffbh_u32_e32 v15, v13
	v_min_u32_e32 v15, 32, v15
	v_subrev_u32_e32 v16, 29, v15
	v_bfe_u32 v7, v19, 18, 5
	v_lshlrev_b64 v[16:17], v16, v[12:13]
	v_sub_u32_e32 v15, 30, v15
	v_and_b32_e32 v16, 3, v16
	v_cmp_eq_u32_e32 vcc, 0, v7
	v_cndmask_b32_e32 v7, v7, v15, vcc
	v_cndmask_b32_e32 v13, v13, v16, vcc
	v_bfrev_b32_e32 v16, 28
	v_lshlrev_b32_e32 v15, 24, v12
	v_lshl_add_u32 v7, v7, 23, v16
	v_and_or_b32 v7, v15, s96, v7
	v_lshl_or_b32 v7, v13, 21, v7
                                        ; implicit-def: $vgpr13
.LBB2_6461:                             ;   in Loop: Header=BB2_5776 Depth=3
	s_andn2_saveexec_b64 s[70:71], s[70:71]
; %bb.6462:                             ;   in Loop: Header=BB2_5776 Depth=3
	v_mov_b32_e32 v7, -1
	v_cmp_gt_i16_sdwa vcc, sext(v12), v7 src0_sel:BYTE_0 src1_sel:DWORD
	v_mov_b32_e32 v7, 0xc7600000
	v_mov_b32_e32 v15, 0x47600000
	v_cndmask_b32_e32 v7, v7, v15, vcc
	v_cmp_eq_u32_e32 vcc, 0, v13
	v_mov_b32_e32 v13, 0x7f800001
	v_cndmask_b32_e32 v7, v13, v7, vcc
; %bb.6463:                             ;   in Loop: Header=BB2_5776 Depth=3
	s_or_b64 exec, exec, s[70:71]
.LBB2_6464:                             ;   in Loop: Header=BB2_5776 Depth=3
	s_or_b64 exec, exec, s[68:69]
.LBB2_6465:                             ;   in Loop: Header=BB2_5776 Depth=3
	s_or_b64 exec, exec, s[30:31]
	v_max_f32_e32 v7, v7, v7
	v_max_f32_e32 v0, v0, v0
	;; [unrolled: 1-line block ×3, first 2 shown]
	s_branch .LBB2_6484
.LBB2_6466:                             ;   in Loop: Header=BB2_5776 Depth=3
                                        ; implicit-def: $vgpr7
	s_cbranch_execz .LBB2_6484
; %bb.6467:                             ;   in Loop: Header=BB2_5776 Depth=3
	v_mov_b32_e32 v7, 0
	v_mov_b32_e32 v0, 0
	s_and_saveexec_b64 s[30:31], s[28:29]
	s_cbranch_execz .LBB2_6475
; %bb.6468:                             ;   in Loop: Header=BB2_5776 Depth=3
	v_cmp_ne_u16_sdwa vcc, v14, s97 src0_sel:BYTE_0 src1_sel:DWORD
	v_bfrev_b32_e32 v0, 1
	s_and_saveexec_b64 s[28:29], vcc
	s_cbranch_execz .LBB2_6474
; %bb.6469:                             ;   in Loop: Header=BB2_5776 Depth=3
	v_and_b32_e32 v0, 0x7c0000, v23
	v_bfe_u32 v13, v23, 16, 2
	v_cmp_ne_u32_e32 vcc, s36, v0
                                        ; implicit-def: $vgpr0
	s_and_saveexec_b64 s[68:69], vcc
	s_xor_b64 s[68:69], exec, s[68:69]
	s_cbranch_execz .LBB2_6471
; %bb.6470:                             ;   in Loop: Header=BB2_5776 Depth=3
	v_ffbh_u32_e32 v15, v13
	v_min_u32_e32 v15, 32, v15
	v_bfe_u32 v0, v23, 18, 5
	v_subrev_u32_e32 v16, 29, v15
	v_lshlrev_b64 v[16:17], v16, v[14:15]
	v_sub_u32_e32 v15, 30, v15
	v_cmp_eq_u32_e32 vcc, 0, v0
	v_cndmask_b32_e32 v0, v0, v15, vcc
	v_bfrev_b32_e32 v15, 28
	v_and_b32_e32 v16, 3, v16
	v_lshlrev_b32_e32 v14, 24, v14
	v_lshl_add_u32 v0, v0, 23, v15
	v_cndmask_b32_e32 v13, v13, v16, vcc
	v_and_or_b32 v0, v14, s96, v0
	v_lshl_or_b32 v0, v13, 21, v0
                                        ; implicit-def: $vgpr13
                                        ; implicit-def: $vgpr14
.LBB2_6471:                             ;   in Loop: Header=BB2_5776 Depth=3
	s_andn2_saveexec_b64 s[68:69], s[68:69]
; %bb.6472:                             ;   in Loop: Header=BB2_5776 Depth=3
	v_mov_b32_e32 v0, -1
	v_cmp_gt_i16_sdwa vcc, sext(v14), v0 src0_sel:BYTE_0 src1_sel:DWORD
	v_mov_b32_e32 v0, 0xc7600000
	v_mov_b32_e32 v14, 0x47600000
	v_cndmask_b32_e32 v0, v0, v14, vcc
	v_cmp_eq_u32_e32 vcc, 0, v13
	v_mov_b32_e32 v13, 0x7f800001
	v_cndmask_b32_e32 v0, v13, v0, vcc
; %bb.6473:                             ;   in Loop: Header=BB2_5776 Depth=3
	s_or_b64 exec, exec, s[68:69]
.LBB2_6474:                             ;   in Loop: Header=BB2_5776 Depth=3
	s_or_b64 exec, exec, s[28:29]
.LBB2_6475:                             ;   in Loop: Header=BB2_5776 Depth=3
	s_or_b64 exec, exec, s[30:31]
	v_cmp_ne_u16_sdwa vcc, v12, v51 src0_sel:BYTE_0 src1_sel:DWORD
	s_and_saveexec_b64 s[28:29], vcc
	s_cbranch_execz .LBB2_6483
; %bb.6476:                             ;   in Loop: Header=BB2_5776 Depth=3
	v_cmp_ne_u16_sdwa vcc, v12, s97 src0_sel:BYTE_0 src1_sel:DWORD
	v_bfrev_b32_e32 v7, 1
	s_and_saveexec_b64 s[30:31], vcc
	s_cbranch_execz .LBB2_6482
; %bb.6477:                             ;   in Loop: Header=BB2_5776 Depth=3
	v_and_b32_e32 v7, 0x7c0000, v19
	v_bfe_u32 v13, v19, 16, 2
	v_cmp_ne_u32_e32 vcc, s36, v7
                                        ; implicit-def: $vgpr7
	s_and_saveexec_b64 s[68:69], vcc
	s_xor_b64 s[68:69], exec, s[68:69]
	s_cbranch_execz .LBB2_6479
; %bb.6478:                             ;   in Loop: Header=BB2_5776 Depth=3
	v_ffbh_u32_e32 v14, v13
	v_min_u32_e32 v16, 32, v14
	v_subrev_u32_e32 v14, 29, v16
	v_bfe_u32 v7, v19, 18, 5
	v_lshlrev_b64 v[14:15], v14, v[12:13]
	v_sub_u32_e32 v15, 30, v16
	v_and_b32_e32 v14, 3, v14
	v_cmp_eq_u32_e32 vcc, 0, v7
	v_cndmask_b32_e32 v7, v7, v15, vcc
	v_cndmask_b32_e32 v13, v13, v14, vcc
	v_bfrev_b32_e32 v14, 28
	v_lshlrev_b32_e32 v12, 24, v12
	v_lshl_add_u32 v7, v7, 23, v14
	v_and_or_b32 v7, v12, s96, v7
	v_lshl_or_b32 v7, v13, 21, v7
                                        ; implicit-def: $vgpr13
                                        ; implicit-def: $vgpr12
.LBB2_6479:                             ;   in Loop: Header=BB2_5776 Depth=3
	s_andn2_saveexec_b64 s[68:69], s[68:69]
; %bb.6480:                             ;   in Loop: Header=BB2_5776 Depth=3
	v_mov_b32_e32 v7, -1
	v_cmp_gt_i16_sdwa vcc, sext(v12), v7 src0_sel:BYTE_0 src1_sel:DWORD
	v_mov_b32_e32 v7, 0xc7600000
	v_mov_b32_e32 v12, 0x47600000
	v_cndmask_b32_e32 v7, v7, v12, vcc
	v_cmp_eq_u32_e32 vcc, 0, v13
	v_mov_b32_e32 v12, 0x7f800001
	v_cndmask_b32_e32 v7, v12, v7, vcc
; %bb.6481:                             ;   in Loop: Header=BB2_5776 Depth=3
	s_or_b64 exec, exec, s[68:69]
.LBB2_6482:                             ;   in Loop: Header=BB2_5776 Depth=3
	s_or_b64 exec, exec, s[30:31]
.LBB2_6483:                             ;   in Loop: Header=BB2_5776 Depth=3
	s_or_b64 exec, exec, s[28:29]
	v_max_f32_e32 v7, v7, v7
	v_max_f32_e32 v0, v0, v0
	v_min_f32_e32 v7, v0, v7
.LBB2_6484:                             ;   in Loop: Header=BB2_5776 Depth=3
	v_and_b32_sdwa v0, v7, s97 dst_sel:DWORD dst_unused:UNUSED_PAD src0_sel:BYTE_3 src1_sel:DWORD
	v_and_b32_e32 v12, 0x7f800000, v7
	v_mov_b32_e32 v13, v51
	v_and_b32_e32 v50, 0x7fffff, v7
	v_or_b32_e32 v54, 0x7b, v0
	v_cmp_ne_u64_e32 vcc, s[52:53], v[12:13]
	s_and_saveexec_b64 s[28:29], vcc
	s_xor_b64 s[30:31], exec, s[28:29]
	s_cbranch_execz .LBB2_6494
; %bb.6485:                             ;   in Loop: Header=BB2_5776 Depth=3
	v_and_b32_e32 v12, 0x7fffffff, v7
	v_mov_b32_e32 v13, v51
	v_cmp_gt_u64_e32 vcc, s[54:55], v[12:13]
	s_and_saveexec_b64 s[68:69], vcc
	s_cbranch_execz .LBB2_6493
; %bb.6486:                             ;   in Loop: Header=BB2_5776 Depth=3
	v_cmp_ne_u32_e32 vcc, 0, v7
	v_mov_b32_e32 v54, 0
	s_and_saveexec_b64 s[70:71], vcc
	s_cbranch_execz .LBB2_6492
; %bb.6487:                             ;   in Loop: Header=BB2_5776 Depth=3
	v_bfe_u32 v7, v7, 23, 8
	v_sub_u32_e32 v13, 0x71, v7
	v_cmp_gt_u32_e32 vcc, s38, v7
	v_add_u32_e32 v12, 0xffffff81, v7
	v_cndmask_b32_e32 v13, 0, v13, vcc
	v_cmp_eq_u32_e32 vcc, 0, v7
	v_mov_b32_e32 v7, 0xffffff82
	v_cndmask_b32_e32 v7, v12, v7, vcc
	v_mov_b32_e32 v12, 0x70
	v_or_b32_e32 v14, 0x800000, v50
	v_cndmask_b32_e32 v15, v13, v12, vcc
	v_cndmask_b32_e32 v50, v14, v50, vcc
	v_add_u32_e32 v12, 21, v15
	v_lshlrev_b64 v[12:13], v12, -1
	v_add_u32_e32 v14, 20, v15
	v_lshrrev_b64 v[30:31], v15, v[50:51]
	v_not_b32_e32 v13, v13
	v_not_b32_e32 v12, v12
	v_lshlrev_b64 v[16:17], v14, 1
	v_lshrrev_b32_e32 v14, 23, v30
	v_and_b32_e32 v13, 0, v13
	v_and_b32_e32 v12, v50, v12
	v_add3_u32 v15, v15, v7, v14
	v_bfe_u32 v7, v30, 21, 1
	v_add_u32_e32 v7, -1, v7
	v_cmp_eq_u64_e32 vcc, v[12:13], v[16:17]
	v_cndmask_b32_e32 v7, 0, v7, vcc
	v_add_u32_e32 v7, v7, v30
	v_and_b32_e32 v7, 0x1fffff, v7
	v_add_co_u32_e32 v12, vcc, v7, v30
	v_add_u32_e32 v14, 14, v15
	v_addc_co_u32_e32 v13, vcc, 0, v31, vcc
	v_cmp_ne_u32_e32 vcc, 0, v14
                                        ; implicit-def: $vgpr7
	s_and_saveexec_b64 s[28:29], vcc
	s_xor_b64 s[28:29], exec, s[28:29]
; %bb.6488:                             ;   in Loop: Header=BB2_5776 Depth=3
	v_add_u32_e32 v7, 15, v15
	v_cmp_lt_u64_e32 vcc, s[56:57], v[12:13]
	v_cndmask_b32_e32 v7, v14, v7, vcc
	v_cndmask_b32_e64 v14, 0, 1, vcc
	v_lshrrev_b64 v[12:13], v14, v[12:13]
; %bb.6489:                             ;   in Loop: Header=BB2_5776 Depth=3
	s_andn2_saveexec_b64 s[28:29], s[28:29]
; %bb.6490:                             ;   in Loop: Header=BB2_5776 Depth=3
	v_bfe_u32 v7, v12, 23, 1
; %bb.6491:                             ;   in Loop: Header=BB2_5776 Depth=3
	s_or_b64 exec, exec, s[28:29]
	v_lshrrev_b64 v[12:13], 21, v[12:13]
	v_cmp_gt_i32_e32 vcc, 32, v7
	v_cndmask_b32_e32 v13, 0, v13, vcc
	v_cndmask_b32_e32 v12, 3, v12, vcc
	v_cmp_eq_u32_e32 vcc, 0, v7
	v_min_i32_e32 v7, 31, v7
	v_cmp_eq_u64_e64 s[28:29], 0, v[12:13]
	v_lshlrev_b32_e32 v7, 2, v7
	v_and_or_b32 v7, v12, 3, v7
	s_and_b64 s[28:29], vcc, s[28:29]
	v_cndmask_b32_e64 v7, v7, 0, s[28:29]
	v_or_b32_e32 v54, v7, v0
.LBB2_6492:                             ;   in Loop: Header=BB2_5776 Depth=3
	s_or_b64 exec, exec, s[70:71]
.LBB2_6493:                             ;   in Loop: Header=BB2_5776 Depth=3
	s_or_b64 exec, exec, s[68:69]
                                        ; implicit-def: $vgpr7
.LBB2_6494:                             ;   in Loop: Header=BB2_5776 Depth=3
	s_andn2_saveexec_b64 s[28:29], s[30:31]
; %bb.6495:                             ;   in Loop: Header=BB2_5776 Depth=3
	v_or_b32_sdwa v0, v7, s39 dst_sel:DWORD dst_unused:UNUSED_PAD src0_sel:BYTE_3 src1_sel:DWORD
	v_cmp_eq_u64_e32 vcc, 0, v[50:51]
	v_cndmask_b32_e32 v54, v0, v54, vcc
; %bb.6496:                             ;   in Loop: Header=BB2_5776 Depth=3
	s_or_b64 exec, exec, s[28:29]
	v_lshrrev_b32_e32 v14, 24, v23
	v_lshrrev_b32_e32 v12, 24, v19
	v_cmp_lt_u64_e64 s[28:29], s[42:43], v[22:23]
	s_and_b64 vcc, exec, s[66:67]
	s_cbranch_vccz .LBB2_6514
; %bb.6497:                             ;   in Loop: Header=BB2_5776 Depth=3
	v_mov_b32_e32 v7, 0
	v_mov_b32_e32 v0, 0
	s_and_saveexec_b64 s[30:31], s[28:29]
	s_cbranch_execz .LBB2_6505
; %bb.6498:                             ;   in Loop: Header=BB2_5776 Depth=3
	v_cmp_ne_u32_e32 vcc, s97, v14
	v_bfrev_b32_e32 v0, 1
	s_and_saveexec_b64 s[68:69], vcc
	s_cbranch_execz .LBB2_6504
; %bb.6499:                             ;   in Loop: Header=BB2_5776 Depth=3
	v_and_b32_e32 v0, 0x7c000000, v23
	v_bfe_u32 v13, v23, 24, 2
	v_cmp_ne_u32_e32 vcc, s37, v0
                                        ; implicit-def: $vgpr0
	s_and_saveexec_b64 s[70:71], vcc
	s_xor_b64 s[70:71], exec, s[70:71]
	s_cbranch_execz .LBB2_6501
; %bb.6500:                             ;   in Loop: Header=BB2_5776 Depth=3
	v_ffbh_u32_e32 v15, v13
	v_min_u32_e32 v15, 32, v15
	v_bfe_u32 v0, v23, 26, 5
	v_subrev_u32_e32 v16, 29, v15
	v_lshlrev_b64 v[16:17], v16, v[14:15]
	v_sub_u32_e32 v15, 30, v15
	v_cmp_eq_u32_e32 vcc, 0, v0
	v_cndmask_b32_e32 v0, v0, v15, vcc
	v_bfrev_b32_e32 v15, 28
	v_and_b32_e32 v16, 3, v16
	v_lshl_add_u32 v0, v0, 23, v15
	v_cndmask_b32_e32 v13, v13, v16, vcc
	v_and_or_b32 v0, v23, s96, v0
	v_lshl_or_b32 v0, v13, 21, v0
                                        ; implicit-def: $vgpr13
.LBB2_6501:                             ;   in Loop: Header=BB2_5776 Depth=3
	s_andn2_saveexec_b64 s[70:71], s[70:71]
; %bb.6502:                             ;   in Loop: Header=BB2_5776 Depth=3
	v_cmp_lt_i64_e32 vcc, -1, v[22:23]
	v_mov_b32_e32 v0, 0xc7600000
	v_mov_b32_e32 v15, 0x47600000
	v_cndmask_b32_e32 v0, v0, v15, vcc
	v_cmp_eq_u32_e32 vcc, 0, v13
	v_mov_b32_e32 v13, 0x7f800001
	v_cndmask_b32_e32 v0, v13, v0, vcc
; %bb.6503:                             ;   in Loop: Header=BB2_5776 Depth=3
	s_or_b64 exec, exec, s[70:71]
.LBB2_6504:                             ;   in Loop: Header=BB2_5776 Depth=3
	s_or_b64 exec, exec, s[68:69]
.LBB2_6505:                             ;   in Loop: Header=BB2_5776 Depth=3
	s_or_b64 exec, exec, s[30:31]
	v_cmp_lt_u64_e32 vcc, s[42:43], v[18:19]
	s_and_saveexec_b64 s[30:31], vcc
	s_cbranch_execz .LBB2_6513
; %bb.6506:                             ;   in Loop: Header=BB2_5776 Depth=3
	v_cmp_ne_u32_e32 vcc, s97, v12
	v_bfrev_b32_e32 v7, 1
	s_and_saveexec_b64 s[68:69], vcc
	s_cbranch_execz .LBB2_6512
; %bb.6507:                             ;   in Loop: Header=BB2_5776 Depth=3
	v_and_b32_e32 v7, 0x7c000000, v19
	v_bfe_u32 v13, v19, 24, 2
	v_cmp_ne_u32_e32 vcc, s37, v7
                                        ; implicit-def: $vgpr7
	s_and_saveexec_b64 s[70:71], vcc
	s_xor_b64 s[70:71], exec, s[70:71]
	s_cbranch_execz .LBB2_6509
; %bb.6508:                             ;   in Loop: Header=BB2_5776 Depth=3
	v_ffbh_u32_e32 v15, v13
	v_bfe_u32 v7, v19, 26, 5
	v_min_u32_e32 v15, 32, v15
	v_subrev_u32_e32 v16, 29, v15
	v_sub_u32_e32 v15, 30, v15
	v_cmp_eq_u32_e32 vcc, 0, v7
	v_lshlrev_b64 v[16:17], v16, v[12:13]
	v_cndmask_b32_e32 v7, v7, v15, vcc
	v_bfrev_b32_e32 v15, 28
	v_and_b32_e32 v16, 3, v16
	v_lshl_add_u32 v7, v7, 23, v15
	v_cndmask_b32_e32 v13, v13, v16, vcc
	v_and_or_b32 v7, v19, s96, v7
	v_lshl_or_b32 v7, v13, 21, v7
                                        ; implicit-def: $vgpr13
.LBB2_6509:                             ;   in Loop: Header=BB2_5776 Depth=3
	s_andn2_saveexec_b64 s[70:71], s[70:71]
; %bb.6510:                             ;   in Loop: Header=BB2_5776 Depth=3
	v_cmp_lt_i64_e32 vcc, -1, v[18:19]
	v_mov_b32_e32 v7, 0xc7600000
	v_mov_b32_e32 v15, 0x47600000
	v_cndmask_b32_e32 v7, v7, v15, vcc
	v_cmp_eq_u32_e32 vcc, 0, v13
	v_mov_b32_e32 v13, 0x7f800001
	v_cndmask_b32_e32 v7, v13, v7, vcc
; %bb.6511:                             ;   in Loop: Header=BB2_5776 Depth=3
	s_or_b64 exec, exec, s[70:71]
.LBB2_6512:                             ;   in Loop: Header=BB2_5776 Depth=3
	s_or_b64 exec, exec, s[68:69]
.LBB2_6513:                             ;   in Loop: Header=BB2_5776 Depth=3
	s_or_b64 exec, exec, s[30:31]
	v_max_f32_e32 v7, v7, v7
	v_max_f32_e32 v0, v0, v0
	;; [unrolled: 1-line block ×3, first 2 shown]
	s_branch .LBB2_6532
.LBB2_6514:                             ;   in Loop: Header=BB2_5776 Depth=3
                                        ; implicit-def: $vgpr7
	s_cbranch_execz .LBB2_6532
; %bb.6515:                             ;   in Loop: Header=BB2_5776 Depth=3
	v_mov_b32_e32 v7, 0
	v_mov_b32_e32 v0, 0
	s_and_saveexec_b64 s[30:31], s[28:29]
	s_cbranch_execz .LBB2_6523
; %bb.6516:                             ;   in Loop: Header=BB2_5776 Depth=3
	v_cmp_ne_u32_e32 vcc, s97, v14
	v_bfrev_b32_e32 v0, 1
	s_and_saveexec_b64 s[28:29], vcc
	s_cbranch_execz .LBB2_6522
; %bb.6517:                             ;   in Loop: Header=BB2_5776 Depth=3
	v_and_b32_e32 v0, 0x7c000000, v23
	v_bfe_u32 v13, v23, 24, 2
	v_cmp_ne_u32_e32 vcc, s37, v0
                                        ; implicit-def: $vgpr0
	s_and_saveexec_b64 s[68:69], vcc
	s_xor_b64 s[68:69], exec, s[68:69]
	s_cbranch_execz .LBB2_6519
; %bb.6518:                             ;   in Loop: Header=BB2_5776 Depth=3
	v_ffbh_u32_e32 v15, v13
	v_min_u32_e32 v16, 32, v15
	v_subrev_u32_e32 v15, 29, v16
	v_bfe_u32 v0, v23, 26, 5
	v_lshlrev_b64 v[14:15], v15, v[14:15]
	v_sub_u32_e32 v15, 30, v16
	v_and_b32_e32 v14, 3, v14
	v_cmp_eq_u32_e32 vcc, 0, v0
	v_cndmask_b32_e32 v0, v0, v15, vcc
	v_cndmask_b32_e32 v13, v13, v14, vcc
	v_bfrev_b32_e32 v14, 28
	v_lshl_add_u32 v0, v0, 23, v14
	v_and_or_b32 v0, v23, s96, v0
	v_lshl_or_b32 v0, v13, 21, v0
                                        ; implicit-def: $vgpr13
                                        ; implicit-def: $vgpr22_vgpr23
.LBB2_6519:                             ;   in Loop: Header=BB2_5776 Depth=3
	s_andn2_saveexec_b64 s[68:69], s[68:69]
; %bb.6520:                             ;   in Loop: Header=BB2_5776 Depth=3
	v_cmp_lt_i64_e32 vcc, -1, v[22:23]
	v_mov_b32_e32 v0, 0xc7600000
	v_mov_b32_e32 v14, 0x47600000
	v_cndmask_b32_e32 v0, v0, v14, vcc
	v_cmp_eq_u32_e32 vcc, 0, v13
	v_mov_b32_e32 v13, 0x7f800001
	v_cndmask_b32_e32 v0, v13, v0, vcc
; %bb.6521:                             ;   in Loop: Header=BB2_5776 Depth=3
	s_or_b64 exec, exec, s[68:69]
.LBB2_6522:                             ;   in Loop: Header=BB2_5776 Depth=3
	s_or_b64 exec, exec, s[28:29]
.LBB2_6523:                             ;   in Loop: Header=BB2_5776 Depth=3
	s_or_b64 exec, exec, s[30:31]
	v_cmp_lt_u64_e32 vcc, s[42:43], v[18:19]
	s_and_saveexec_b64 s[28:29], vcc
	s_cbranch_execz .LBB2_6531
; %bb.6524:                             ;   in Loop: Header=BB2_5776 Depth=3
	v_cmp_ne_u32_e32 vcc, s97, v12
	v_bfrev_b32_e32 v7, 1
	s_and_saveexec_b64 s[30:31], vcc
	s_cbranch_execz .LBB2_6530
; %bb.6525:                             ;   in Loop: Header=BB2_5776 Depth=3
	v_and_b32_e32 v7, 0x7c000000, v19
	v_bfe_u32 v13, v19, 24, 2
	v_cmp_ne_u32_e32 vcc, s37, v7
                                        ; implicit-def: $vgpr7
	s_and_saveexec_b64 s[68:69], vcc
	s_xor_b64 s[68:69], exec, s[68:69]
	s_cbranch_execz .LBB2_6527
; %bb.6526:                             ;   in Loop: Header=BB2_5776 Depth=3
	v_ffbh_u32_e32 v14, v13
	v_min_u32_e32 v16, 32, v14
	v_subrev_u32_e32 v14, 29, v16
	v_bfe_u32 v7, v19, 26, 5
	v_lshlrev_b64 v[14:15], v14, v[12:13]
	v_sub_u32_e32 v12, 30, v16
	v_and_b32_e32 v14, 3, v14
	v_cmp_eq_u32_e32 vcc, 0, v7
	v_cndmask_b32_e32 v7, v7, v12, vcc
	v_cndmask_b32_e32 v12, v13, v14, vcc
	v_bfrev_b32_e32 v13, 28
	v_lshl_add_u32 v7, v7, 23, v13
	v_and_or_b32 v7, v19, s96, v7
	v_lshl_or_b32 v7, v12, 21, v7
                                        ; implicit-def: $vgpr13
                                        ; implicit-def: $vgpr18_vgpr19
.LBB2_6527:                             ;   in Loop: Header=BB2_5776 Depth=3
	s_andn2_saveexec_b64 s[68:69], s[68:69]
; %bb.6528:                             ;   in Loop: Header=BB2_5776 Depth=3
	v_cmp_lt_i64_e32 vcc, -1, v[18:19]
	v_mov_b32_e32 v7, 0xc7600000
	v_mov_b32_e32 v12, 0x47600000
	v_cndmask_b32_e32 v7, v7, v12, vcc
	v_cmp_eq_u32_e32 vcc, 0, v13
	v_mov_b32_e32 v12, 0x7f800001
	v_cndmask_b32_e32 v7, v12, v7, vcc
; %bb.6529:                             ;   in Loop: Header=BB2_5776 Depth=3
	s_or_b64 exec, exec, s[68:69]
.LBB2_6530:                             ;   in Loop: Header=BB2_5776 Depth=3
	s_or_b64 exec, exec, s[30:31]
.LBB2_6531:                             ;   in Loop: Header=BB2_5776 Depth=3
	s_or_b64 exec, exec, s[28:29]
	v_max_f32_e32 v7, v7, v7
	v_max_f32_e32 v0, v0, v0
	v_min_f32_e32 v7, v0, v7
.LBB2_6532:                             ;   in Loop: Header=BB2_5776 Depth=3
	v_and_b32_sdwa v0, v7, s97 dst_sel:DWORD dst_unused:UNUSED_PAD src0_sel:BYTE_3 src1_sel:DWORD
	v_and_b32_e32 v12, 0x7f800000, v7
	v_mov_b32_e32 v13, v51
	v_and_b32_e32 v50, 0x7fffff, v7
	v_or_b32_e32 v18, 0x7b, v0
	v_cmp_ne_u64_e32 vcc, s[52:53], v[12:13]
	s_and_saveexec_b64 s[28:29], vcc
	s_xor_b64 s[30:31], exec, s[28:29]
	s_cbranch_execz .LBB2_6542
; %bb.6533:                             ;   in Loop: Header=BB2_5776 Depth=3
	v_and_b32_e32 v12, 0x7fffffff, v7
	v_mov_b32_e32 v13, v51
	v_cmp_gt_u64_e32 vcc, s[54:55], v[12:13]
	s_and_saveexec_b64 s[68:69], vcc
	s_cbranch_execz .LBB2_6541
; %bb.6534:                             ;   in Loop: Header=BB2_5776 Depth=3
	v_cmp_ne_u32_e32 vcc, 0, v7
	v_mov_b32_e32 v18, 0
	s_and_saveexec_b64 s[70:71], vcc
	s_cbranch_execz .LBB2_6540
; %bb.6535:                             ;   in Loop: Header=BB2_5776 Depth=3
	v_bfe_u32 v7, v7, 23, 8
	v_sub_u32_e32 v13, 0x71, v7
	v_cmp_gt_u32_e32 vcc, s38, v7
	v_add_u32_e32 v12, 0xffffff81, v7
	v_cndmask_b32_e32 v13, 0, v13, vcc
	v_cmp_eq_u32_e32 vcc, 0, v7
	v_mov_b32_e32 v7, 0xffffff82
	v_cndmask_b32_e32 v7, v12, v7, vcc
	v_mov_b32_e32 v12, 0x70
	v_or_b32_e32 v14, 0x800000, v50
	v_cndmask_b32_e32 v15, v13, v12, vcc
	v_cndmask_b32_e32 v50, v14, v50, vcc
	v_add_u32_e32 v12, 21, v15
	v_lshlrev_b64 v[12:13], v12, -1
	v_add_u32_e32 v14, 20, v15
	v_lshrrev_b64 v[18:19], v15, v[50:51]
	v_not_b32_e32 v13, v13
	v_not_b32_e32 v12, v12
	v_lshlrev_b64 v[16:17], v14, 1
	v_lshrrev_b32_e32 v14, 23, v18
	v_and_b32_e32 v13, 0, v13
	v_and_b32_e32 v12, v50, v12
	v_add3_u32 v15, v15, v7, v14
	v_bfe_u32 v7, v18, 21, 1
	v_add_u32_e32 v7, -1, v7
	v_cmp_eq_u64_e32 vcc, v[12:13], v[16:17]
	v_cndmask_b32_e32 v7, 0, v7, vcc
	v_add_u32_e32 v7, v7, v18
	v_and_b32_e32 v7, 0x1fffff, v7
	v_add_co_u32_e32 v12, vcc, v7, v18
	v_add_u32_e32 v14, 14, v15
	v_addc_co_u32_e32 v13, vcc, 0, v19, vcc
	v_cmp_ne_u32_e32 vcc, 0, v14
                                        ; implicit-def: $vgpr7
	s_and_saveexec_b64 s[28:29], vcc
	s_xor_b64 s[28:29], exec, s[28:29]
; %bb.6536:                             ;   in Loop: Header=BB2_5776 Depth=3
	v_add_u32_e32 v7, 15, v15
	v_cmp_lt_u64_e32 vcc, s[56:57], v[12:13]
	v_cndmask_b32_e32 v7, v14, v7, vcc
	v_cndmask_b32_e64 v14, 0, 1, vcc
	v_lshrrev_b64 v[12:13], v14, v[12:13]
; %bb.6537:                             ;   in Loop: Header=BB2_5776 Depth=3
	s_andn2_saveexec_b64 s[28:29], s[28:29]
; %bb.6538:                             ;   in Loop: Header=BB2_5776 Depth=3
	v_bfe_u32 v7, v12, 23, 1
; %bb.6539:                             ;   in Loop: Header=BB2_5776 Depth=3
	s_or_b64 exec, exec, s[28:29]
	v_lshrrev_b64 v[12:13], 21, v[12:13]
	v_cmp_gt_i32_e32 vcc, 32, v7
	v_cndmask_b32_e32 v13, 0, v13, vcc
	v_cndmask_b32_e32 v12, 3, v12, vcc
	v_cmp_eq_u32_e32 vcc, 0, v7
	v_min_i32_e32 v7, 31, v7
	v_lshlrev_b32_e32 v7, 2, v7
	v_cmp_eq_u64_e64 s[28:29], 0, v[12:13]
	v_and_b32_e32 v7, 0xfc, v7
	v_and_or_b32 v7, v12, 3, v7
	s_and_b64 s[28:29], vcc, s[28:29]
	v_cndmask_b32_e64 v7, v7, 0, s[28:29]
	v_or_b32_e32 v18, v7, v0
.LBB2_6540:                             ;   in Loop: Header=BB2_5776 Depth=3
	s_or_b64 exec, exec, s[70:71]
.LBB2_6541:                             ;   in Loop: Header=BB2_5776 Depth=3
	s_or_b64 exec, exec, s[68:69]
                                        ; implicit-def: $vgpr7
.LBB2_6542:                             ;   in Loop: Header=BB2_5776 Depth=3
	s_andn2_saveexec_b64 s[28:29], s[30:31]
; %bb.6543:                             ;   in Loop: Header=BB2_5776 Depth=3
	v_or_b32_sdwa v0, v7, s39 dst_sel:DWORD dst_unused:UNUSED_PAD src0_sel:BYTE_3 src1_sel:DWORD
	v_cmp_eq_u64_e32 vcc, 0, v[50:51]
	v_cndmask_b32_e32 v18, v0, v18, vcc
; %bb.6544:                             ;   in Loop: Header=BB2_5776 Depth=3
	s_or_b64 exec, exec, s[28:29]
	v_cndmask_b32_e64 v0, 0, 1, s[66:67]
	v_cmp_ne_u32_e64 s[28:29], 1, v0
	s_andn2_b64 vcc, exec, s[66:67]
	v_cmp_ne_u16_sdwa s[30:31], v26, v51 src0_sel:BYTE_0 src1_sel:DWORD
	s_cbranch_vccnz .LBB2_6562
; %bb.6545:                             ;   in Loop: Header=BB2_5776 Depth=3
	v_mov_b32_e32 v7, 0
	v_mov_b32_e32 v0, 0
	s_and_saveexec_b64 s[68:69], s[30:31]
	s_cbranch_execz .LBB2_6553
; %bb.6546:                             ;   in Loop: Header=BB2_5776 Depth=3
	v_cmp_ne_u16_sdwa vcc, sext(v26), s94 src0_sel:BYTE_0 src1_sel:DWORD
	v_bfrev_b32_e32 v0, 1
	s_and_saveexec_b64 s[70:71], vcc
	s_cbranch_execz .LBB2_6552
; %bb.6547:                             ;   in Loop: Header=BB2_5776 Depth=3
	v_and_b32_e32 v0, 0x7c, v26
	v_and_b32_e32 v12, 3, v26
	v_cmp_ne_u32_e32 vcc, s95, v0
                                        ; implicit-def: $vgpr0
	s_and_saveexec_b64 s[72:73], vcc
	s_xor_b64 s[72:73], exec, s[72:73]
	s_cbranch_execz .LBB2_6549
; %bb.6548:                             ;   in Loop: Header=BB2_5776 Depth=3
	v_ffbh_u32_e32 v13, v12
	v_min_u32_e32 v13, 32, v13
	v_subrev_u32_e32 v14, 29, v13
	v_bfe_u32 v0, v26, 2, 5
	v_lshlrev_b64 v[14:15], v14, v[26:27]
	v_sub_u32_e32 v13, 30, v13
	v_and_b32_e32 v14, 3, v14
	v_cmp_eq_u32_e32 vcc, 0, v0
	v_cndmask_b32_e32 v0, v0, v13, vcc
	v_cndmask_b32_e32 v12, v12, v14, vcc
	v_bfrev_b32_e32 v14, 28
	v_lshlrev_b32_e32 v13, 24, v26
	v_lshl_add_u32 v0, v0, 23, v14
	v_and_or_b32 v0, v13, s96, v0
	v_lshl_or_b32 v0, v12, 21, v0
                                        ; implicit-def: $vgpr12
.LBB2_6549:                             ;   in Loop: Header=BB2_5776 Depth=3
	s_andn2_saveexec_b64 s[72:73], s[72:73]
; %bb.6550:                             ;   in Loop: Header=BB2_5776 Depth=3
	v_mov_b32_e32 v0, -1
	v_cmp_gt_i16_sdwa vcc, sext(v26), v0 src0_sel:BYTE_0 src1_sel:DWORD
	v_mov_b32_e32 v0, 0xc7600000
	v_mov_b32_e32 v13, 0x47600000
	v_cndmask_b32_e32 v0, v0, v13, vcc
	v_cmp_eq_u32_e32 vcc, 0, v12
	v_mov_b32_e32 v12, 0x7f800001
	v_cndmask_b32_e32 v0, v12, v0, vcc
; %bb.6551:                             ;   in Loop: Header=BB2_5776 Depth=3
	s_or_b64 exec, exec, s[72:73]
.LBB2_6552:                             ;   in Loop: Header=BB2_5776 Depth=3
	s_or_b64 exec, exec, s[70:71]
.LBB2_6553:                             ;   in Loop: Header=BB2_5776 Depth=3
	s_or_b64 exec, exec, s[68:69]
	s_waitcnt vmcnt(0)
	v_cmp_ne_u16_sdwa vcc, sext(v8), v51 src0_sel:BYTE_0 src1_sel:DWORD
	s_and_saveexec_b64 s[68:69], vcc
	s_cbranch_execz .LBB2_6561
; %bb.6554:                             ;   in Loop: Header=BB2_5776 Depth=3
	v_cmp_ne_u16_sdwa vcc, sext(v8), s94 src0_sel:BYTE_0 src1_sel:DWORD
	v_bfrev_b32_e32 v7, 1
	s_and_saveexec_b64 s[70:71], vcc
	s_cbranch_execz .LBB2_6560
; %bb.6555:                             ;   in Loop: Header=BB2_5776 Depth=3
	v_and_b32_e32 v7, 0x7c, v8
	v_and_b32_e32 v12, 3, v8
	v_cmp_ne_u32_e32 vcc, s95, v7
                                        ; implicit-def: $vgpr7
	s_and_saveexec_b64 s[72:73], vcc
	s_xor_b64 s[72:73], exec, s[72:73]
	s_cbranch_execz .LBB2_6557
; %bb.6556:                             ;   in Loop: Header=BB2_5776 Depth=3
	v_ffbh_u32_e32 v13, v12
	v_min_u32_e32 v13, 32, v13
	v_subrev_u32_e32 v14, 29, v13
	v_bfe_u32 v7, v8, 2, 5
	v_lshlrev_b64 v[14:15], v14, v[8:9]
	v_sub_u32_e32 v13, 30, v13
	v_and_b32_e32 v14, 3, v14
	v_cmp_eq_u32_e32 vcc, 0, v7
	v_cndmask_b32_e32 v7, v7, v13, vcc
	v_cndmask_b32_e32 v12, v12, v14, vcc
	v_bfrev_b32_e32 v14, 28
	v_lshlrev_b32_e32 v13, 24, v8
	v_lshl_add_u32 v7, v7, 23, v14
	v_and_or_b32 v7, v13, s96, v7
	v_lshl_or_b32 v7, v12, 21, v7
                                        ; implicit-def: $vgpr12
.LBB2_6557:                             ;   in Loop: Header=BB2_5776 Depth=3
	s_andn2_saveexec_b64 s[72:73], s[72:73]
; %bb.6558:                             ;   in Loop: Header=BB2_5776 Depth=3
	v_mov_b32_e32 v7, -1
	v_cmp_gt_i16_sdwa vcc, sext(v8), v7 src0_sel:BYTE_0 src1_sel:DWORD
	v_mov_b32_e32 v7, 0xc7600000
	v_mov_b32_e32 v13, 0x47600000
	v_cndmask_b32_e32 v7, v7, v13, vcc
	v_cmp_eq_u32_e32 vcc, 0, v12
	v_mov_b32_e32 v12, 0x7f800001
	v_cndmask_b32_e32 v7, v12, v7, vcc
; %bb.6559:                             ;   in Loop: Header=BB2_5776 Depth=3
	s_or_b64 exec, exec, s[72:73]
.LBB2_6560:                             ;   in Loop: Header=BB2_5776 Depth=3
	s_or_b64 exec, exec, s[70:71]
.LBB2_6561:                             ;   in Loop: Header=BB2_5776 Depth=3
	s_or_b64 exec, exec, s[68:69]
	v_max_f32_e32 v7, v7, v7
	v_max_f32_e32 v0, v0, v0
	;; [unrolled: 1-line block ×3, first 2 shown]
	s_branch .LBB2_6580
.LBB2_6562:                             ;   in Loop: Header=BB2_5776 Depth=3
                                        ; implicit-def: $vgpr7
	s_cbranch_execz .LBB2_6580
; %bb.6563:                             ;   in Loop: Header=BB2_5776 Depth=3
	v_mov_b32_e32 v7, 0
	v_mov_b32_e32 v0, 0
	s_and_saveexec_b64 s[68:69], s[30:31]
	s_cbranch_execz .LBB2_6571
; %bb.6564:                             ;   in Loop: Header=BB2_5776 Depth=3
	v_cmp_ne_u16_sdwa vcc, sext(v26), s94 src0_sel:BYTE_0 src1_sel:DWORD
	v_bfrev_b32_e32 v0, 1
	s_and_saveexec_b64 s[30:31], vcc
	s_cbranch_execz .LBB2_6570
; %bb.6565:                             ;   in Loop: Header=BB2_5776 Depth=3
	v_and_b32_e32 v0, 0x7c, v26
	v_and_b32_e32 v12, 3, v26
	v_cmp_ne_u32_e32 vcc, s95, v0
                                        ; implicit-def: $vgpr0
	s_and_saveexec_b64 s[70:71], vcc
	s_xor_b64 s[70:71], exec, s[70:71]
	s_cbranch_execz .LBB2_6567
; %bb.6566:                             ;   in Loop: Header=BB2_5776 Depth=3
	v_ffbh_u32_e32 v13, v12
	v_min_u32_e32 v13, 32, v13
	v_subrev_u32_e32 v14, 29, v13
	v_bfe_u32 v0, v26, 2, 5
	v_lshlrev_b64 v[14:15], v14, v[26:27]
	v_sub_u32_e32 v13, 30, v13
	v_and_b32_e32 v14, 3, v14
	v_cmp_eq_u32_e32 vcc, 0, v0
	v_cndmask_b32_e32 v0, v0, v13, vcc
	v_cndmask_b32_e32 v12, v12, v14, vcc
	v_bfrev_b32_e32 v14, 28
	v_lshlrev_b32_e32 v13, 24, v26
	v_lshl_add_u32 v0, v0, 23, v14
	v_and_or_b32 v0, v13, s96, v0
	v_lshl_or_b32 v0, v12, 21, v0
                                        ; implicit-def: $vgpr12
.LBB2_6567:                             ;   in Loop: Header=BB2_5776 Depth=3
	s_andn2_saveexec_b64 s[70:71], s[70:71]
; %bb.6568:                             ;   in Loop: Header=BB2_5776 Depth=3
	v_mov_b32_e32 v0, -1
	v_cmp_gt_i16_sdwa vcc, sext(v26), v0 src0_sel:BYTE_0 src1_sel:DWORD
	v_mov_b32_e32 v0, 0xc7600000
	v_mov_b32_e32 v13, 0x47600000
	v_cndmask_b32_e32 v0, v0, v13, vcc
	v_cmp_eq_u32_e32 vcc, 0, v12
	v_mov_b32_e32 v12, 0x7f800001
	v_cndmask_b32_e32 v0, v12, v0, vcc
; %bb.6569:                             ;   in Loop: Header=BB2_5776 Depth=3
	s_or_b64 exec, exec, s[70:71]
.LBB2_6570:                             ;   in Loop: Header=BB2_5776 Depth=3
	s_or_b64 exec, exec, s[30:31]
.LBB2_6571:                             ;   in Loop: Header=BB2_5776 Depth=3
	s_or_b64 exec, exec, s[68:69]
	s_waitcnt vmcnt(0)
	v_cmp_ne_u16_sdwa vcc, sext(v8), v51 src0_sel:BYTE_0 src1_sel:DWORD
	s_and_saveexec_b64 s[30:31], vcc
	s_cbranch_execz .LBB2_6579
; %bb.6572:                             ;   in Loop: Header=BB2_5776 Depth=3
	v_cmp_ne_u16_sdwa vcc, sext(v8), s94 src0_sel:BYTE_0 src1_sel:DWORD
	v_bfrev_b32_e32 v7, 1
	s_and_saveexec_b64 s[68:69], vcc
	s_cbranch_execz .LBB2_6578
; %bb.6573:                             ;   in Loop: Header=BB2_5776 Depth=3
	v_and_b32_e32 v7, 0x7c, v8
	v_and_b32_e32 v12, 3, v8
	v_cmp_ne_u32_e32 vcc, s95, v7
                                        ; implicit-def: $vgpr7
	s_and_saveexec_b64 s[70:71], vcc
	s_xor_b64 s[70:71], exec, s[70:71]
	s_cbranch_execz .LBB2_6575
; %bb.6574:                             ;   in Loop: Header=BB2_5776 Depth=3
	v_ffbh_u32_e32 v13, v12
	v_min_u32_e32 v13, 32, v13
	v_subrev_u32_e32 v14, 29, v13
	v_bfe_u32 v7, v8, 2, 5
	v_lshlrev_b64 v[14:15], v14, v[8:9]
	v_sub_u32_e32 v13, 30, v13
	v_and_b32_e32 v14, 3, v14
	v_cmp_eq_u32_e32 vcc, 0, v7
	v_cndmask_b32_e32 v7, v7, v13, vcc
	v_cndmask_b32_e32 v12, v12, v14, vcc
	v_bfrev_b32_e32 v14, 28
	v_lshlrev_b32_e32 v13, 24, v8
	v_lshl_add_u32 v7, v7, 23, v14
	v_and_or_b32 v7, v13, s96, v7
	v_lshl_or_b32 v7, v12, 21, v7
                                        ; implicit-def: $vgpr12
.LBB2_6575:                             ;   in Loop: Header=BB2_5776 Depth=3
	s_andn2_saveexec_b64 s[70:71], s[70:71]
; %bb.6576:                             ;   in Loop: Header=BB2_5776 Depth=3
	v_mov_b32_e32 v7, -1
	v_cmp_gt_i16_sdwa vcc, sext(v8), v7 src0_sel:BYTE_0 src1_sel:DWORD
	v_mov_b32_e32 v7, 0xc7600000
	v_mov_b32_e32 v13, 0x47600000
	v_cndmask_b32_e32 v7, v7, v13, vcc
	v_cmp_eq_u32_e32 vcc, 0, v12
	v_mov_b32_e32 v12, 0x7f800001
	v_cndmask_b32_e32 v7, v12, v7, vcc
; %bb.6577:                             ;   in Loop: Header=BB2_5776 Depth=3
	s_or_b64 exec, exec, s[70:71]
.LBB2_6578:                             ;   in Loop: Header=BB2_5776 Depth=3
	s_or_b64 exec, exec, s[68:69]
.LBB2_6579:                             ;   in Loop: Header=BB2_5776 Depth=3
	s_or_b64 exec, exec, s[30:31]
	v_max_f32_e32 v7, v7, v7
	v_max_f32_e32 v0, v0, v0
	v_min_f32_e32 v7, v0, v7
.LBB2_6580:                             ;   in Loop: Header=BB2_5776 Depth=3
	v_and_b32_sdwa v0, v7, s97 dst_sel:DWORD dst_unused:UNUSED_PAD src0_sel:BYTE_3 src1_sel:DWORD
	v_and_b32_e32 v12, 0x7f800000, v7
	v_mov_b32_e32 v13, v51
	v_and_b32_e32 v50, 0x7fffff, v7
	v_or_b32_e32 v19, 0x7b, v0
	v_cmp_ne_u64_e32 vcc, s[52:53], v[12:13]
	s_and_saveexec_b64 s[30:31], vcc
	s_xor_b64 s[68:69], exec, s[30:31]
	s_cbranch_execz .LBB2_6590
; %bb.6581:                             ;   in Loop: Header=BB2_5776 Depth=3
	v_and_b32_e32 v12, 0x7fffffff, v7
	v_mov_b32_e32 v13, v51
	v_cmp_gt_u64_e32 vcc, s[54:55], v[12:13]
	s_and_saveexec_b64 s[70:71], vcc
	s_cbranch_execz .LBB2_6589
; %bb.6582:                             ;   in Loop: Header=BB2_5776 Depth=3
	v_cmp_ne_u32_e32 vcc, 0, v7
	v_mov_b32_e32 v19, 0
	s_and_saveexec_b64 s[72:73], vcc
	s_cbranch_execz .LBB2_6588
; %bb.6583:                             ;   in Loop: Header=BB2_5776 Depth=3
	v_bfe_u32 v7, v7, 23, 8
	v_sub_u32_e32 v13, 0x71, v7
	v_cmp_gt_u32_e32 vcc, s38, v7
	v_add_u32_e32 v12, 0xffffff81, v7
	v_cndmask_b32_e32 v13, 0, v13, vcc
	v_cmp_eq_u32_e32 vcc, 0, v7
	v_mov_b32_e32 v7, 0xffffff82
	v_cndmask_b32_e32 v7, v12, v7, vcc
	v_mov_b32_e32 v12, 0x70
	v_or_b32_e32 v14, 0x800000, v50
	v_cndmask_b32_e32 v15, v13, v12, vcc
	v_cndmask_b32_e32 v50, v14, v50, vcc
	v_add_u32_e32 v12, 21, v15
	v_lshlrev_b64 v[12:13], v12, -1
	v_add_u32_e32 v14, 20, v15
	v_lshrrev_b64 v[22:23], v15, v[50:51]
	v_not_b32_e32 v13, v13
	v_not_b32_e32 v12, v12
	v_lshlrev_b64 v[16:17], v14, 1
	v_lshrrev_b32_e32 v14, 23, v22
	v_and_b32_e32 v13, 0, v13
	v_and_b32_e32 v12, v50, v12
	v_add3_u32 v15, v15, v7, v14
	v_bfe_u32 v7, v22, 21, 1
	v_add_u32_e32 v7, -1, v7
	v_cmp_eq_u64_e32 vcc, v[12:13], v[16:17]
	v_cndmask_b32_e32 v7, 0, v7, vcc
	v_add_u32_e32 v7, v7, v22
	v_and_b32_e32 v7, 0x1fffff, v7
	v_add_co_u32_e32 v12, vcc, v7, v22
	v_add_u32_e32 v14, 14, v15
	v_addc_co_u32_e32 v13, vcc, 0, v23, vcc
	v_cmp_ne_u32_e32 vcc, 0, v14
                                        ; implicit-def: $vgpr7
	s_and_saveexec_b64 s[30:31], vcc
	s_xor_b64 s[30:31], exec, s[30:31]
; %bb.6584:                             ;   in Loop: Header=BB2_5776 Depth=3
	v_add_u32_e32 v7, 15, v15
	v_cmp_lt_u64_e32 vcc, s[56:57], v[12:13]
	v_cndmask_b32_e32 v7, v14, v7, vcc
	v_cndmask_b32_e64 v14, 0, 1, vcc
	v_lshrrev_b64 v[12:13], v14, v[12:13]
; %bb.6585:                             ;   in Loop: Header=BB2_5776 Depth=3
	s_andn2_saveexec_b64 vcc, s[30:31]
; %bb.6586:                             ;   in Loop: Header=BB2_5776 Depth=3
	v_bfe_u32 v7, v12, 23, 1
; %bb.6587:                             ;   in Loop: Header=BB2_5776 Depth=3
	s_or_b64 exec, exec, vcc
	v_lshrrev_b64 v[12:13], 21, v[12:13]
	v_cmp_gt_i32_e32 vcc, 32, v7
	v_cndmask_b32_e32 v13, 0, v13, vcc
	v_cndmask_b32_e32 v12, 3, v12, vcc
	v_cmp_eq_u32_e32 vcc, 0, v7
	v_min_i32_e32 v7, 31, v7
	v_cmp_eq_u64_e64 s[30:31], 0, v[12:13]
	v_lshlrev_b32_e32 v7, 2, v7
	v_and_or_b32 v7, v12, 3, v7
	s_and_b64 vcc, vcc, s[30:31]
	v_cndmask_b32_e64 v7, v7, 0, vcc
	v_or_b32_e32 v19, v7, v0
.LBB2_6588:                             ;   in Loop: Header=BB2_5776 Depth=3
	s_or_b64 exec, exec, s[72:73]
.LBB2_6589:                             ;   in Loop: Header=BB2_5776 Depth=3
	s_or_b64 exec, exec, s[70:71]
                                        ; implicit-def: $vgpr7
.LBB2_6590:                             ;   in Loop: Header=BB2_5776 Depth=3
	s_andn2_saveexec_b64 s[30:31], s[68:69]
; %bb.6591:                             ;   in Loop: Header=BB2_5776 Depth=3
	v_or_b32_sdwa v0, v7, s39 dst_sel:DWORD dst_unused:UNUSED_PAD src0_sel:BYTE_3 src1_sel:DWORD
	v_cmp_eq_u64_e32 vcc, 0, v[50:51]
	v_cndmask_b32_e32 v19, v0, v19, vcc
; %bb.6592:                             ;   in Loop: Header=BB2_5776 Depth=3
	s_or_b64 exec, exec, s[30:31]
	v_lshrrev_b16_e32 v50, 8, v26
	s_waitcnt vmcnt(0)
	v_lshrrev_b16_e32 v12, 8, v8
	s_and_b64 vcc, exec, s[28:29]
	v_cmp_ne_u16_e64 s[30:31], 0, v50
	s_cbranch_vccnz .LBB2_6610
; %bb.6593:                             ;   in Loop: Header=BB2_5776 Depth=3
	v_mov_b32_e32 v7, 0
	v_mov_b32_e32 v0, 0
	s_and_saveexec_b64 s[68:69], s[30:31]
	s_cbranch_execz .LBB2_6601
; %bb.6594:                             ;   in Loop: Header=BB2_5776 Depth=3
	v_cmp_ne_u16_e32 vcc, s97, v50
	v_bfrev_b32_e32 v0, 1
	s_and_saveexec_b64 s[70:71], vcc
	s_cbranch_execz .LBB2_6600
; %bb.6595:                             ;   in Loop: Header=BB2_5776 Depth=3
	v_and_b32_e32 v0, 0x7c, v50
	v_and_b32_e32 v13, 3, v50
	v_cmp_ne_u32_e32 vcc, s95, v0
                                        ; implicit-def: $vgpr0
	s_and_saveexec_b64 s[72:73], vcc
	s_xor_b64 s[72:73], exec, s[72:73]
	s_cbranch_execz .LBB2_6597
; %bb.6596:                             ;   in Loop: Header=BB2_5776 Depth=3
	v_ffbh_u32_e32 v14, v13
	v_min_u32_e32 v16, 32, v14
	v_subrev_u32_e32 v14, 29, v16
	v_bfe_u32 v0, v50, 2, 5
	v_lshlrev_b64 v[14:15], v14, v[50:51]
	v_sub_u32_e32 v15, 30, v16
	v_cmp_eq_u32_e32 vcc, 0, v0
	v_and_b32_e32 v14, 3, v14
	v_cndmask_b32_e32 v0, v0, v15, vcc
	v_bfrev_b32_e32 v15, 28
	v_cndmask_b32_e32 v13, v13, v14, vcc
	v_lshlrev_b32_e32 v14, 16, v26
	v_lshl_add_u32 v0, v0, 23, v15
	v_and_or_b32 v0, v14, s96, v0
	v_lshl_or_b32 v0, v13, 21, v0
                                        ; implicit-def: $vgpr13
.LBB2_6597:                             ;   in Loop: Header=BB2_5776 Depth=3
	s_andn2_saveexec_b64 s[72:73], s[72:73]
; %bb.6598:                             ;   in Loop: Header=BB2_5776 Depth=3
	v_cmp_lt_i16_e32 vcc, -1, v26
	v_mov_b32_e32 v0, 0xc7600000
	v_mov_b32_e32 v14, 0x47600000
	v_cndmask_b32_e32 v0, v0, v14, vcc
	v_cmp_eq_u32_e32 vcc, 0, v13
	v_mov_b32_e32 v13, 0x7f800001
	v_cndmask_b32_e32 v0, v13, v0, vcc
; %bb.6599:                             ;   in Loop: Header=BB2_5776 Depth=3
	s_or_b64 exec, exec, s[72:73]
.LBB2_6600:                             ;   in Loop: Header=BB2_5776 Depth=3
	s_or_b64 exec, exec, s[70:71]
.LBB2_6601:                             ;   in Loop: Header=BB2_5776 Depth=3
	s_or_b64 exec, exec, s[68:69]
	v_cmp_ne_u16_e32 vcc, 0, v12
	s_and_saveexec_b64 s[68:69], vcc
	s_cbranch_execz .LBB2_6609
; %bb.6602:                             ;   in Loop: Header=BB2_5776 Depth=3
	v_cmp_ne_u16_e32 vcc, s97, v12
	v_bfrev_b32_e32 v7, 1
	s_and_saveexec_b64 s[70:71], vcc
	s_cbranch_execz .LBB2_6608
; %bb.6603:                             ;   in Loop: Header=BB2_5776 Depth=3
	v_and_b32_e32 v7, 0x7c, v12
	v_and_b32_e32 v14, 3, v12
	v_cmp_ne_u32_e32 vcc, s95, v7
                                        ; implicit-def: $vgpr7
	s_and_saveexec_b64 s[72:73], vcc
	s_xor_b64 s[72:73], exec, s[72:73]
	s_cbranch_execz .LBB2_6605
; %bb.6604:                             ;   in Loop: Header=BB2_5776 Depth=3
	v_ffbh_u32_e32 v15, v14
	v_min_u32_e32 v15, 32, v15
	v_mov_b32_e32 v13, v51
	v_subrev_u32_e32 v16, 29, v15
	v_bfe_u32 v7, v12, 2, 5
	v_lshlrev_b64 v[16:17], v16, v[12:13]
	v_sub_u32_e32 v13, 30, v15
	v_and_b32_e32 v15, 3, v16
	v_cmp_eq_u32_e32 vcc, 0, v7
	v_cndmask_b32_e32 v7, v7, v13, vcc
	v_cndmask_b32_e32 v13, v14, v15, vcc
	v_bfrev_b32_e32 v15, 28
	v_lshlrev_b32_e32 v14, 16, v8
	v_lshl_add_u32 v7, v7, 23, v15
	v_and_or_b32 v7, v14, s96, v7
	v_lshl_or_b32 v7, v13, 21, v7
                                        ; implicit-def: $vgpr14
.LBB2_6605:                             ;   in Loop: Header=BB2_5776 Depth=3
	s_andn2_saveexec_b64 s[72:73], s[72:73]
; %bb.6606:                             ;   in Loop: Header=BB2_5776 Depth=3
	v_cmp_lt_i16_e32 vcc, -1, v8
	v_mov_b32_e32 v7, 0xc7600000
	v_mov_b32_e32 v13, 0x47600000
	v_cndmask_b32_e32 v7, v7, v13, vcc
	v_cmp_eq_u32_e32 vcc, 0, v14
	v_mov_b32_e32 v13, 0x7f800001
	v_cndmask_b32_e32 v7, v13, v7, vcc
; %bb.6607:                             ;   in Loop: Header=BB2_5776 Depth=3
	s_or_b64 exec, exec, s[72:73]
.LBB2_6608:                             ;   in Loop: Header=BB2_5776 Depth=3
	s_or_b64 exec, exec, s[70:71]
.LBB2_6609:                             ;   in Loop: Header=BB2_5776 Depth=3
	s_or_b64 exec, exec, s[68:69]
	v_max_f32_e32 v7, v7, v7
	v_max_f32_e32 v0, v0, v0
	;; [unrolled: 1-line block ×3, first 2 shown]
	s_branch .LBB2_6628
.LBB2_6610:                             ;   in Loop: Header=BB2_5776 Depth=3
                                        ; implicit-def: $vgpr7
	s_cbranch_execz .LBB2_6628
; %bb.6611:                             ;   in Loop: Header=BB2_5776 Depth=3
	v_mov_b32_e32 v7, 0
	v_mov_b32_e32 v0, 0
	s_and_saveexec_b64 s[68:69], s[30:31]
	s_cbranch_execz .LBB2_6619
; %bb.6612:                             ;   in Loop: Header=BB2_5776 Depth=3
	v_cmp_ne_u16_e32 vcc, s97, v50
	v_bfrev_b32_e32 v0, 1
	s_and_saveexec_b64 s[30:31], vcc
	s_cbranch_execz .LBB2_6618
; %bb.6613:                             ;   in Loop: Header=BB2_5776 Depth=3
	v_and_b32_e32 v0, 0x7c, v50
	v_and_b32_e32 v13, 3, v50
	v_cmp_ne_u32_e32 vcc, s95, v0
                                        ; implicit-def: $vgpr0
	s_and_saveexec_b64 s[70:71], vcc
	s_xor_b64 s[70:71], exec, s[70:71]
	s_cbranch_execz .LBB2_6615
; %bb.6614:                             ;   in Loop: Header=BB2_5776 Depth=3
	v_ffbh_u32_e32 v14, v13
	v_min_u32_e32 v16, 32, v14
	v_subrev_u32_e32 v14, 29, v16
	v_bfe_u32 v0, v50, 2, 5
	v_lshlrev_b64 v[14:15], v14, v[50:51]
	v_sub_u32_e32 v15, 30, v16
	v_cmp_eq_u32_e32 vcc, 0, v0
	v_and_b32_e32 v14, 3, v14
	v_cndmask_b32_e32 v0, v0, v15, vcc
	v_bfrev_b32_e32 v15, 28
	v_cndmask_b32_e32 v13, v13, v14, vcc
	v_lshlrev_b32_e32 v14, 16, v26
	v_lshl_add_u32 v0, v0, 23, v15
	v_and_or_b32 v0, v14, s96, v0
	v_lshl_or_b32 v0, v13, 21, v0
                                        ; implicit-def: $vgpr13
.LBB2_6615:                             ;   in Loop: Header=BB2_5776 Depth=3
	s_andn2_saveexec_b64 s[70:71], s[70:71]
; %bb.6616:                             ;   in Loop: Header=BB2_5776 Depth=3
	v_cmp_lt_i16_e32 vcc, -1, v26
	v_mov_b32_e32 v0, 0xc7600000
	v_mov_b32_e32 v14, 0x47600000
	v_cndmask_b32_e32 v0, v0, v14, vcc
	v_cmp_eq_u32_e32 vcc, 0, v13
	v_mov_b32_e32 v13, 0x7f800001
	v_cndmask_b32_e32 v0, v13, v0, vcc
; %bb.6617:                             ;   in Loop: Header=BB2_5776 Depth=3
	s_or_b64 exec, exec, s[70:71]
.LBB2_6618:                             ;   in Loop: Header=BB2_5776 Depth=3
	s_or_b64 exec, exec, s[30:31]
.LBB2_6619:                             ;   in Loop: Header=BB2_5776 Depth=3
	s_or_b64 exec, exec, s[68:69]
	v_cmp_ne_u16_e32 vcc, 0, v12
	s_and_saveexec_b64 s[30:31], vcc
	s_cbranch_execz .LBB2_6627
; %bb.6620:                             ;   in Loop: Header=BB2_5776 Depth=3
	v_cmp_ne_u16_e32 vcc, s97, v12
	v_bfrev_b32_e32 v7, 1
	s_and_saveexec_b64 s[68:69], vcc
	s_cbranch_execz .LBB2_6626
; %bb.6621:                             ;   in Loop: Header=BB2_5776 Depth=3
	v_and_b32_e32 v7, 0x7c, v12
	v_and_b32_e32 v14, 3, v12
	v_cmp_ne_u32_e32 vcc, s95, v7
                                        ; implicit-def: $vgpr7
	s_and_saveexec_b64 s[70:71], vcc
	s_xor_b64 s[70:71], exec, s[70:71]
	s_cbranch_execz .LBB2_6623
; %bb.6622:                             ;   in Loop: Header=BB2_5776 Depth=3
	v_ffbh_u32_e32 v15, v14
	v_min_u32_e32 v15, 32, v15
	v_mov_b32_e32 v13, v51
	v_subrev_u32_e32 v16, 29, v15
	v_bfe_u32 v7, v12, 2, 5
	v_lshlrev_b64 v[12:13], v16, v[12:13]
	v_sub_u32_e32 v13, 30, v15
	v_and_b32_e32 v12, 3, v12
	v_cmp_eq_u32_e32 vcc, 0, v7
	v_cndmask_b32_e32 v7, v7, v13, vcc
	v_cndmask_b32_e32 v12, v14, v12, vcc
	v_bfrev_b32_e32 v14, 28
	v_lshlrev_b32_e32 v13, 16, v8
	v_lshl_add_u32 v7, v7, 23, v14
	v_and_or_b32 v7, v13, s96, v7
	v_lshl_or_b32 v7, v12, 21, v7
                                        ; implicit-def: $vgpr14
.LBB2_6623:                             ;   in Loop: Header=BB2_5776 Depth=3
	s_andn2_saveexec_b64 s[70:71], s[70:71]
; %bb.6624:                             ;   in Loop: Header=BB2_5776 Depth=3
	v_cmp_lt_i16_e32 vcc, -1, v8
	v_mov_b32_e32 v7, 0xc7600000
	v_mov_b32_e32 v12, 0x47600000
	v_cndmask_b32_e32 v7, v7, v12, vcc
	v_cmp_eq_u32_e32 vcc, 0, v14
	v_mov_b32_e32 v12, 0x7f800001
	v_cndmask_b32_e32 v7, v12, v7, vcc
; %bb.6625:                             ;   in Loop: Header=BB2_5776 Depth=3
	s_or_b64 exec, exec, s[70:71]
.LBB2_6626:                             ;   in Loop: Header=BB2_5776 Depth=3
	s_or_b64 exec, exec, s[68:69]
.LBB2_6627:                             ;   in Loop: Header=BB2_5776 Depth=3
	s_or_b64 exec, exec, s[30:31]
	v_max_f32_e32 v7, v7, v7
	v_max_f32_e32 v0, v0, v0
	v_min_f32_e32 v7, v0, v7
.LBB2_6628:                             ;   in Loop: Header=BB2_5776 Depth=3
	v_and_b32_sdwa v0, v7, s97 dst_sel:DWORD dst_unused:UNUSED_PAD src0_sel:BYTE_3 src1_sel:DWORD
	v_and_b32_e32 v12, 0x7f800000, v7
	v_mov_b32_e32 v13, v51
	v_and_b32_e32 v50, 0x7fffff, v7
	v_or_b32_e32 v22, 0x7b, v0
	v_cmp_ne_u64_e32 vcc, s[52:53], v[12:13]
	s_and_saveexec_b64 s[30:31], vcc
	s_xor_b64 s[68:69], exec, s[30:31]
	s_cbranch_execz .LBB2_6638
; %bb.6629:                             ;   in Loop: Header=BB2_5776 Depth=3
	v_and_b32_e32 v12, 0x7fffffff, v7
	v_mov_b32_e32 v13, v51
	v_cmp_gt_u64_e32 vcc, s[54:55], v[12:13]
	s_and_saveexec_b64 s[70:71], vcc
	s_cbranch_execz .LBB2_6637
; %bb.6630:                             ;   in Loop: Header=BB2_5776 Depth=3
	v_cmp_ne_u32_e32 vcc, 0, v7
	v_mov_b32_e32 v22, 0
	s_and_saveexec_b64 s[72:73], vcc
	s_cbranch_execz .LBB2_6636
; %bb.6631:                             ;   in Loop: Header=BB2_5776 Depth=3
	v_bfe_u32 v7, v7, 23, 8
	v_sub_u32_e32 v13, 0x71, v7
	v_cmp_gt_u32_e32 vcc, s38, v7
	v_add_u32_e32 v12, 0xffffff81, v7
	v_cndmask_b32_e32 v13, 0, v13, vcc
	v_cmp_eq_u32_e32 vcc, 0, v7
	v_mov_b32_e32 v7, 0xffffff82
	v_cndmask_b32_e32 v7, v12, v7, vcc
	v_mov_b32_e32 v12, 0x70
	v_or_b32_e32 v14, 0x800000, v50
	v_cndmask_b32_e32 v15, v13, v12, vcc
	v_cndmask_b32_e32 v50, v14, v50, vcc
	v_add_u32_e32 v12, 21, v15
	v_lshlrev_b64 v[12:13], v12, -1
	v_add_u32_e32 v14, 20, v15
	v_lshrrev_b64 v[22:23], v15, v[50:51]
	v_not_b32_e32 v13, v13
	v_not_b32_e32 v12, v12
	v_lshlrev_b64 v[16:17], v14, 1
	v_lshrrev_b32_e32 v14, 23, v22
	v_and_b32_e32 v13, 0, v13
	v_and_b32_e32 v12, v50, v12
	v_add3_u32 v15, v15, v7, v14
	v_bfe_u32 v7, v22, 21, 1
	v_add_u32_e32 v7, -1, v7
	v_cmp_eq_u64_e32 vcc, v[12:13], v[16:17]
	v_cndmask_b32_e32 v7, 0, v7, vcc
	v_add_u32_e32 v7, v7, v22
	v_and_b32_e32 v7, 0x1fffff, v7
	v_add_co_u32_e32 v12, vcc, v7, v22
	v_add_u32_e32 v14, 14, v15
	v_addc_co_u32_e32 v13, vcc, 0, v23, vcc
	v_cmp_ne_u32_e32 vcc, 0, v14
                                        ; implicit-def: $vgpr7
	s_and_saveexec_b64 s[30:31], vcc
	s_xor_b64 s[30:31], exec, s[30:31]
; %bb.6632:                             ;   in Loop: Header=BB2_5776 Depth=3
	v_add_u32_e32 v7, 15, v15
	v_cmp_lt_u64_e32 vcc, s[56:57], v[12:13]
	v_cndmask_b32_e32 v7, v14, v7, vcc
	v_cndmask_b32_e64 v14, 0, 1, vcc
	v_lshrrev_b64 v[12:13], v14, v[12:13]
; %bb.6633:                             ;   in Loop: Header=BB2_5776 Depth=3
	s_andn2_saveexec_b64 vcc, s[30:31]
; %bb.6634:                             ;   in Loop: Header=BB2_5776 Depth=3
	v_bfe_u32 v7, v12, 23, 1
; %bb.6635:                             ;   in Loop: Header=BB2_5776 Depth=3
	s_or_b64 exec, exec, vcc
	v_lshrrev_b64 v[12:13], 21, v[12:13]
	v_cmp_gt_i32_e32 vcc, 32, v7
	v_cndmask_b32_e32 v13, 0, v13, vcc
	v_cndmask_b32_e32 v12, 3, v12, vcc
	v_cmp_eq_u32_e32 vcc, 0, v7
	v_min_i32_e32 v7, 31, v7
	v_cmp_eq_u64_e64 s[30:31], 0, v[12:13]
	v_lshlrev_b32_e32 v7, 2, v7
	v_and_or_b32 v7, v12, 3, v7
	s_and_b64 vcc, vcc, s[30:31]
	v_cndmask_b32_e64 v7, v7, 0, vcc
	v_or_b32_e32 v22, v7, v0
.LBB2_6636:                             ;   in Loop: Header=BB2_5776 Depth=3
	s_or_b64 exec, exec, s[72:73]
.LBB2_6637:                             ;   in Loop: Header=BB2_5776 Depth=3
	s_or_b64 exec, exec, s[70:71]
                                        ; implicit-def: $vgpr7
.LBB2_6638:                             ;   in Loop: Header=BB2_5776 Depth=3
	s_andn2_saveexec_b64 s[30:31], s[68:69]
; %bb.6639:                             ;   in Loop: Header=BB2_5776 Depth=3
	v_or_b32_sdwa v0, v7, s39 dst_sel:DWORD dst_unused:UNUSED_PAD src0_sel:BYTE_3 src1_sel:DWORD
	v_cmp_eq_u64_e32 vcc, 0, v[50:51]
	v_cndmask_b32_e32 v22, v0, v22, vcc
; %bb.6640:                             ;   in Loop: Header=BB2_5776 Depth=3
	s_or_b64 exec, exec, s[30:31]
	v_lshrrev_b32_e32 v14, 16, v26
	v_lshrrev_b32_e32 v12, 16, v8
	s_and_b64 vcc, exec, s[28:29]
	v_cmp_ne_u16_sdwa s[30:31], v14, v51 src0_sel:BYTE_0 src1_sel:DWORD
	s_cbranch_vccnz .LBB2_6658
; %bb.6641:                             ;   in Loop: Header=BB2_5776 Depth=3
	v_mov_b32_e32 v7, 0
	v_mov_b32_e32 v0, 0
	s_and_saveexec_b64 s[68:69], s[30:31]
	s_cbranch_execz .LBB2_6649
; %bb.6642:                             ;   in Loop: Header=BB2_5776 Depth=3
	v_cmp_ne_u16_sdwa vcc, v14, s97 src0_sel:BYTE_0 src1_sel:DWORD
	v_bfrev_b32_e32 v0, 1
	s_and_saveexec_b64 s[70:71], vcc
	s_cbranch_execz .LBB2_6648
; %bb.6643:                             ;   in Loop: Header=BB2_5776 Depth=3
	v_and_b32_e32 v0, 0x7c0000, v26
	v_bfe_u32 v13, v26, 16, 2
	v_cmp_ne_u32_e32 vcc, s36, v0
                                        ; implicit-def: $vgpr0
	s_and_saveexec_b64 s[72:73], vcc
	s_xor_b64 s[72:73], exec, s[72:73]
	s_cbranch_execz .LBB2_6645
; %bb.6644:                             ;   in Loop: Header=BB2_5776 Depth=3
	v_ffbh_u32_e32 v15, v13
	v_min_u32_e32 v15, 32, v15
	v_subrev_u32_e32 v16, 29, v15
	v_bfe_u32 v0, v26, 18, 5
	v_lshlrev_b64 v[16:17], v16, v[14:15]
	v_sub_u32_e32 v15, 30, v15
	v_and_b32_e32 v16, 3, v16
	v_cmp_eq_u32_e32 vcc, 0, v0
	v_cndmask_b32_e32 v0, v0, v15, vcc
	v_cndmask_b32_e32 v13, v13, v16, vcc
	v_bfrev_b32_e32 v16, 28
	v_lshlrev_b32_e32 v15, 24, v14
	v_lshl_add_u32 v0, v0, 23, v16
	v_and_or_b32 v0, v15, s96, v0
	v_lshl_or_b32 v0, v13, 21, v0
                                        ; implicit-def: $vgpr13
.LBB2_6645:                             ;   in Loop: Header=BB2_5776 Depth=3
	s_andn2_saveexec_b64 s[72:73], s[72:73]
; %bb.6646:                             ;   in Loop: Header=BB2_5776 Depth=3
	v_mov_b32_e32 v0, -1
	v_cmp_gt_i16_sdwa vcc, sext(v14), v0 src0_sel:BYTE_0 src1_sel:DWORD
	v_mov_b32_e32 v0, 0xc7600000
	v_mov_b32_e32 v15, 0x47600000
	v_cndmask_b32_e32 v0, v0, v15, vcc
	v_cmp_eq_u32_e32 vcc, 0, v13
	v_mov_b32_e32 v13, 0x7f800001
	v_cndmask_b32_e32 v0, v13, v0, vcc
; %bb.6647:                             ;   in Loop: Header=BB2_5776 Depth=3
	s_or_b64 exec, exec, s[72:73]
.LBB2_6648:                             ;   in Loop: Header=BB2_5776 Depth=3
	s_or_b64 exec, exec, s[70:71]
.LBB2_6649:                             ;   in Loop: Header=BB2_5776 Depth=3
	s_or_b64 exec, exec, s[68:69]
	v_cmp_ne_u16_sdwa vcc, v12, v51 src0_sel:BYTE_0 src1_sel:DWORD
	s_and_saveexec_b64 s[68:69], vcc
	s_cbranch_execz .LBB2_6657
; %bb.6650:                             ;   in Loop: Header=BB2_5776 Depth=3
	v_cmp_ne_u16_sdwa vcc, v12, s97 src0_sel:BYTE_0 src1_sel:DWORD
	v_bfrev_b32_e32 v7, 1
	s_and_saveexec_b64 s[70:71], vcc
	s_cbranch_execz .LBB2_6656
; %bb.6651:                             ;   in Loop: Header=BB2_5776 Depth=3
	v_and_b32_e32 v7, 0x7c0000, v8
	v_bfe_u32 v13, v8, 16, 2
	v_cmp_ne_u32_e32 vcc, s36, v7
                                        ; implicit-def: $vgpr7
	s_and_saveexec_b64 s[72:73], vcc
	s_xor_b64 s[72:73], exec, s[72:73]
	s_cbranch_execz .LBB2_6653
; %bb.6652:                             ;   in Loop: Header=BB2_5776 Depth=3
	v_ffbh_u32_e32 v15, v13
	v_min_u32_e32 v15, 32, v15
	v_subrev_u32_e32 v16, 29, v15
	v_bfe_u32 v7, v8, 18, 5
	v_lshlrev_b64 v[16:17], v16, v[12:13]
	v_sub_u32_e32 v15, 30, v15
	v_and_b32_e32 v16, 3, v16
	v_cmp_eq_u32_e32 vcc, 0, v7
	v_cndmask_b32_e32 v7, v7, v15, vcc
	v_cndmask_b32_e32 v13, v13, v16, vcc
	v_bfrev_b32_e32 v16, 28
	v_lshlrev_b32_e32 v15, 24, v12
	v_lshl_add_u32 v7, v7, 23, v16
	v_and_or_b32 v7, v15, s96, v7
	v_lshl_or_b32 v7, v13, 21, v7
                                        ; implicit-def: $vgpr13
.LBB2_6653:                             ;   in Loop: Header=BB2_5776 Depth=3
	s_andn2_saveexec_b64 s[72:73], s[72:73]
; %bb.6654:                             ;   in Loop: Header=BB2_5776 Depth=3
	v_mov_b32_e32 v7, -1
	v_cmp_gt_i16_sdwa vcc, sext(v12), v7 src0_sel:BYTE_0 src1_sel:DWORD
	v_mov_b32_e32 v7, 0xc7600000
	v_mov_b32_e32 v15, 0x47600000
	v_cndmask_b32_e32 v7, v7, v15, vcc
	v_cmp_eq_u32_e32 vcc, 0, v13
	v_mov_b32_e32 v13, 0x7f800001
	v_cndmask_b32_e32 v7, v13, v7, vcc
; %bb.6655:                             ;   in Loop: Header=BB2_5776 Depth=3
	s_or_b64 exec, exec, s[72:73]
.LBB2_6656:                             ;   in Loop: Header=BB2_5776 Depth=3
	s_or_b64 exec, exec, s[70:71]
.LBB2_6657:                             ;   in Loop: Header=BB2_5776 Depth=3
	s_or_b64 exec, exec, s[68:69]
	v_max_f32_e32 v7, v7, v7
	v_max_f32_e32 v0, v0, v0
	;; [unrolled: 1-line block ×3, first 2 shown]
	s_branch .LBB2_6676
.LBB2_6658:                             ;   in Loop: Header=BB2_5776 Depth=3
                                        ; implicit-def: $vgpr7
	s_cbranch_execz .LBB2_6676
; %bb.6659:                             ;   in Loop: Header=BB2_5776 Depth=3
	v_mov_b32_e32 v7, 0
	v_mov_b32_e32 v0, 0
	s_and_saveexec_b64 s[68:69], s[30:31]
	s_cbranch_execz .LBB2_6667
; %bb.6660:                             ;   in Loop: Header=BB2_5776 Depth=3
	v_cmp_ne_u16_sdwa vcc, v14, s97 src0_sel:BYTE_0 src1_sel:DWORD
	v_bfrev_b32_e32 v0, 1
	s_and_saveexec_b64 s[30:31], vcc
	s_cbranch_execz .LBB2_6666
; %bb.6661:                             ;   in Loop: Header=BB2_5776 Depth=3
	v_and_b32_e32 v0, 0x7c0000, v26
	v_bfe_u32 v13, v26, 16, 2
	v_cmp_ne_u32_e32 vcc, s36, v0
                                        ; implicit-def: $vgpr0
	s_and_saveexec_b64 s[70:71], vcc
	s_xor_b64 s[70:71], exec, s[70:71]
	s_cbranch_execz .LBB2_6663
; %bb.6662:                             ;   in Loop: Header=BB2_5776 Depth=3
	v_ffbh_u32_e32 v15, v13
	v_min_u32_e32 v15, 32, v15
	v_bfe_u32 v0, v26, 18, 5
	v_subrev_u32_e32 v16, 29, v15
	v_lshlrev_b64 v[16:17], v16, v[14:15]
	v_sub_u32_e32 v15, 30, v15
	v_cmp_eq_u32_e32 vcc, 0, v0
	v_cndmask_b32_e32 v0, v0, v15, vcc
	v_bfrev_b32_e32 v15, 28
	v_and_b32_e32 v16, 3, v16
	v_lshlrev_b32_e32 v14, 24, v14
	v_lshl_add_u32 v0, v0, 23, v15
	v_cndmask_b32_e32 v13, v13, v16, vcc
	v_and_or_b32 v0, v14, s96, v0
	v_lshl_or_b32 v0, v13, 21, v0
                                        ; implicit-def: $vgpr13
                                        ; implicit-def: $vgpr14
.LBB2_6663:                             ;   in Loop: Header=BB2_5776 Depth=3
	s_andn2_saveexec_b64 s[70:71], s[70:71]
; %bb.6664:                             ;   in Loop: Header=BB2_5776 Depth=3
	v_mov_b32_e32 v0, -1
	v_cmp_gt_i16_sdwa vcc, sext(v14), v0 src0_sel:BYTE_0 src1_sel:DWORD
	v_mov_b32_e32 v0, 0xc7600000
	v_mov_b32_e32 v14, 0x47600000
	v_cndmask_b32_e32 v0, v0, v14, vcc
	v_cmp_eq_u32_e32 vcc, 0, v13
	v_mov_b32_e32 v13, 0x7f800001
	v_cndmask_b32_e32 v0, v13, v0, vcc
; %bb.6665:                             ;   in Loop: Header=BB2_5776 Depth=3
	s_or_b64 exec, exec, s[70:71]
.LBB2_6666:                             ;   in Loop: Header=BB2_5776 Depth=3
	s_or_b64 exec, exec, s[30:31]
.LBB2_6667:                             ;   in Loop: Header=BB2_5776 Depth=3
	s_or_b64 exec, exec, s[68:69]
	v_cmp_ne_u16_sdwa vcc, v12, v51 src0_sel:BYTE_0 src1_sel:DWORD
	s_and_saveexec_b64 s[30:31], vcc
	s_cbranch_execz .LBB2_6675
; %bb.6668:                             ;   in Loop: Header=BB2_5776 Depth=3
	v_cmp_ne_u16_sdwa vcc, v12, s97 src0_sel:BYTE_0 src1_sel:DWORD
	v_bfrev_b32_e32 v7, 1
	s_and_saveexec_b64 s[68:69], vcc
	s_cbranch_execz .LBB2_6674
; %bb.6669:                             ;   in Loop: Header=BB2_5776 Depth=3
	v_and_b32_e32 v7, 0x7c0000, v8
	v_bfe_u32 v13, v8, 16, 2
	v_cmp_ne_u32_e32 vcc, s36, v7
                                        ; implicit-def: $vgpr7
	s_and_saveexec_b64 s[70:71], vcc
	s_xor_b64 s[70:71], exec, s[70:71]
	s_cbranch_execz .LBB2_6671
; %bb.6670:                             ;   in Loop: Header=BB2_5776 Depth=3
	v_ffbh_u32_e32 v14, v13
	v_min_u32_e32 v16, 32, v14
	v_subrev_u32_e32 v14, 29, v16
	v_bfe_u32 v7, v8, 18, 5
	v_lshlrev_b64 v[14:15], v14, v[12:13]
	v_sub_u32_e32 v15, 30, v16
	v_and_b32_e32 v14, 3, v14
	v_cmp_eq_u32_e32 vcc, 0, v7
	v_cndmask_b32_e32 v7, v7, v15, vcc
	v_cndmask_b32_e32 v13, v13, v14, vcc
	v_bfrev_b32_e32 v14, 28
	v_lshlrev_b32_e32 v12, 24, v12
	v_lshl_add_u32 v7, v7, 23, v14
	v_and_or_b32 v7, v12, s96, v7
	v_lshl_or_b32 v7, v13, 21, v7
                                        ; implicit-def: $vgpr13
                                        ; implicit-def: $vgpr12
.LBB2_6671:                             ;   in Loop: Header=BB2_5776 Depth=3
	s_andn2_saveexec_b64 s[70:71], s[70:71]
; %bb.6672:                             ;   in Loop: Header=BB2_5776 Depth=3
	v_mov_b32_e32 v7, -1
	v_cmp_gt_i16_sdwa vcc, sext(v12), v7 src0_sel:BYTE_0 src1_sel:DWORD
	v_mov_b32_e32 v7, 0xc7600000
	v_mov_b32_e32 v12, 0x47600000
	v_cndmask_b32_e32 v7, v7, v12, vcc
	v_cmp_eq_u32_e32 vcc, 0, v13
	v_mov_b32_e32 v12, 0x7f800001
	v_cndmask_b32_e32 v7, v12, v7, vcc
; %bb.6673:                             ;   in Loop: Header=BB2_5776 Depth=3
	s_or_b64 exec, exec, s[70:71]
.LBB2_6674:                             ;   in Loop: Header=BB2_5776 Depth=3
	s_or_b64 exec, exec, s[68:69]
.LBB2_6675:                             ;   in Loop: Header=BB2_5776 Depth=3
	s_or_b64 exec, exec, s[30:31]
	v_max_f32_e32 v7, v7, v7
	v_max_f32_e32 v0, v0, v0
	v_min_f32_e32 v7, v0, v7
.LBB2_6676:                             ;   in Loop: Header=BB2_5776 Depth=3
	v_and_b32_sdwa v0, v7, s97 dst_sel:DWORD dst_unused:UNUSED_PAD src0_sel:BYTE_3 src1_sel:DWORD
	v_and_b32_e32 v12, 0x7f800000, v7
	v_mov_b32_e32 v13, v51
	v_and_b32_e32 v50, 0x7fffff, v7
	v_or_b32_e32 v23, 0x7b, v0
	v_cmp_ne_u64_e32 vcc, s[52:53], v[12:13]
	s_and_saveexec_b64 s[30:31], vcc
	s_xor_b64 s[68:69], exec, s[30:31]
	s_cbranch_execz .LBB2_6686
; %bb.6677:                             ;   in Loop: Header=BB2_5776 Depth=3
	v_and_b32_e32 v12, 0x7fffffff, v7
	v_mov_b32_e32 v13, v51
	v_cmp_gt_u64_e32 vcc, s[54:55], v[12:13]
	s_and_saveexec_b64 s[70:71], vcc
	s_cbranch_execz .LBB2_6685
; %bb.6678:                             ;   in Loop: Header=BB2_5776 Depth=3
	v_cmp_ne_u32_e32 vcc, 0, v7
	v_mov_b32_e32 v23, 0
	s_and_saveexec_b64 s[72:73], vcc
	s_cbranch_execz .LBB2_6684
; %bb.6679:                             ;   in Loop: Header=BB2_5776 Depth=3
	v_bfe_u32 v7, v7, 23, 8
	v_sub_u32_e32 v13, 0x71, v7
	v_cmp_gt_u32_e32 vcc, s38, v7
	v_add_u32_e32 v12, 0xffffff81, v7
	v_cndmask_b32_e32 v13, 0, v13, vcc
	v_cmp_eq_u32_e32 vcc, 0, v7
	v_mov_b32_e32 v7, 0xffffff82
	v_cndmask_b32_e32 v7, v12, v7, vcc
	v_mov_b32_e32 v12, 0x70
	v_or_b32_e32 v14, 0x800000, v50
	v_cndmask_b32_e32 v15, v13, v12, vcc
	v_cndmask_b32_e32 v50, v14, v50, vcc
	v_add_u32_e32 v12, 21, v15
	v_lshlrev_b64 v[12:13], v12, -1
	v_add_u32_e32 v14, 20, v15
	v_lshrrev_b64 v[30:31], v15, v[50:51]
	v_not_b32_e32 v13, v13
	v_not_b32_e32 v12, v12
	v_lshlrev_b64 v[16:17], v14, 1
	v_lshrrev_b32_e32 v14, 23, v30
	v_and_b32_e32 v13, 0, v13
	v_and_b32_e32 v12, v50, v12
	v_add3_u32 v15, v15, v7, v14
	v_bfe_u32 v7, v30, 21, 1
	v_add_u32_e32 v7, -1, v7
	v_cmp_eq_u64_e32 vcc, v[12:13], v[16:17]
	v_cndmask_b32_e32 v7, 0, v7, vcc
	v_add_u32_e32 v7, v7, v30
	v_and_b32_e32 v7, 0x1fffff, v7
	v_add_co_u32_e32 v12, vcc, v7, v30
	v_add_u32_e32 v14, 14, v15
	v_addc_co_u32_e32 v13, vcc, 0, v31, vcc
	v_cmp_ne_u32_e32 vcc, 0, v14
                                        ; implicit-def: $vgpr7
	s_and_saveexec_b64 s[30:31], vcc
	s_xor_b64 s[30:31], exec, s[30:31]
; %bb.6680:                             ;   in Loop: Header=BB2_5776 Depth=3
	v_add_u32_e32 v7, 15, v15
	v_cmp_lt_u64_e32 vcc, s[56:57], v[12:13]
	v_cndmask_b32_e32 v7, v14, v7, vcc
	v_cndmask_b32_e64 v14, 0, 1, vcc
	v_lshrrev_b64 v[12:13], v14, v[12:13]
; %bb.6681:                             ;   in Loop: Header=BB2_5776 Depth=3
	s_andn2_saveexec_b64 vcc, s[30:31]
; %bb.6682:                             ;   in Loop: Header=BB2_5776 Depth=3
	v_bfe_u32 v7, v12, 23, 1
; %bb.6683:                             ;   in Loop: Header=BB2_5776 Depth=3
	s_or_b64 exec, exec, vcc
	v_lshrrev_b64 v[12:13], 21, v[12:13]
	v_cmp_gt_i32_e32 vcc, 32, v7
	v_cndmask_b32_e32 v13, 0, v13, vcc
	v_cndmask_b32_e32 v12, 3, v12, vcc
	v_cmp_eq_u32_e32 vcc, 0, v7
	v_min_i32_e32 v7, 31, v7
	v_cmp_eq_u64_e64 s[30:31], 0, v[12:13]
	v_lshlrev_b32_e32 v7, 2, v7
	v_and_or_b32 v7, v12, 3, v7
	s_and_b64 vcc, vcc, s[30:31]
	v_cndmask_b32_e64 v7, v7, 0, vcc
	v_or_b32_e32 v23, v7, v0
.LBB2_6684:                             ;   in Loop: Header=BB2_5776 Depth=3
	s_or_b64 exec, exec, s[72:73]
.LBB2_6685:                             ;   in Loop: Header=BB2_5776 Depth=3
	s_or_b64 exec, exec, s[70:71]
                                        ; implicit-def: $vgpr7
.LBB2_6686:                             ;   in Loop: Header=BB2_5776 Depth=3
	s_andn2_saveexec_b64 s[30:31], s[68:69]
; %bb.6687:                             ;   in Loop: Header=BB2_5776 Depth=3
	v_or_b32_sdwa v0, v7, s39 dst_sel:DWORD dst_unused:UNUSED_PAD src0_sel:BYTE_3 src1_sel:DWORD
	v_cmp_eq_u64_e32 vcc, 0, v[50:51]
	v_cndmask_b32_e32 v23, v0, v23, vcc
; %bb.6688:                             ;   in Loop: Header=BB2_5776 Depth=3
	s_or_b64 exec, exec, s[30:31]
	v_lshrrev_b32_e32 v14, 24, v26
	v_lshrrev_b32_e32 v12, 24, v8
	s_and_b64 vcc, exec, s[28:29]
	v_cmp_lt_u32_e64 s[30:31], s43, v26
	s_cbranch_vccnz .LBB2_6706
; %bb.6689:                             ;   in Loop: Header=BB2_5776 Depth=3
	v_mov_b32_e32 v7, 0
	v_mov_b32_e32 v0, 0
	s_and_saveexec_b64 s[68:69], s[30:31]
	s_cbranch_execz .LBB2_6697
; %bb.6690:                             ;   in Loop: Header=BB2_5776 Depth=3
	v_cmp_ne_u32_e32 vcc, s97, v14
	v_bfrev_b32_e32 v0, 1
	s_and_saveexec_b64 s[70:71], vcc
	s_cbranch_execz .LBB2_6696
; %bb.6691:                             ;   in Loop: Header=BB2_5776 Depth=3
	v_and_b32_e32 v0, 0x7c000000, v26
	v_bfe_u32 v13, v26, 24, 2
	v_cmp_ne_u32_e32 vcc, s37, v0
                                        ; implicit-def: $vgpr0
	s_and_saveexec_b64 s[72:73], vcc
	s_xor_b64 s[72:73], exec, s[72:73]
	s_cbranch_execz .LBB2_6693
; %bb.6692:                             ;   in Loop: Header=BB2_5776 Depth=3
	v_ffbh_u32_e32 v15, v13
	v_min_u32_e32 v15, 32, v15
	v_bfe_u32 v0, v26, 26, 5
	v_subrev_u32_e32 v16, 29, v15
	v_lshlrev_b64 v[16:17], v16, v[14:15]
	v_sub_u32_e32 v15, 30, v15
	v_cmp_eq_u32_e32 vcc, 0, v0
	v_cndmask_b32_e32 v0, v0, v15, vcc
	v_bfrev_b32_e32 v15, 28
	v_and_b32_e32 v16, 3, v16
	v_lshl_add_u32 v0, v0, 23, v15
	v_cndmask_b32_e32 v13, v13, v16, vcc
	v_and_or_b32 v0, v26, s96, v0
	v_lshl_or_b32 v0, v13, 21, v0
                                        ; implicit-def: $vgpr13
.LBB2_6693:                             ;   in Loop: Header=BB2_5776 Depth=3
	s_andn2_saveexec_b64 s[72:73], s[72:73]
; %bb.6694:                             ;   in Loop: Header=BB2_5776 Depth=3
	v_cmp_lt_i32_e32 vcc, -1, v26
	v_mov_b32_e32 v0, 0xc7600000
	v_mov_b32_e32 v15, 0x47600000
	v_cndmask_b32_e32 v0, v0, v15, vcc
	v_cmp_eq_u32_e32 vcc, 0, v13
	v_mov_b32_e32 v13, 0x7f800001
	v_cndmask_b32_e32 v0, v13, v0, vcc
; %bb.6695:                             ;   in Loop: Header=BB2_5776 Depth=3
	s_or_b64 exec, exec, s[72:73]
.LBB2_6696:                             ;   in Loop: Header=BB2_5776 Depth=3
	s_or_b64 exec, exec, s[70:71]
.LBB2_6697:                             ;   in Loop: Header=BB2_5776 Depth=3
	s_or_b64 exec, exec, s[68:69]
	v_cmp_lt_u32_e32 vcc, s43, v8
	s_and_saveexec_b64 s[68:69], vcc
	s_cbranch_execz .LBB2_6705
; %bb.6698:                             ;   in Loop: Header=BB2_5776 Depth=3
	v_cmp_ne_u32_e32 vcc, s97, v12
	v_bfrev_b32_e32 v7, 1
	s_and_saveexec_b64 s[70:71], vcc
	s_cbranch_execz .LBB2_6704
; %bb.6699:                             ;   in Loop: Header=BB2_5776 Depth=3
	v_and_b32_e32 v7, 0x7c000000, v8
	v_bfe_u32 v13, v8, 24, 2
	v_cmp_ne_u32_e32 vcc, s37, v7
                                        ; implicit-def: $vgpr7
	s_and_saveexec_b64 s[72:73], vcc
	s_xor_b64 s[72:73], exec, s[72:73]
	s_cbranch_execz .LBB2_6701
; %bb.6700:                             ;   in Loop: Header=BB2_5776 Depth=3
	v_ffbh_u32_e32 v15, v13
	v_bfe_u32 v7, v8, 26, 5
	v_min_u32_e32 v15, 32, v15
	v_subrev_u32_e32 v16, 29, v15
	v_sub_u32_e32 v15, 30, v15
	v_cmp_eq_u32_e32 vcc, 0, v7
	v_lshlrev_b64 v[16:17], v16, v[12:13]
	v_cndmask_b32_e32 v7, v7, v15, vcc
	v_bfrev_b32_e32 v15, 28
	v_and_b32_e32 v16, 3, v16
	v_lshl_add_u32 v7, v7, 23, v15
	v_cndmask_b32_e32 v13, v13, v16, vcc
	v_and_or_b32 v7, v8, s96, v7
	v_lshl_or_b32 v7, v13, 21, v7
                                        ; implicit-def: $vgpr13
.LBB2_6701:                             ;   in Loop: Header=BB2_5776 Depth=3
	s_andn2_saveexec_b64 s[72:73], s[72:73]
; %bb.6702:                             ;   in Loop: Header=BB2_5776 Depth=3
	v_cmp_lt_i32_e32 vcc, -1, v8
	v_mov_b32_e32 v7, 0xc7600000
	v_mov_b32_e32 v15, 0x47600000
	v_cndmask_b32_e32 v7, v7, v15, vcc
	v_cmp_eq_u32_e32 vcc, 0, v13
	v_mov_b32_e32 v13, 0x7f800001
	v_cndmask_b32_e32 v7, v13, v7, vcc
; %bb.6703:                             ;   in Loop: Header=BB2_5776 Depth=3
	s_or_b64 exec, exec, s[72:73]
.LBB2_6704:                             ;   in Loop: Header=BB2_5776 Depth=3
	s_or_b64 exec, exec, s[70:71]
.LBB2_6705:                             ;   in Loop: Header=BB2_5776 Depth=3
	s_or_b64 exec, exec, s[68:69]
	v_max_f32_e32 v7, v7, v7
	v_max_f32_e32 v0, v0, v0
	;; [unrolled: 1-line block ×3, first 2 shown]
	s_branch .LBB2_6724
.LBB2_6706:                             ;   in Loop: Header=BB2_5776 Depth=3
                                        ; implicit-def: $vgpr7
	s_cbranch_execz .LBB2_6724
; %bb.6707:                             ;   in Loop: Header=BB2_5776 Depth=3
	v_mov_b32_e32 v7, 0
	v_mov_b32_e32 v0, 0
	s_and_saveexec_b64 s[68:69], s[30:31]
	s_cbranch_execz .LBB2_6715
; %bb.6708:                             ;   in Loop: Header=BB2_5776 Depth=3
	v_cmp_ne_u32_e32 vcc, s97, v14
	v_bfrev_b32_e32 v0, 1
	s_and_saveexec_b64 s[30:31], vcc
	s_cbranch_execz .LBB2_6714
; %bb.6709:                             ;   in Loop: Header=BB2_5776 Depth=3
	v_and_b32_e32 v0, 0x7c000000, v26
	v_bfe_u32 v13, v26, 24, 2
	v_cmp_ne_u32_e32 vcc, s37, v0
                                        ; implicit-def: $vgpr0
	s_and_saveexec_b64 s[70:71], vcc
	s_xor_b64 s[70:71], exec, s[70:71]
	s_cbranch_execz .LBB2_6711
; %bb.6710:                             ;   in Loop: Header=BB2_5776 Depth=3
	v_ffbh_u32_e32 v15, v13
	v_min_u32_e32 v16, 32, v15
	v_subrev_u32_e32 v15, 29, v16
	v_bfe_u32 v0, v26, 26, 5
	v_lshlrev_b64 v[14:15], v15, v[14:15]
	v_sub_u32_e32 v15, 30, v16
	v_and_b32_e32 v14, 3, v14
	v_cmp_eq_u32_e32 vcc, 0, v0
	v_cndmask_b32_e32 v0, v0, v15, vcc
	v_cndmask_b32_e32 v13, v13, v14, vcc
	v_bfrev_b32_e32 v14, 28
	v_lshl_add_u32 v0, v0, 23, v14
	v_and_or_b32 v0, v26, s96, v0
	v_lshl_or_b32 v0, v13, 21, v0
                                        ; implicit-def: $vgpr13
.LBB2_6711:                             ;   in Loop: Header=BB2_5776 Depth=3
	s_andn2_saveexec_b64 s[70:71], s[70:71]
; %bb.6712:                             ;   in Loop: Header=BB2_5776 Depth=3
	v_cmp_lt_i32_e32 vcc, -1, v26
	v_mov_b32_e32 v0, 0xc7600000
	v_mov_b32_e32 v14, 0x47600000
	v_cndmask_b32_e32 v0, v0, v14, vcc
	v_cmp_eq_u32_e32 vcc, 0, v13
	v_mov_b32_e32 v13, 0x7f800001
	v_cndmask_b32_e32 v0, v13, v0, vcc
; %bb.6713:                             ;   in Loop: Header=BB2_5776 Depth=3
	s_or_b64 exec, exec, s[70:71]
.LBB2_6714:                             ;   in Loop: Header=BB2_5776 Depth=3
	s_or_b64 exec, exec, s[30:31]
.LBB2_6715:                             ;   in Loop: Header=BB2_5776 Depth=3
	s_or_b64 exec, exec, s[68:69]
	v_cmp_lt_u32_e32 vcc, s43, v8
	s_and_saveexec_b64 s[30:31], vcc
	s_cbranch_execz .LBB2_6723
; %bb.6716:                             ;   in Loop: Header=BB2_5776 Depth=3
	v_cmp_ne_u32_e32 vcc, s97, v12
	v_bfrev_b32_e32 v7, 1
	s_and_saveexec_b64 s[68:69], vcc
	s_cbranch_execz .LBB2_6722
; %bb.6717:                             ;   in Loop: Header=BB2_5776 Depth=3
	v_and_b32_e32 v7, 0x7c000000, v8
	v_bfe_u32 v13, v8, 24, 2
	v_cmp_ne_u32_e32 vcc, s37, v7
                                        ; implicit-def: $vgpr7
	s_and_saveexec_b64 s[70:71], vcc
	s_xor_b64 s[70:71], exec, s[70:71]
	s_cbranch_execz .LBB2_6719
; %bb.6718:                             ;   in Loop: Header=BB2_5776 Depth=3
	v_ffbh_u32_e32 v14, v13
	v_min_u32_e32 v16, 32, v14
	v_subrev_u32_e32 v14, 29, v16
	v_bfe_u32 v7, v8, 26, 5
	v_lshlrev_b64 v[14:15], v14, v[12:13]
	v_sub_u32_e32 v12, 30, v16
	v_and_b32_e32 v14, 3, v14
	v_cmp_eq_u32_e32 vcc, 0, v7
	v_cndmask_b32_e32 v7, v7, v12, vcc
	v_cndmask_b32_e32 v12, v13, v14, vcc
	v_bfrev_b32_e32 v13, 28
	v_lshl_add_u32 v7, v7, 23, v13
	v_and_or_b32 v7, v8, s96, v7
	v_lshl_or_b32 v7, v12, 21, v7
                                        ; implicit-def: $vgpr13
.LBB2_6719:                             ;   in Loop: Header=BB2_5776 Depth=3
	s_andn2_saveexec_b64 s[70:71], s[70:71]
; %bb.6720:                             ;   in Loop: Header=BB2_5776 Depth=3
	v_cmp_lt_i32_e32 vcc, -1, v8
	v_mov_b32_e32 v7, 0xc7600000
	v_mov_b32_e32 v12, 0x47600000
	v_cndmask_b32_e32 v7, v7, v12, vcc
	v_cmp_eq_u32_e32 vcc, 0, v13
	v_mov_b32_e32 v12, 0x7f800001
	v_cndmask_b32_e32 v7, v12, v7, vcc
; %bb.6721:                             ;   in Loop: Header=BB2_5776 Depth=3
	s_or_b64 exec, exec, s[70:71]
.LBB2_6722:                             ;   in Loop: Header=BB2_5776 Depth=3
	s_or_b64 exec, exec, s[68:69]
.LBB2_6723:                             ;   in Loop: Header=BB2_5776 Depth=3
	s_or_b64 exec, exec, s[30:31]
	v_max_f32_e32 v7, v7, v7
	v_max_f32_e32 v0, v0, v0
	v_min_f32_e32 v7, v0, v7
.LBB2_6724:                             ;   in Loop: Header=BB2_5776 Depth=3
	v_and_b32_sdwa v0, v7, s97 dst_sel:DWORD dst_unused:UNUSED_PAD src0_sel:BYTE_3 src1_sel:DWORD
	v_and_b32_e32 v12, 0x7f800000, v7
	v_mov_b32_e32 v13, v51
	v_and_b32_e32 v50, 0x7fffff, v7
	v_or_b32_e32 v59, 0x7b, v0
	v_cmp_ne_u64_e32 vcc, s[52:53], v[12:13]
	s_and_saveexec_b64 s[30:31], vcc
	s_xor_b64 s[68:69], exec, s[30:31]
	s_cbranch_execz .LBB2_6734
; %bb.6725:                             ;   in Loop: Header=BB2_5776 Depth=3
	v_and_b32_e32 v12, 0x7fffffff, v7
	v_mov_b32_e32 v13, v51
	v_cmp_gt_u64_e32 vcc, s[54:55], v[12:13]
	s_and_saveexec_b64 s[70:71], vcc
	s_cbranch_execz .LBB2_6733
; %bb.6726:                             ;   in Loop: Header=BB2_5776 Depth=3
	v_cmp_ne_u32_e32 vcc, 0, v7
	v_mov_b32_e32 v59, 0
	s_and_saveexec_b64 s[72:73], vcc
	s_cbranch_execz .LBB2_6732
; %bb.6727:                             ;   in Loop: Header=BB2_5776 Depth=3
	v_bfe_u32 v7, v7, 23, 8
	v_sub_u32_e32 v13, 0x71, v7
	v_cmp_gt_u32_e32 vcc, s38, v7
	v_add_u32_e32 v12, 0xffffff81, v7
	v_cndmask_b32_e32 v13, 0, v13, vcc
	v_cmp_eq_u32_e32 vcc, 0, v7
	v_mov_b32_e32 v7, 0xffffff82
	v_cndmask_b32_e32 v7, v12, v7, vcc
	v_mov_b32_e32 v12, 0x70
	v_or_b32_e32 v14, 0x800000, v50
	v_cndmask_b32_e32 v15, v13, v12, vcc
	v_cndmask_b32_e32 v50, v14, v50, vcc
	v_add_u32_e32 v12, 21, v15
	v_lshlrev_b64 v[12:13], v12, -1
	v_add_u32_e32 v14, 20, v15
	v_lshrrev_b64 v[30:31], v15, v[50:51]
	v_not_b32_e32 v13, v13
	v_not_b32_e32 v12, v12
	v_lshlrev_b64 v[16:17], v14, 1
	v_lshrrev_b32_e32 v14, 23, v30
	v_and_b32_e32 v13, 0, v13
	v_and_b32_e32 v12, v50, v12
	v_add3_u32 v15, v15, v7, v14
	v_bfe_u32 v7, v30, 21, 1
	v_add_u32_e32 v7, -1, v7
	v_cmp_eq_u64_e32 vcc, v[12:13], v[16:17]
	v_cndmask_b32_e32 v7, 0, v7, vcc
	v_add_u32_e32 v7, v7, v30
	v_and_b32_e32 v7, 0x1fffff, v7
	v_add_co_u32_e32 v12, vcc, v7, v30
	v_add_u32_e32 v14, 14, v15
	v_addc_co_u32_e32 v13, vcc, 0, v31, vcc
	v_cmp_ne_u32_e32 vcc, 0, v14
                                        ; implicit-def: $vgpr7
	s_and_saveexec_b64 s[30:31], vcc
	s_xor_b64 s[30:31], exec, s[30:31]
; %bb.6728:                             ;   in Loop: Header=BB2_5776 Depth=3
	v_add_u32_e32 v7, 15, v15
	v_cmp_lt_u64_e32 vcc, s[56:57], v[12:13]
	v_cndmask_b32_e32 v7, v14, v7, vcc
	v_cndmask_b32_e64 v14, 0, 1, vcc
	v_lshrrev_b64 v[12:13], v14, v[12:13]
; %bb.6729:                             ;   in Loop: Header=BB2_5776 Depth=3
	s_andn2_saveexec_b64 vcc, s[30:31]
; %bb.6730:                             ;   in Loop: Header=BB2_5776 Depth=3
	v_bfe_u32 v7, v12, 23, 1
; %bb.6731:                             ;   in Loop: Header=BB2_5776 Depth=3
	s_or_b64 exec, exec, vcc
	v_lshrrev_b64 v[12:13], 21, v[12:13]
	v_cmp_gt_i32_e32 vcc, 32, v7
	v_cndmask_b32_e32 v13, 0, v13, vcc
	v_cndmask_b32_e32 v12, 3, v12, vcc
	v_cmp_eq_u32_e32 vcc, 0, v7
	v_min_i32_e32 v7, 31, v7
	v_cmp_eq_u64_e64 s[30:31], 0, v[12:13]
	v_lshlrev_b32_e32 v7, 2, v7
	v_and_or_b32 v7, v12, 3, v7
	s_and_b64 vcc, vcc, s[30:31]
	v_cndmask_b32_e64 v7, v7, 0, vcc
	v_or_b32_e32 v59, v7, v0
.LBB2_6732:                             ;   in Loop: Header=BB2_5776 Depth=3
	s_or_b64 exec, exec, s[72:73]
.LBB2_6733:                             ;   in Loop: Header=BB2_5776 Depth=3
	s_or_b64 exec, exec, s[70:71]
                                        ; implicit-def: $vgpr7
.LBB2_6734:                             ;   in Loop: Header=BB2_5776 Depth=3
	s_andn2_saveexec_b64 s[30:31], s[68:69]
; %bb.6735:                             ;   in Loop: Header=BB2_5776 Depth=3
	v_or_b32_sdwa v0, v7, s39 dst_sel:DWORD dst_unused:UNUSED_PAD src0_sel:BYTE_3 src1_sel:DWORD
	v_cmp_eq_u64_e32 vcc, 0, v[50:51]
	v_cndmask_b32_e32 v59, v0, v59, vcc
; %bb.6736:                             ;   in Loop: Header=BB2_5776 Depth=3
	s_or_b64 exec, exec, s[30:31]
	v_mov_b32_e32 v50, v27
	v_mov_b32_e32 v12, v9
	;; [unrolled: 1-line block ×3, first 2 shown]
	s_and_b64 vcc, exec, s[28:29]
	v_cmp_ne_u16_sdwa s[30:31], v27, v51 src0_sel:BYTE_0 src1_sel:DWORD
	s_cbranch_vccnz .LBB2_6754
; %bb.6737:                             ;   in Loop: Header=BB2_5776 Depth=3
	v_mov_b32_e32 v7, 0
	v_mov_b32_e32 v0, 0
	s_and_saveexec_b64 s[68:69], s[30:31]
	s_cbranch_execz .LBB2_6745
; %bb.6738:                             ;   in Loop: Header=BB2_5776 Depth=3
	v_cmp_ne_u16_sdwa vcc, v27, s97 src0_sel:BYTE_0 src1_sel:DWORD
	v_bfrev_b32_e32 v0, 1
	s_and_saveexec_b64 s[70:71], vcc
	s_cbranch_execz .LBB2_6744
; %bb.6739:                             ;   in Loop: Header=BB2_5776 Depth=3
	v_and_b32_e32 v0, 0x7c, v27
	v_and_b32_e32 v14, 3, v27
	v_cmp_ne_u32_e32 vcc, s95, v0
                                        ; implicit-def: $vgpr0
	s_and_saveexec_b64 s[72:73], vcc
	s_xor_b64 s[72:73], exec, s[72:73]
	s_cbranch_execz .LBB2_6741
; %bb.6740:                             ;   in Loop: Header=BB2_5776 Depth=3
	v_ffbh_u32_e32 v15, v14
	v_min_u32_e32 v15, 32, v15
	v_subrev_u32_e32 v16, 29, v15
	v_bfe_u32 v0, v27, 2, 5
	v_lshlrev_b64 v[16:17], v16, v[50:51]
	v_sub_u32_e32 v15, 30, v15
	v_and_b32_e32 v16, 3, v16
	v_cmp_eq_u32_e32 vcc, 0, v0
	v_cndmask_b32_e32 v0, v0, v15, vcc
	v_cndmask_b32_e32 v14, v14, v16, vcc
	v_bfrev_b32_e32 v16, 28
	v_lshlrev_b32_e32 v15, 24, v27
	v_lshl_add_u32 v0, v0, 23, v16
	v_and_or_b32 v0, v15, s96, v0
	v_lshl_or_b32 v0, v14, 21, v0
                                        ; implicit-def: $vgpr14
.LBB2_6741:                             ;   in Loop: Header=BB2_5776 Depth=3
	s_andn2_saveexec_b64 s[72:73], s[72:73]
; %bb.6742:                             ;   in Loop: Header=BB2_5776 Depth=3
	v_mov_b32_e32 v0, -1
	v_cmp_gt_i16_sdwa vcc, sext(v27), v0 src0_sel:BYTE_0 src1_sel:DWORD
	v_mov_b32_e32 v0, 0xc7600000
	v_mov_b32_e32 v15, 0x47600000
	v_cndmask_b32_e32 v0, v0, v15, vcc
	v_cmp_eq_u32_e32 vcc, 0, v14
	v_mov_b32_e32 v14, 0x7f800001
	v_cndmask_b32_e32 v0, v14, v0, vcc
; %bb.6743:                             ;   in Loop: Header=BB2_5776 Depth=3
	s_or_b64 exec, exec, s[72:73]
.LBB2_6744:                             ;   in Loop: Header=BB2_5776 Depth=3
	s_or_b64 exec, exec, s[70:71]
.LBB2_6745:                             ;   in Loop: Header=BB2_5776 Depth=3
	s_or_b64 exec, exec, s[68:69]
	v_cmp_ne_u16_sdwa vcc, v9, v51 src0_sel:BYTE_0 src1_sel:DWORD
	s_and_saveexec_b64 s[68:69], vcc
	s_cbranch_execz .LBB2_6753
; %bb.6746:                             ;   in Loop: Header=BB2_5776 Depth=3
	v_cmp_ne_u16_sdwa vcc, v9, s97 src0_sel:BYTE_0 src1_sel:DWORD
	v_bfrev_b32_e32 v7, 1
	s_and_saveexec_b64 s[70:71], vcc
	s_cbranch_execz .LBB2_6752
; %bb.6747:                             ;   in Loop: Header=BB2_5776 Depth=3
	v_and_b32_e32 v7, 0x7c, v9
	v_and_b32_e32 v14, 3, v9
	v_cmp_ne_u32_e32 vcc, s95, v7
                                        ; implicit-def: $vgpr7
	s_and_saveexec_b64 s[72:73], vcc
	s_xor_b64 s[72:73], exec, s[72:73]
	s_cbranch_execz .LBB2_6749
; %bb.6748:                             ;   in Loop: Header=BB2_5776 Depth=3
	v_ffbh_u32_e32 v15, v14
	v_min_u32_e32 v15, 32, v15
	v_subrev_u32_e32 v16, 29, v15
	v_bfe_u32 v7, v9, 2, 5
	v_lshlrev_b64 v[16:17], v16, v[12:13]
	v_sub_u32_e32 v15, 30, v15
	v_and_b32_e32 v16, 3, v16
	v_cmp_eq_u32_e32 vcc, 0, v7
	v_cndmask_b32_e32 v7, v7, v15, vcc
	v_cndmask_b32_e32 v14, v14, v16, vcc
	v_bfrev_b32_e32 v16, 28
	v_lshlrev_b32_e32 v15, 24, v9
	v_lshl_add_u32 v7, v7, 23, v16
	v_and_or_b32 v7, v15, s96, v7
	v_lshl_or_b32 v7, v14, 21, v7
                                        ; implicit-def: $vgpr14
.LBB2_6749:                             ;   in Loop: Header=BB2_5776 Depth=3
	s_andn2_saveexec_b64 s[72:73], s[72:73]
; %bb.6750:                             ;   in Loop: Header=BB2_5776 Depth=3
	v_mov_b32_e32 v7, -1
	v_cmp_gt_i16_sdwa vcc, sext(v9), v7 src0_sel:BYTE_0 src1_sel:DWORD
	v_mov_b32_e32 v7, 0xc7600000
	v_mov_b32_e32 v15, 0x47600000
	v_cndmask_b32_e32 v7, v7, v15, vcc
	v_cmp_eq_u32_e32 vcc, 0, v14
	v_mov_b32_e32 v14, 0x7f800001
	v_cndmask_b32_e32 v7, v14, v7, vcc
; %bb.6751:                             ;   in Loop: Header=BB2_5776 Depth=3
	s_or_b64 exec, exec, s[72:73]
.LBB2_6752:                             ;   in Loop: Header=BB2_5776 Depth=3
	s_or_b64 exec, exec, s[70:71]
.LBB2_6753:                             ;   in Loop: Header=BB2_5776 Depth=3
	s_or_b64 exec, exec, s[68:69]
	v_max_f32_e32 v7, v7, v7
	v_max_f32_e32 v0, v0, v0
	;; [unrolled: 1-line block ×3, first 2 shown]
	s_branch .LBB2_6772
.LBB2_6754:                             ;   in Loop: Header=BB2_5776 Depth=3
                                        ; implicit-def: $vgpr7
	s_cbranch_execz .LBB2_6772
; %bb.6755:                             ;   in Loop: Header=BB2_5776 Depth=3
	v_mov_b32_e32 v7, 0
	v_mov_b32_e32 v0, 0
	s_and_saveexec_b64 s[68:69], s[30:31]
	s_cbranch_execz .LBB2_6763
; %bb.6756:                             ;   in Loop: Header=BB2_5776 Depth=3
	v_cmp_ne_u16_sdwa vcc, v27, s97 src0_sel:BYTE_0 src1_sel:DWORD
	v_bfrev_b32_e32 v0, 1
	s_and_saveexec_b64 s[30:31], vcc
	s_cbranch_execz .LBB2_6762
; %bb.6757:                             ;   in Loop: Header=BB2_5776 Depth=3
	v_and_b32_e32 v0, 0x7c, v27
	v_and_b32_e32 v14, 3, v27
	v_cmp_ne_u32_e32 vcc, s95, v0
                                        ; implicit-def: $vgpr0
	s_and_saveexec_b64 s[70:71], vcc
	s_xor_b64 s[70:71], exec, s[70:71]
	s_cbranch_execz .LBB2_6759
; %bb.6758:                             ;   in Loop: Header=BB2_5776 Depth=3
	v_ffbh_u32_e32 v15, v14
	v_min_u32_e32 v15, 32, v15
	v_subrev_u32_e32 v16, 29, v15
	v_bfe_u32 v0, v27, 2, 5
	v_lshlrev_b64 v[16:17], v16, v[50:51]
	v_sub_u32_e32 v15, 30, v15
	v_and_b32_e32 v16, 3, v16
	v_cmp_eq_u32_e32 vcc, 0, v0
	v_cndmask_b32_e32 v0, v0, v15, vcc
	v_cndmask_b32_e32 v14, v14, v16, vcc
	v_bfrev_b32_e32 v16, 28
	v_lshlrev_b32_e32 v15, 24, v27
	v_lshl_add_u32 v0, v0, 23, v16
	v_and_or_b32 v0, v15, s96, v0
	v_lshl_or_b32 v0, v14, 21, v0
                                        ; implicit-def: $vgpr14
.LBB2_6759:                             ;   in Loop: Header=BB2_5776 Depth=3
	s_andn2_saveexec_b64 s[70:71], s[70:71]
; %bb.6760:                             ;   in Loop: Header=BB2_5776 Depth=3
	v_mov_b32_e32 v0, -1
	v_cmp_gt_i16_sdwa vcc, sext(v27), v0 src0_sel:BYTE_0 src1_sel:DWORD
	v_mov_b32_e32 v0, 0xc7600000
	v_mov_b32_e32 v15, 0x47600000
	v_cndmask_b32_e32 v0, v0, v15, vcc
	v_cmp_eq_u32_e32 vcc, 0, v14
	v_mov_b32_e32 v14, 0x7f800001
	v_cndmask_b32_e32 v0, v14, v0, vcc
; %bb.6761:                             ;   in Loop: Header=BB2_5776 Depth=3
	s_or_b64 exec, exec, s[70:71]
.LBB2_6762:                             ;   in Loop: Header=BB2_5776 Depth=3
	s_or_b64 exec, exec, s[30:31]
.LBB2_6763:                             ;   in Loop: Header=BB2_5776 Depth=3
	s_or_b64 exec, exec, s[68:69]
	v_cmp_ne_u16_sdwa vcc, v9, v51 src0_sel:BYTE_0 src1_sel:DWORD
	s_and_saveexec_b64 s[30:31], vcc
	s_cbranch_execz .LBB2_6771
; %bb.6764:                             ;   in Loop: Header=BB2_5776 Depth=3
	v_cmp_ne_u16_sdwa vcc, v9, s97 src0_sel:BYTE_0 src1_sel:DWORD
	v_bfrev_b32_e32 v7, 1
	s_and_saveexec_b64 s[68:69], vcc
	s_cbranch_execz .LBB2_6770
; %bb.6765:                             ;   in Loop: Header=BB2_5776 Depth=3
	v_and_b32_e32 v7, 0x7c, v9
	v_and_b32_e32 v14, 3, v9
	v_cmp_ne_u32_e32 vcc, s95, v7
                                        ; implicit-def: $vgpr7
	s_and_saveexec_b64 s[70:71], vcc
	s_xor_b64 s[70:71], exec, s[70:71]
	s_cbranch_execz .LBB2_6767
; %bb.6766:                             ;   in Loop: Header=BB2_5776 Depth=3
	v_ffbh_u32_e32 v15, v14
	v_min_u32_e32 v15, 32, v15
	v_subrev_u32_e32 v16, 29, v15
	v_bfe_u32 v7, v9, 2, 5
	v_lshlrev_b64 v[16:17], v16, v[12:13]
	v_sub_u32_e32 v13, 30, v15
	v_and_b32_e32 v15, 3, v16
	v_cmp_eq_u32_e32 vcc, 0, v7
	v_cndmask_b32_e32 v7, v7, v13, vcc
	v_cndmask_b32_e32 v13, v14, v15, vcc
	v_bfrev_b32_e32 v15, 28
	v_lshlrev_b32_e32 v14, 24, v9
	v_lshl_add_u32 v7, v7, 23, v15
	v_and_or_b32 v7, v14, s96, v7
	v_lshl_or_b32 v7, v13, 21, v7
                                        ; implicit-def: $vgpr14
.LBB2_6767:                             ;   in Loop: Header=BB2_5776 Depth=3
	s_andn2_saveexec_b64 s[70:71], s[70:71]
; %bb.6768:                             ;   in Loop: Header=BB2_5776 Depth=3
	v_mov_b32_e32 v7, -1
	v_cmp_gt_i16_sdwa vcc, sext(v9), v7 src0_sel:BYTE_0 src1_sel:DWORD
	v_mov_b32_e32 v7, 0xc7600000
	v_mov_b32_e32 v13, 0x47600000
	v_cndmask_b32_e32 v7, v7, v13, vcc
	v_cmp_eq_u32_e32 vcc, 0, v14
	v_mov_b32_e32 v13, 0x7f800001
	v_cndmask_b32_e32 v7, v13, v7, vcc
; %bb.6769:                             ;   in Loop: Header=BB2_5776 Depth=3
	s_or_b64 exec, exec, s[70:71]
.LBB2_6770:                             ;   in Loop: Header=BB2_5776 Depth=3
	s_or_b64 exec, exec, s[68:69]
.LBB2_6771:                             ;   in Loop: Header=BB2_5776 Depth=3
	s_or_b64 exec, exec, s[30:31]
	v_max_f32_e32 v7, v7, v7
	v_max_f32_e32 v0, v0, v0
	v_min_f32_e32 v7, v0, v7
.LBB2_6772:                             ;   in Loop: Header=BB2_5776 Depth=3
	v_and_b32_sdwa v0, v7, s97 dst_sel:DWORD dst_unused:UNUSED_PAD src0_sel:BYTE_3 src1_sel:DWORD
	v_and_b32_e32 v16, 0x7f800000, v7
	v_mov_b32_e32 v17, v51
	v_and_b32_e32 v14, 0x7fffff, v7
	v_mov_b32_e32 v15, v51
	v_or_b32_e32 v57, 0x7b, v0
	v_cmp_ne_u64_e32 vcc, s[52:53], v[16:17]
	s_and_saveexec_b64 s[30:31], vcc
	s_xor_b64 s[68:69], exec, s[30:31]
	s_cbranch_execz .LBB2_6782
; %bb.6773:                             ;   in Loop: Header=BB2_5776 Depth=3
	v_and_b32_e32 v16, 0x7fffffff, v7
	v_mov_b32_e32 v17, v51
	v_cmp_gt_u64_e32 vcc, s[54:55], v[16:17]
	s_and_saveexec_b64 s[70:71], vcc
	s_cbranch_execz .LBB2_6781
; %bb.6774:                             ;   in Loop: Header=BB2_5776 Depth=3
	v_cmp_ne_u32_e32 vcc, 0, v7
	v_mov_b32_e32 v57, 0
	s_and_saveexec_b64 s[72:73], vcc
	s_cbranch_execz .LBB2_6780
; %bb.6775:                             ;   in Loop: Header=BB2_5776 Depth=3
	v_bfe_u32 v7, v7, 23, 8
	v_sub_u32_e32 v16, 0x71, v7
	v_cmp_gt_u32_e32 vcc, s38, v7
	v_add_u32_e32 v13, 0xffffff81, v7
	v_cndmask_b32_e32 v16, 0, v16, vcc
	v_cmp_eq_u32_e32 vcc, 0, v7
	v_mov_b32_e32 v7, 0xffffff82
	v_cndmask_b32_e32 v7, v13, v7, vcc
	v_mov_b32_e32 v13, 0x70
	v_cndmask_b32_e32 v13, v16, v13, vcc
	v_or_b32_e32 v17, 0x800000, v14
	v_add_u32_e32 v16, 21, v13
	v_cndmask_b32_e32 v14, v17, v14, vcc
	v_lshlrev_b64 v[16:17], v16, -1
	v_not_b32_e32 v16, v16
	v_and_b32_e32 v30, v14, v16
	v_add_u32_e32 v16, 20, v13
	v_lshrrev_b64 v[14:15], v13, v[14:15]
	v_not_b32_e32 v17, v17
	v_lshlrev_b64 v[56:57], v16, 1
	v_lshrrev_b32_e32 v16, 23, v14
	v_and_b32_e32 v31, 0, v17
	v_add3_u32 v16, v13, v7, v16
	v_bfe_u32 v7, v14, 21, 1
	v_add_u32_e32 v7, -1, v7
	v_cmp_eq_u64_e32 vcc, v[30:31], v[56:57]
	v_cndmask_b32_e32 v7, 0, v7, vcc
	v_add_u32_e32 v7, v7, v14
	v_and_b32_e32 v7, 0x1fffff, v7
	v_add_co_u32_e32 v14, vcc, v7, v14
	v_add_u32_e32 v13, 14, v16
	v_addc_co_u32_e32 v15, vcc, 0, v15, vcc
	v_cmp_ne_u32_e32 vcc, 0, v13
                                        ; implicit-def: $vgpr7
	s_and_saveexec_b64 s[30:31], vcc
	s_xor_b64 s[30:31], exec, s[30:31]
; %bb.6776:                             ;   in Loop: Header=BB2_5776 Depth=3
	v_add_u32_e32 v7, 15, v16
	v_cmp_lt_u64_e32 vcc, s[56:57], v[14:15]
	v_cndmask_b32_e32 v7, v13, v7, vcc
	v_cndmask_b32_e64 v13, 0, 1, vcc
	v_lshrrev_b64 v[14:15], v13, v[14:15]
; %bb.6777:                             ;   in Loop: Header=BB2_5776 Depth=3
	s_andn2_saveexec_b64 vcc, s[30:31]
; %bb.6778:                             ;   in Loop: Header=BB2_5776 Depth=3
	v_bfe_u32 v7, v14, 23, 1
; %bb.6779:                             ;   in Loop: Header=BB2_5776 Depth=3
	s_or_b64 exec, exec, vcc
	v_lshrrev_b64 v[14:15], 21, v[14:15]
	v_cmp_gt_i32_e32 vcc, 32, v7
	v_cndmask_b32_e32 v15, 0, v15, vcc
	v_cndmask_b32_e32 v14, 3, v14, vcc
	v_cmp_eq_u32_e32 vcc, 0, v7
	v_min_i32_e32 v7, 31, v7
	v_cmp_eq_u64_e64 s[30:31], 0, v[14:15]
	v_lshlrev_b32_e32 v7, 2, v7
	v_and_or_b32 v7, v14, 3, v7
	s_and_b64 vcc, vcc, s[30:31]
	v_cndmask_b32_e64 v7, v7, 0, vcc
	v_or_b32_e32 v57, v7, v0
.LBB2_6780:                             ;   in Loop: Header=BB2_5776 Depth=3
	s_or_b64 exec, exec, s[72:73]
.LBB2_6781:                             ;   in Loop: Header=BB2_5776 Depth=3
	s_or_b64 exec, exec, s[70:71]
                                        ; implicit-def: $vgpr7
                                        ; implicit-def: $vgpr14_vgpr15
.LBB2_6782:                             ;   in Loop: Header=BB2_5776 Depth=3
	s_andn2_saveexec_b64 s[30:31], s[68:69]
; %bb.6783:                             ;   in Loop: Header=BB2_5776 Depth=3
	v_or_b32_sdwa v0, v7, s39 dst_sel:DWORD dst_unused:UNUSED_PAD src0_sel:BYTE_3 src1_sel:DWORD
	v_cmp_eq_u64_e32 vcc, 0, v[14:15]
	v_cndmask_b32_e32 v57, v0, v57, vcc
; %bb.6784:                             ;   in Loop: Header=BB2_5776 Depth=3
	s_or_b64 exec, exec, s[30:31]
	v_lshrrev_b16_e32 v14, 8, v50
	v_lshrrev_b16_e32 v16, 8, v12
	s_and_b64 vcc, exec, s[28:29]
	v_cmp_ne_u16_e64 s[30:31], 0, v14
	s_cbranch_vccnz .LBB2_6802
; %bb.6785:                             ;   in Loop: Header=BB2_5776 Depth=3
	v_mov_b32_e32 v7, 0
	v_mov_b32_e32 v0, 0
	s_and_saveexec_b64 s[68:69], s[30:31]
	s_cbranch_execz .LBB2_6793
; %bb.6786:                             ;   in Loop: Header=BB2_5776 Depth=3
	v_cmp_ne_u16_e32 vcc, s97, v14
	v_bfrev_b32_e32 v0, 1
	s_and_saveexec_b64 s[70:71], vcc
	s_cbranch_execz .LBB2_6792
; %bb.6787:                             ;   in Loop: Header=BB2_5776 Depth=3
	v_and_b32_e32 v0, 0x7c, v14
	v_and_b32_e32 v13, 3, v14
	v_cmp_ne_u32_e32 vcc, s95, v0
                                        ; implicit-def: $vgpr0
	s_and_saveexec_b64 s[72:73], vcc
	s_xor_b64 s[72:73], exec, s[72:73]
	s_cbranch_execz .LBB2_6789
; %bb.6788:                             ;   in Loop: Header=BB2_5776 Depth=3
	v_ffbh_u32_e32 v17, v13
	v_min_u32_e32 v17, 32, v17
	v_mov_b32_e32 v15, v51
	v_subrev_u32_e32 v24, 29, v17
	v_bfe_u32 v0, v14, 2, 5
	v_lshlrev_b64 v[30:31], v24, v[14:15]
	v_sub_u32_e32 v15, 30, v17
	v_and_b32_e32 v17, 3, v30
	v_cmp_eq_u32_e32 vcc, 0, v0
	v_cndmask_b32_e32 v0, v0, v15, vcc
	v_cndmask_b32_e32 v13, v13, v17, vcc
	v_bfrev_b32_e32 v17, 28
	v_lshlrev_b32_e32 v15, 16, v50
	v_lshl_add_u32 v0, v0, 23, v17
	v_and_or_b32 v0, v15, s96, v0
	v_lshl_or_b32 v0, v13, 21, v0
                                        ; implicit-def: $vgpr13
.LBB2_6789:                             ;   in Loop: Header=BB2_5776 Depth=3
	s_andn2_saveexec_b64 s[72:73], s[72:73]
; %bb.6790:                             ;   in Loop: Header=BB2_5776 Depth=3
	v_cmp_lt_i16_e32 vcc, -1, v50
	v_mov_b32_e32 v0, 0xc7600000
	v_mov_b32_e32 v15, 0x47600000
	v_cndmask_b32_e32 v0, v0, v15, vcc
	v_cmp_eq_u32_e32 vcc, 0, v13
	v_mov_b32_e32 v13, 0x7f800001
	v_cndmask_b32_e32 v0, v13, v0, vcc
; %bb.6791:                             ;   in Loop: Header=BB2_5776 Depth=3
	s_or_b64 exec, exec, s[72:73]
.LBB2_6792:                             ;   in Loop: Header=BB2_5776 Depth=3
	s_or_b64 exec, exec, s[70:71]
.LBB2_6793:                             ;   in Loop: Header=BB2_5776 Depth=3
	s_or_b64 exec, exec, s[68:69]
	v_cmp_ne_u16_e32 vcc, 0, v16
	s_and_saveexec_b64 s[68:69], vcc
	s_cbranch_execz .LBB2_6801
; %bb.6794:                             ;   in Loop: Header=BB2_5776 Depth=3
	v_cmp_ne_u16_e32 vcc, s97, v16
	v_bfrev_b32_e32 v7, 1
	s_and_saveexec_b64 s[70:71], vcc
	s_cbranch_execz .LBB2_6800
; %bb.6795:                             ;   in Loop: Header=BB2_5776 Depth=3
	v_and_b32_e32 v7, 0x7c, v16
	v_and_b32_e32 v13, 3, v16
	v_cmp_ne_u32_e32 vcc, s95, v7
                                        ; implicit-def: $vgpr7
	s_and_saveexec_b64 s[72:73], vcc
	s_xor_b64 s[72:73], exec, s[72:73]
	s_cbranch_execz .LBB2_6797
; %bb.6796:                             ;   in Loop: Header=BB2_5776 Depth=3
	v_ffbh_u32_e32 v15, v13
	v_min_u32_e32 v15, 32, v15
	v_mov_b32_e32 v17, v51
	v_subrev_u32_e32 v24, 29, v15
	v_bfe_u32 v7, v16, 2, 5
	v_lshlrev_b64 v[30:31], v24, v[16:17]
	v_sub_u32_e32 v15, 30, v15
	v_and_b32_e32 v17, 3, v30
	v_cmp_eq_u32_e32 vcc, 0, v7
	v_cndmask_b32_e32 v7, v7, v15, vcc
	v_cndmask_b32_e32 v13, v13, v17, vcc
	v_bfrev_b32_e32 v17, 28
	v_lshlrev_b32_e32 v15, 16, v12
	v_lshl_add_u32 v7, v7, 23, v17
	v_and_or_b32 v7, v15, s96, v7
	v_lshl_or_b32 v7, v13, 21, v7
                                        ; implicit-def: $vgpr13
.LBB2_6797:                             ;   in Loop: Header=BB2_5776 Depth=3
	s_andn2_saveexec_b64 s[72:73], s[72:73]
; %bb.6798:                             ;   in Loop: Header=BB2_5776 Depth=3
	v_cmp_lt_i16_e32 vcc, -1, v12
	v_mov_b32_e32 v7, 0xc7600000
	v_mov_b32_e32 v15, 0x47600000
	v_cndmask_b32_e32 v7, v7, v15, vcc
	v_cmp_eq_u32_e32 vcc, 0, v13
	v_mov_b32_e32 v13, 0x7f800001
	v_cndmask_b32_e32 v7, v13, v7, vcc
; %bb.6799:                             ;   in Loop: Header=BB2_5776 Depth=3
	s_or_b64 exec, exec, s[72:73]
.LBB2_6800:                             ;   in Loop: Header=BB2_5776 Depth=3
	s_or_b64 exec, exec, s[70:71]
.LBB2_6801:                             ;   in Loop: Header=BB2_5776 Depth=3
	s_or_b64 exec, exec, s[68:69]
	v_max_f32_e32 v7, v7, v7
	v_max_f32_e32 v0, v0, v0
	;; [unrolled: 1-line block ×3, first 2 shown]
	s_branch .LBB2_6820
.LBB2_6802:                             ;   in Loop: Header=BB2_5776 Depth=3
                                        ; implicit-def: $vgpr7
	s_cbranch_execz .LBB2_6820
; %bb.6803:                             ;   in Loop: Header=BB2_5776 Depth=3
	v_mov_b32_e32 v7, 0
	v_mov_b32_e32 v0, 0
	s_and_saveexec_b64 s[68:69], s[30:31]
	s_cbranch_execz .LBB2_6811
; %bb.6804:                             ;   in Loop: Header=BB2_5776 Depth=3
	v_cmp_ne_u16_e32 vcc, s97, v14
	v_bfrev_b32_e32 v0, 1
	s_and_saveexec_b64 s[30:31], vcc
	s_cbranch_execz .LBB2_6810
; %bb.6805:                             ;   in Loop: Header=BB2_5776 Depth=3
	v_and_b32_e32 v0, 0x7c, v14
	v_and_b32_e32 v13, 3, v14
	v_cmp_ne_u32_e32 vcc, s95, v0
                                        ; implicit-def: $vgpr0
	s_and_saveexec_b64 s[70:71], vcc
	s_xor_b64 s[70:71], exec, s[70:71]
	s_cbranch_execz .LBB2_6807
; %bb.6806:                             ;   in Loop: Header=BB2_5776 Depth=3
	v_ffbh_u32_e32 v17, v13
	v_min_u32_e32 v17, 32, v17
	v_mov_b32_e32 v15, v51
	v_subrev_u32_e32 v24, 29, v17
	v_bfe_u32 v0, v14, 2, 5
	v_lshlrev_b64 v[14:15], v24, v[14:15]
	v_sub_u32_e32 v15, 30, v17
	v_cmp_eq_u32_e32 vcc, 0, v0
	v_and_b32_e32 v14, 3, v14
	v_cndmask_b32_e32 v0, v0, v15, vcc
	v_bfrev_b32_e32 v15, 28
	v_cndmask_b32_e32 v13, v13, v14, vcc
	v_lshlrev_b32_e32 v14, 16, v50
	v_lshl_add_u32 v0, v0, 23, v15
	v_and_or_b32 v0, v14, s96, v0
	v_lshl_or_b32 v0, v13, 21, v0
                                        ; implicit-def: $vgpr13
.LBB2_6807:                             ;   in Loop: Header=BB2_5776 Depth=3
	s_andn2_saveexec_b64 s[70:71], s[70:71]
; %bb.6808:                             ;   in Loop: Header=BB2_5776 Depth=3
	v_cmp_lt_i16_e32 vcc, -1, v50
	v_mov_b32_e32 v0, 0xc7600000
	v_mov_b32_e32 v14, 0x47600000
	v_cndmask_b32_e32 v0, v0, v14, vcc
	v_cmp_eq_u32_e32 vcc, 0, v13
	v_mov_b32_e32 v13, 0x7f800001
	v_cndmask_b32_e32 v0, v13, v0, vcc
; %bb.6809:                             ;   in Loop: Header=BB2_5776 Depth=3
	s_or_b64 exec, exec, s[70:71]
.LBB2_6810:                             ;   in Loop: Header=BB2_5776 Depth=3
	s_or_b64 exec, exec, s[30:31]
.LBB2_6811:                             ;   in Loop: Header=BB2_5776 Depth=3
	s_or_b64 exec, exec, s[68:69]
	v_cmp_ne_u16_e32 vcc, 0, v16
	s_and_saveexec_b64 s[30:31], vcc
	s_cbranch_execz .LBB2_6819
; %bb.6812:                             ;   in Loop: Header=BB2_5776 Depth=3
	v_cmp_ne_u16_e32 vcc, s97, v16
	v_bfrev_b32_e32 v7, 1
	s_and_saveexec_b64 s[68:69], vcc
	s_cbranch_execz .LBB2_6818
; %bb.6813:                             ;   in Loop: Header=BB2_5776 Depth=3
	v_and_b32_e32 v7, 0x7c, v16
	v_and_b32_e32 v14, 3, v16
	v_cmp_ne_u32_e32 vcc, s95, v7
                                        ; implicit-def: $vgpr7
	s_and_saveexec_b64 s[70:71], vcc
	s_xor_b64 s[70:71], exec, s[70:71]
	s_cbranch_execz .LBB2_6815
; %bb.6814:                             ;   in Loop: Header=BB2_5776 Depth=3
	v_ffbh_u32_e32 v13, v14
	v_min_u32_e32 v13, 32, v13
	v_mov_b32_e32 v17, v51
	v_subrev_u32_e32 v15, 29, v13
	v_bfe_u32 v7, v16, 2, 5
	v_lshlrev_b64 v[16:17], v15, v[16:17]
	v_sub_u32_e32 v13, 30, v13
	v_and_b32_e32 v15, 3, v16
	v_cmp_eq_u32_e32 vcc, 0, v7
	v_cndmask_b32_e32 v7, v7, v13, vcc
	v_cndmask_b32_e32 v13, v14, v15, vcc
	v_bfrev_b32_e32 v14, 28
	v_lshlrev_b32_e32 v12, 16, v12
	v_lshl_add_u32 v7, v7, 23, v14
	v_and_or_b32 v7, v12, s96, v7
	v_lshl_or_b32 v7, v13, 21, v7
                                        ; implicit-def: $vgpr14
                                        ; implicit-def: $vgpr12_vgpr13
.LBB2_6815:                             ;   in Loop: Header=BB2_5776 Depth=3
	s_andn2_saveexec_b64 s[70:71], s[70:71]
; %bb.6816:                             ;   in Loop: Header=BB2_5776 Depth=3
	v_cmp_lt_i16_e32 vcc, -1, v12
	v_mov_b32_e32 v7, 0xc7600000
	v_mov_b32_e32 v12, 0x47600000
	v_cndmask_b32_e32 v7, v7, v12, vcc
	v_cmp_eq_u32_e32 vcc, 0, v14
	v_mov_b32_e32 v12, 0x7f800001
	v_cndmask_b32_e32 v7, v12, v7, vcc
; %bb.6817:                             ;   in Loop: Header=BB2_5776 Depth=3
	s_or_b64 exec, exec, s[70:71]
.LBB2_6818:                             ;   in Loop: Header=BB2_5776 Depth=3
	s_or_b64 exec, exec, s[68:69]
.LBB2_6819:                             ;   in Loop: Header=BB2_5776 Depth=3
	s_or_b64 exec, exec, s[30:31]
	v_max_f32_e32 v7, v7, v7
	v_max_f32_e32 v0, v0, v0
	v_min_f32_e32 v7, v0, v7
.LBB2_6820:                             ;   in Loop: Header=BB2_5776 Depth=3
	v_and_b32_sdwa v0, v7, s97 dst_sel:DWORD dst_unused:UNUSED_PAD src0_sel:BYTE_3 src1_sel:DWORD
	v_and_b32_e32 v12, 0x7f800000, v7
	v_mov_b32_e32 v13, v51
	v_and_b32_e32 v50, 0x7fffff, v7
	v_or_b32_e32 v16, 0x7b, v0
	v_cmp_ne_u64_e32 vcc, s[52:53], v[12:13]
	s_and_saveexec_b64 s[30:31], vcc
	s_xor_b64 s[68:69], exec, s[30:31]
	s_cbranch_execz .LBB2_6830
; %bb.6821:                             ;   in Loop: Header=BB2_5776 Depth=3
	v_and_b32_e32 v12, 0x7fffffff, v7
	v_mov_b32_e32 v13, v51
	v_cmp_gt_u64_e32 vcc, s[54:55], v[12:13]
	s_and_saveexec_b64 s[70:71], vcc
	s_cbranch_execz .LBB2_6829
; %bb.6822:                             ;   in Loop: Header=BB2_5776 Depth=3
	v_cmp_ne_u32_e32 vcc, 0, v7
	v_mov_b32_e32 v16, 0
	s_and_saveexec_b64 s[72:73], vcc
	s_cbranch_execz .LBB2_6828
; %bb.6823:                             ;   in Loop: Header=BB2_5776 Depth=3
	v_bfe_u32 v7, v7, 23, 8
	v_sub_u32_e32 v13, 0x71, v7
	v_cmp_gt_u32_e32 vcc, s38, v7
	v_add_u32_e32 v12, 0xffffff81, v7
	v_cndmask_b32_e32 v13, 0, v13, vcc
	v_cmp_eq_u32_e32 vcc, 0, v7
	v_mov_b32_e32 v7, 0xffffff82
	v_cndmask_b32_e32 v7, v12, v7, vcc
	v_mov_b32_e32 v12, 0x70
	v_or_b32_e32 v14, 0x800000, v50
	v_cndmask_b32_e32 v15, v13, v12, vcc
	v_cndmask_b32_e32 v50, v14, v50, vcc
	v_add_u32_e32 v12, 21, v15
	v_lshlrev_b64 v[12:13], v12, -1
	v_add_u32_e32 v14, 20, v15
	v_lshrrev_b64 v[30:31], v15, v[50:51]
	v_not_b32_e32 v13, v13
	v_not_b32_e32 v12, v12
	v_lshlrev_b64 v[16:17], v14, 1
	v_lshrrev_b32_e32 v14, 23, v30
	v_and_b32_e32 v13, 0, v13
	v_and_b32_e32 v12, v50, v12
	v_add3_u32 v15, v15, v7, v14
	v_bfe_u32 v7, v30, 21, 1
	v_add_u32_e32 v7, -1, v7
	v_cmp_eq_u64_e32 vcc, v[12:13], v[16:17]
	v_cndmask_b32_e32 v7, 0, v7, vcc
	v_add_u32_e32 v7, v7, v30
	v_and_b32_e32 v7, 0x1fffff, v7
	v_add_co_u32_e32 v12, vcc, v7, v30
	v_add_u32_e32 v14, 14, v15
	v_addc_co_u32_e32 v13, vcc, 0, v31, vcc
	v_cmp_ne_u32_e32 vcc, 0, v14
                                        ; implicit-def: $vgpr7
	s_and_saveexec_b64 s[30:31], vcc
	s_xor_b64 s[30:31], exec, s[30:31]
; %bb.6824:                             ;   in Loop: Header=BB2_5776 Depth=3
	v_add_u32_e32 v7, 15, v15
	v_cmp_lt_u64_e32 vcc, s[56:57], v[12:13]
	v_cndmask_b32_e32 v7, v14, v7, vcc
	v_cndmask_b32_e64 v14, 0, 1, vcc
	v_lshrrev_b64 v[12:13], v14, v[12:13]
; %bb.6825:                             ;   in Loop: Header=BB2_5776 Depth=3
	s_andn2_saveexec_b64 vcc, s[30:31]
; %bb.6826:                             ;   in Loop: Header=BB2_5776 Depth=3
	v_bfe_u32 v7, v12, 23, 1
; %bb.6827:                             ;   in Loop: Header=BB2_5776 Depth=3
	s_or_b64 exec, exec, vcc
	v_lshrrev_b64 v[12:13], 21, v[12:13]
	v_cmp_gt_i32_e32 vcc, 32, v7
	v_cndmask_b32_e32 v13, 0, v13, vcc
	v_cndmask_b32_e32 v12, 3, v12, vcc
	v_cmp_eq_u32_e32 vcc, 0, v7
	v_min_i32_e32 v7, 31, v7
	v_cmp_eq_u64_e64 s[30:31], 0, v[12:13]
	v_lshlrev_b32_e32 v7, 2, v7
	v_and_or_b32 v7, v12, 3, v7
	s_and_b64 vcc, vcc, s[30:31]
	v_cndmask_b32_e64 v7, v7, 0, vcc
	v_or_b32_e32 v16, v7, v0
.LBB2_6828:                             ;   in Loop: Header=BB2_5776 Depth=3
	s_or_b64 exec, exec, s[72:73]
.LBB2_6829:                             ;   in Loop: Header=BB2_5776 Depth=3
	s_or_b64 exec, exec, s[70:71]
                                        ; implicit-def: $vgpr7
.LBB2_6830:                             ;   in Loop: Header=BB2_5776 Depth=3
	s_andn2_saveexec_b64 s[30:31], s[68:69]
; %bb.6831:                             ;   in Loop: Header=BB2_5776 Depth=3
	v_or_b32_sdwa v0, v7, s39 dst_sel:DWORD dst_unused:UNUSED_PAD src0_sel:BYTE_3 src1_sel:DWORD
	v_cmp_eq_u64_e32 vcc, 0, v[50:51]
	v_cndmask_b32_e32 v16, v0, v16, vcc
; %bb.6832:                             ;   in Loop: Header=BB2_5776 Depth=3
	s_or_b64 exec, exec, s[30:31]
	v_lshrrev_b32_e32 v14, 16, v27
	v_lshrrev_b32_e32 v12, 16, v9
	s_and_b64 vcc, exec, s[28:29]
	v_cmp_ne_u16_sdwa s[30:31], v14, v51 src0_sel:BYTE_0 src1_sel:DWORD
	s_cbranch_vccnz .LBB2_6850
; %bb.6833:                             ;   in Loop: Header=BB2_5776 Depth=3
	v_mov_b32_e32 v7, 0
	v_mov_b32_e32 v0, 0
	s_and_saveexec_b64 s[68:69], s[30:31]
	s_cbranch_execz .LBB2_6841
; %bb.6834:                             ;   in Loop: Header=BB2_5776 Depth=3
	v_cmp_ne_u16_sdwa vcc, v14, s97 src0_sel:BYTE_0 src1_sel:DWORD
	v_bfrev_b32_e32 v0, 1
	s_and_saveexec_b64 s[70:71], vcc
	s_cbranch_execz .LBB2_6840
; %bb.6835:                             ;   in Loop: Header=BB2_5776 Depth=3
	v_and_b32_e32 v0, 0x7c0000, v27
	v_bfe_u32 v13, v27, 16, 2
	v_cmp_ne_u32_e32 vcc, s36, v0
                                        ; implicit-def: $vgpr0
	s_and_saveexec_b64 s[72:73], vcc
	s_xor_b64 s[72:73], exec, s[72:73]
	s_cbranch_execz .LBB2_6837
; %bb.6836:                             ;   in Loop: Header=BB2_5776 Depth=3
	v_ffbh_u32_e32 v15, v13
	v_min_u32_e32 v15, 32, v15
	v_subrev_u32_e32 v17, 29, v15
	v_bfe_u32 v0, v27, 18, 5
	v_lshlrev_b64 v[30:31], v17, v[14:15]
	v_sub_u32_e32 v15, 30, v15
	v_and_b32_e32 v17, 3, v30
	v_cmp_eq_u32_e32 vcc, 0, v0
	v_cndmask_b32_e32 v0, v0, v15, vcc
	v_cndmask_b32_e32 v13, v13, v17, vcc
	v_bfrev_b32_e32 v17, 28
	v_lshlrev_b32_e32 v15, 24, v14
	v_lshl_add_u32 v0, v0, 23, v17
	v_and_or_b32 v0, v15, s96, v0
	v_lshl_or_b32 v0, v13, 21, v0
                                        ; implicit-def: $vgpr13
.LBB2_6837:                             ;   in Loop: Header=BB2_5776 Depth=3
	s_andn2_saveexec_b64 s[72:73], s[72:73]
; %bb.6838:                             ;   in Loop: Header=BB2_5776 Depth=3
	v_mov_b32_e32 v0, -1
	v_cmp_gt_i16_sdwa vcc, sext(v14), v0 src0_sel:BYTE_0 src1_sel:DWORD
	v_mov_b32_e32 v0, 0xc7600000
	v_mov_b32_e32 v15, 0x47600000
	v_cndmask_b32_e32 v0, v0, v15, vcc
	v_cmp_eq_u32_e32 vcc, 0, v13
	v_mov_b32_e32 v13, 0x7f800001
	v_cndmask_b32_e32 v0, v13, v0, vcc
; %bb.6839:                             ;   in Loop: Header=BB2_5776 Depth=3
	s_or_b64 exec, exec, s[72:73]
.LBB2_6840:                             ;   in Loop: Header=BB2_5776 Depth=3
	s_or_b64 exec, exec, s[70:71]
.LBB2_6841:                             ;   in Loop: Header=BB2_5776 Depth=3
	s_or_b64 exec, exec, s[68:69]
	v_cmp_ne_u16_sdwa vcc, v12, v51 src0_sel:BYTE_0 src1_sel:DWORD
	s_and_saveexec_b64 s[68:69], vcc
	s_cbranch_execz .LBB2_6849
; %bb.6842:                             ;   in Loop: Header=BB2_5776 Depth=3
	v_cmp_ne_u16_sdwa vcc, v12, s97 src0_sel:BYTE_0 src1_sel:DWORD
	v_bfrev_b32_e32 v7, 1
	s_and_saveexec_b64 s[70:71], vcc
	s_cbranch_execz .LBB2_6848
; %bb.6843:                             ;   in Loop: Header=BB2_5776 Depth=3
	v_and_b32_e32 v7, 0x7c0000, v9
	v_bfe_u32 v13, v9, 16, 2
	v_cmp_ne_u32_e32 vcc, s36, v7
                                        ; implicit-def: $vgpr7
	s_and_saveexec_b64 s[72:73], vcc
	s_xor_b64 s[72:73], exec, s[72:73]
	s_cbranch_execz .LBB2_6845
; %bb.6844:                             ;   in Loop: Header=BB2_5776 Depth=3
	v_ffbh_u32_e32 v15, v13
	v_min_u32_e32 v15, 32, v15
	v_subrev_u32_e32 v17, 29, v15
	v_bfe_u32 v7, v9, 18, 5
	v_lshlrev_b64 v[30:31], v17, v[12:13]
	v_sub_u32_e32 v15, 30, v15
	v_and_b32_e32 v17, 3, v30
	v_cmp_eq_u32_e32 vcc, 0, v7
	v_cndmask_b32_e32 v7, v7, v15, vcc
	v_cndmask_b32_e32 v13, v13, v17, vcc
	v_bfrev_b32_e32 v17, 28
	v_lshlrev_b32_e32 v15, 24, v12
	v_lshl_add_u32 v7, v7, 23, v17
	v_and_or_b32 v7, v15, s96, v7
	v_lshl_or_b32 v7, v13, 21, v7
                                        ; implicit-def: $vgpr13
.LBB2_6845:                             ;   in Loop: Header=BB2_5776 Depth=3
	s_andn2_saveexec_b64 s[72:73], s[72:73]
; %bb.6846:                             ;   in Loop: Header=BB2_5776 Depth=3
	v_mov_b32_e32 v7, -1
	v_cmp_gt_i16_sdwa vcc, sext(v12), v7 src0_sel:BYTE_0 src1_sel:DWORD
	v_mov_b32_e32 v7, 0xc7600000
	v_mov_b32_e32 v15, 0x47600000
	v_cndmask_b32_e32 v7, v7, v15, vcc
	v_cmp_eq_u32_e32 vcc, 0, v13
	v_mov_b32_e32 v13, 0x7f800001
	v_cndmask_b32_e32 v7, v13, v7, vcc
; %bb.6847:                             ;   in Loop: Header=BB2_5776 Depth=3
	s_or_b64 exec, exec, s[72:73]
.LBB2_6848:                             ;   in Loop: Header=BB2_5776 Depth=3
	s_or_b64 exec, exec, s[70:71]
.LBB2_6849:                             ;   in Loop: Header=BB2_5776 Depth=3
	s_or_b64 exec, exec, s[68:69]
	v_max_f32_e32 v7, v7, v7
	v_max_f32_e32 v0, v0, v0
	;; [unrolled: 1-line block ×3, first 2 shown]
	s_branch .LBB2_6868
.LBB2_6850:                             ;   in Loop: Header=BB2_5776 Depth=3
                                        ; implicit-def: $vgpr7
	s_cbranch_execz .LBB2_6868
; %bb.6851:                             ;   in Loop: Header=BB2_5776 Depth=3
	v_mov_b32_e32 v7, 0
	v_mov_b32_e32 v0, 0
	s_and_saveexec_b64 s[68:69], s[30:31]
	s_cbranch_execz .LBB2_6859
; %bb.6852:                             ;   in Loop: Header=BB2_5776 Depth=3
	v_cmp_ne_u16_sdwa vcc, v14, s97 src0_sel:BYTE_0 src1_sel:DWORD
	v_bfrev_b32_e32 v0, 1
	s_and_saveexec_b64 s[30:31], vcc
	s_cbranch_execz .LBB2_6858
; %bb.6853:                             ;   in Loop: Header=BB2_5776 Depth=3
	v_and_b32_e32 v0, 0x7c0000, v27
	v_bfe_u32 v13, v27, 16, 2
	v_cmp_ne_u32_e32 vcc, s36, v0
                                        ; implicit-def: $vgpr0
	s_and_saveexec_b64 s[70:71], vcc
	s_xor_b64 s[70:71], exec, s[70:71]
	s_cbranch_execz .LBB2_6855
; %bb.6854:                             ;   in Loop: Header=BB2_5776 Depth=3
	v_ffbh_u32_e32 v15, v13
	v_min_u32_e32 v15, 32, v15
	v_bfe_u32 v0, v27, 18, 5
	v_subrev_u32_e32 v17, 29, v15
	v_lshlrev_b64 v[30:31], v17, v[14:15]
	v_sub_u32_e32 v15, 30, v15
	v_cmp_eq_u32_e32 vcc, 0, v0
	v_cndmask_b32_e32 v0, v0, v15, vcc
	v_bfrev_b32_e32 v15, 28
	v_and_b32_e32 v17, 3, v30
	v_lshlrev_b32_e32 v14, 24, v14
	v_lshl_add_u32 v0, v0, 23, v15
	v_cndmask_b32_e32 v13, v13, v17, vcc
	v_and_or_b32 v0, v14, s96, v0
	v_lshl_or_b32 v0, v13, 21, v0
                                        ; implicit-def: $vgpr13
                                        ; implicit-def: $vgpr14
.LBB2_6855:                             ;   in Loop: Header=BB2_5776 Depth=3
	s_andn2_saveexec_b64 s[70:71], s[70:71]
; %bb.6856:                             ;   in Loop: Header=BB2_5776 Depth=3
	v_mov_b32_e32 v0, -1
	v_cmp_gt_i16_sdwa vcc, sext(v14), v0 src0_sel:BYTE_0 src1_sel:DWORD
	v_mov_b32_e32 v0, 0xc7600000
	v_mov_b32_e32 v14, 0x47600000
	v_cndmask_b32_e32 v0, v0, v14, vcc
	v_cmp_eq_u32_e32 vcc, 0, v13
	v_mov_b32_e32 v13, 0x7f800001
	v_cndmask_b32_e32 v0, v13, v0, vcc
; %bb.6857:                             ;   in Loop: Header=BB2_5776 Depth=3
	s_or_b64 exec, exec, s[70:71]
.LBB2_6858:                             ;   in Loop: Header=BB2_5776 Depth=3
	s_or_b64 exec, exec, s[30:31]
.LBB2_6859:                             ;   in Loop: Header=BB2_5776 Depth=3
	s_or_b64 exec, exec, s[68:69]
	v_cmp_ne_u16_sdwa vcc, v12, v51 src0_sel:BYTE_0 src1_sel:DWORD
	s_and_saveexec_b64 s[30:31], vcc
	s_cbranch_execz .LBB2_6867
; %bb.6860:                             ;   in Loop: Header=BB2_5776 Depth=3
	v_cmp_ne_u16_sdwa vcc, v12, s97 src0_sel:BYTE_0 src1_sel:DWORD
	v_bfrev_b32_e32 v7, 1
	s_and_saveexec_b64 s[68:69], vcc
	s_cbranch_execz .LBB2_6866
; %bb.6861:                             ;   in Loop: Header=BB2_5776 Depth=3
	v_and_b32_e32 v7, 0x7c0000, v9
	v_bfe_u32 v13, v9, 16, 2
	v_cmp_ne_u32_e32 vcc, s36, v7
                                        ; implicit-def: $vgpr7
	s_and_saveexec_b64 s[70:71], vcc
	s_xor_b64 s[70:71], exec, s[70:71]
	s_cbranch_execz .LBB2_6863
; %bb.6862:                             ;   in Loop: Header=BB2_5776 Depth=3
	v_ffbh_u32_e32 v14, v13
	v_min_u32_e32 v17, 32, v14
	v_subrev_u32_e32 v14, 29, v17
	v_bfe_u32 v7, v9, 18, 5
	v_lshlrev_b64 v[14:15], v14, v[12:13]
	v_sub_u32_e32 v15, 30, v17
	v_and_b32_e32 v14, 3, v14
	v_cmp_eq_u32_e32 vcc, 0, v7
	v_cndmask_b32_e32 v7, v7, v15, vcc
	v_cndmask_b32_e32 v13, v13, v14, vcc
	v_bfrev_b32_e32 v14, 28
	v_lshlrev_b32_e32 v12, 24, v12
	v_lshl_add_u32 v7, v7, 23, v14
	v_and_or_b32 v7, v12, s96, v7
	v_lshl_or_b32 v7, v13, 21, v7
                                        ; implicit-def: $vgpr13
                                        ; implicit-def: $vgpr12
.LBB2_6863:                             ;   in Loop: Header=BB2_5776 Depth=3
	s_andn2_saveexec_b64 s[70:71], s[70:71]
; %bb.6864:                             ;   in Loop: Header=BB2_5776 Depth=3
	v_mov_b32_e32 v7, -1
	v_cmp_gt_i16_sdwa vcc, sext(v12), v7 src0_sel:BYTE_0 src1_sel:DWORD
	v_mov_b32_e32 v7, 0xc7600000
	v_mov_b32_e32 v12, 0x47600000
	v_cndmask_b32_e32 v7, v7, v12, vcc
	v_cmp_eq_u32_e32 vcc, 0, v13
	v_mov_b32_e32 v12, 0x7f800001
	v_cndmask_b32_e32 v7, v12, v7, vcc
; %bb.6865:                             ;   in Loop: Header=BB2_5776 Depth=3
	s_or_b64 exec, exec, s[70:71]
.LBB2_6866:                             ;   in Loop: Header=BB2_5776 Depth=3
	s_or_b64 exec, exec, s[68:69]
.LBB2_6867:                             ;   in Loop: Header=BB2_5776 Depth=3
	s_or_b64 exec, exec, s[30:31]
	v_max_f32_e32 v7, v7, v7
	v_max_f32_e32 v0, v0, v0
	v_min_f32_e32 v7, v0, v7
.LBB2_6868:                             ;   in Loop: Header=BB2_5776 Depth=3
	v_and_b32_sdwa v0, v7, s97 dst_sel:DWORD dst_unused:UNUSED_PAD src0_sel:BYTE_3 src1_sel:DWORD
	v_and_b32_e32 v12, 0x7f800000, v7
	v_mov_b32_e32 v13, v51
	v_and_b32_e32 v50, 0x7fffff, v7
	v_or_b32_e32 v17, 0x7b, v0
	v_cmp_ne_u64_e32 vcc, s[52:53], v[12:13]
	s_and_saveexec_b64 s[30:31], vcc
	s_xor_b64 s[68:69], exec, s[30:31]
	s_cbranch_execz .LBB2_6878
; %bb.6869:                             ;   in Loop: Header=BB2_5776 Depth=3
	v_and_b32_e32 v12, 0x7fffffff, v7
	v_mov_b32_e32 v13, v51
	v_cmp_gt_u64_e32 vcc, s[54:55], v[12:13]
	s_and_saveexec_b64 s[70:71], vcc
	s_cbranch_execz .LBB2_6877
; %bb.6870:                             ;   in Loop: Header=BB2_5776 Depth=3
	v_cmp_ne_u32_e32 vcc, 0, v7
	v_mov_b32_e32 v17, 0
	s_and_saveexec_b64 s[72:73], vcc
	s_cbranch_execz .LBB2_6876
; %bb.6871:                             ;   in Loop: Header=BB2_5776 Depth=3
	v_bfe_u32 v7, v7, 23, 8
	v_sub_u32_e32 v13, 0x71, v7
	v_cmp_gt_u32_e32 vcc, s38, v7
	v_add_u32_e32 v12, 0xffffff81, v7
	v_cndmask_b32_e32 v13, 0, v13, vcc
	v_cmp_eq_u32_e32 vcc, 0, v7
	v_mov_b32_e32 v7, 0xffffff82
	v_cndmask_b32_e32 v7, v12, v7, vcc
	v_mov_b32_e32 v12, 0x70
	v_or_b32_e32 v14, 0x800000, v50
	v_cndmask_b32_e32 v15, v13, v12, vcc
	v_cndmask_b32_e32 v50, v14, v50, vcc
	v_add_u32_e32 v12, 21, v15
	v_lshlrev_b64 v[12:13], v12, -1
	v_add_u32_e32 v14, 20, v15
	v_lshrrev_b64 v[36:37], v15, v[50:51]
	v_not_b32_e32 v13, v13
	v_not_b32_e32 v12, v12
	v_lshlrev_b64 v[30:31], v14, 1
	v_lshrrev_b32_e32 v14, 23, v36
	v_and_b32_e32 v13, 0, v13
	v_and_b32_e32 v12, v50, v12
	v_add3_u32 v15, v15, v7, v14
	v_bfe_u32 v7, v36, 21, 1
	v_add_u32_e32 v7, -1, v7
	v_cmp_eq_u64_e32 vcc, v[12:13], v[30:31]
	v_cndmask_b32_e32 v7, 0, v7, vcc
	v_add_u32_e32 v7, v7, v36
	v_and_b32_e32 v7, 0x1fffff, v7
	v_add_co_u32_e32 v12, vcc, v7, v36
	v_add_u32_e32 v14, 14, v15
	v_addc_co_u32_e32 v13, vcc, 0, v37, vcc
	v_cmp_ne_u32_e32 vcc, 0, v14
                                        ; implicit-def: $vgpr7
	s_and_saveexec_b64 s[30:31], vcc
	s_xor_b64 s[30:31], exec, s[30:31]
; %bb.6872:                             ;   in Loop: Header=BB2_5776 Depth=3
	v_add_u32_e32 v7, 15, v15
	v_cmp_lt_u64_e32 vcc, s[56:57], v[12:13]
	v_cndmask_b32_e32 v7, v14, v7, vcc
	v_cndmask_b32_e64 v14, 0, 1, vcc
	v_lshrrev_b64 v[12:13], v14, v[12:13]
; %bb.6873:                             ;   in Loop: Header=BB2_5776 Depth=3
	s_andn2_saveexec_b64 vcc, s[30:31]
; %bb.6874:                             ;   in Loop: Header=BB2_5776 Depth=3
	v_bfe_u32 v7, v12, 23, 1
; %bb.6875:                             ;   in Loop: Header=BB2_5776 Depth=3
	s_or_b64 exec, exec, vcc
	v_lshrrev_b64 v[12:13], 21, v[12:13]
	v_cmp_gt_i32_e32 vcc, 32, v7
	v_cndmask_b32_e32 v13, 0, v13, vcc
	v_cndmask_b32_e32 v12, 3, v12, vcc
	v_cmp_eq_u32_e32 vcc, 0, v7
	v_min_i32_e32 v7, 31, v7
	v_cmp_eq_u64_e64 s[30:31], 0, v[12:13]
	v_lshlrev_b32_e32 v7, 2, v7
	v_and_or_b32 v7, v12, 3, v7
	s_and_b64 vcc, vcc, s[30:31]
	v_cndmask_b32_e64 v7, v7, 0, vcc
	v_or_b32_e32 v17, v7, v0
.LBB2_6876:                             ;   in Loop: Header=BB2_5776 Depth=3
	s_or_b64 exec, exec, s[72:73]
.LBB2_6877:                             ;   in Loop: Header=BB2_5776 Depth=3
	s_or_b64 exec, exec, s[70:71]
                                        ; implicit-def: $vgpr7
.LBB2_6878:                             ;   in Loop: Header=BB2_5776 Depth=3
	s_andn2_saveexec_b64 s[30:31], s[68:69]
; %bb.6879:                             ;   in Loop: Header=BB2_5776 Depth=3
	v_or_b32_sdwa v0, v7, s39 dst_sel:DWORD dst_unused:UNUSED_PAD src0_sel:BYTE_3 src1_sel:DWORD
	v_cmp_eq_u64_e32 vcc, 0, v[50:51]
	v_cndmask_b32_e32 v17, v0, v17, vcc
; %bb.6880:                             ;   in Loop: Header=BB2_5776 Depth=3
	s_or_b64 exec, exec, s[30:31]
	v_lshrrev_b32_e32 v14, 24, v27
	v_lshrrev_b32_e32 v12, 24, v9
	s_and_b64 vcc, exec, s[28:29]
	v_cmp_lt_u64_e64 s[30:31], s[42:43], v[26:27]
	s_cbranch_vccnz .LBB2_6898
; %bb.6881:                             ;   in Loop: Header=BB2_5776 Depth=3
	v_mov_b32_e32 v7, 0
	v_mov_b32_e32 v0, 0
	s_and_saveexec_b64 s[68:69], s[30:31]
	s_cbranch_execz .LBB2_6889
; %bb.6882:                             ;   in Loop: Header=BB2_5776 Depth=3
	v_cmp_ne_u32_e32 vcc, s97, v14
	v_bfrev_b32_e32 v0, 1
	s_and_saveexec_b64 s[70:71], vcc
	s_cbranch_execz .LBB2_6888
; %bb.6883:                             ;   in Loop: Header=BB2_5776 Depth=3
	v_and_b32_e32 v0, 0x7c000000, v27
	v_bfe_u32 v13, v27, 24, 2
	v_cmp_ne_u32_e32 vcc, s37, v0
                                        ; implicit-def: $vgpr0
	s_and_saveexec_b64 s[72:73], vcc
	s_xor_b64 s[72:73], exec, s[72:73]
	s_cbranch_execz .LBB2_6885
; %bb.6884:                             ;   in Loop: Header=BB2_5776 Depth=3
	v_ffbh_u32_e32 v15, v13
	v_min_u32_e32 v15, 32, v15
	v_bfe_u32 v0, v27, 26, 5
	v_subrev_u32_e32 v24, 29, v15
	v_lshlrev_b64 v[30:31], v24, v[14:15]
	v_sub_u32_e32 v15, 30, v15
	v_cmp_eq_u32_e32 vcc, 0, v0
	v_cndmask_b32_e32 v0, v0, v15, vcc
	v_bfrev_b32_e32 v15, 28
	v_and_b32_e32 v24, 3, v30
	v_lshl_add_u32 v0, v0, 23, v15
	v_cndmask_b32_e32 v13, v13, v24, vcc
	v_and_or_b32 v0, v27, s96, v0
	v_lshl_or_b32 v0, v13, 21, v0
                                        ; implicit-def: $vgpr13
.LBB2_6885:                             ;   in Loop: Header=BB2_5776 Depth=3
	s_andn2_saveexec_b64 s[72:73], s[72:73]
; %bb.6886:                             ;   in Loop: Header=BB2_5776 Depth=3
	v_cmp_lt_i64_e32 vcc, -1, v[26:27]
	v_mov_b32_e32 v0, 0xc7600000
	v_mov_b32_e32 v15, 0x47600000
	v_cndmask_b32_e32 v0, v0, v15, vcc
	v_cmp_eq_u32_e32 vcc, 0, v13
	v_mov_b32_e32 v13, 0x7f800001
	v_cndmask_b32_e32 v0, v13, v0, vcc
; %bb.6887:                             ;   in Loop: Header=BB2_5776 Depth=3
	s_or_b64 exec, exec, s[72:73]
.LBB2_6888:                             ;   in Loop: Header=BB2_5776 Depth=3
	s_or_b64 exec, exec, s[70:71]
.LBB2_6889:                             ;   in Loop: Header=BB2_5776 Depth=3
	s_or_b64 exec, exec, s[68:69]
	v_cmp_lt_u64_e32 vcc, s[42:43], v[8:9]
	s_and_saveexec_b64 s[68:69], vcc
	s_cbranch_execz .LBB2_6897
; %bb.6890:                             ;   in Loop: Header=BB2_5776 Depth=3
	v_cmp_ne_u32_e32 vcc, s97, v12
	v_bfrev_b32_e32 v7, 1
	s_and_saveexec_b64 s[70:71], vcc
	s_cbranch_execz .LBB2_6896
; %bb.6891:                             ;   in Loop: Header=BB2_5776 Depth=3
	v_and_b32_e32 v7, 0x7c000000, v9
	v_bfe_u32 v13, v9, 24, 2
	v_cmp_ne_u32_e32 vcc, s37, v7
                                        ; implicit-def: $vgpr7
	s_and_saveexec_b64 s[72:73], vcc
	s_xor_b64 s[72:73], exec, s[72:73]
	s_cbranch_execz .LBB2_6893
; %bb.6892:                             ;   in Loop: Header=BB2_5776 Depth=3
	v_ffbh_u32_e32 v15, v13
	v_bfe_u32 v7, v9, 26, 5
	v_min_u32_e32 v15, 32, v15
	v_subrev_u32_e32 v24, 29, v15
	v_sub_u32_e32 v15, 30, v15
	v_cmp_eq_u32_e32 vcc, 0, v7
	v_lshlrev_b64 v[30:31], v24, v[12:13]
	v_cndmask_b32_e32 v7, v7, v15, vcc
	v_bfrev_b32_e32 v15, 28
	v_and_b32_e32 v24, 3, v30
	v_lshl_add_u32 v7, v7, 23, v15
	v_cndmask_b32_e32 v13, v13, v24, vcc
	v_and_or_b32 v7, v9, s96, v7
	v_lshl_or_b32 v7, v13, 21, v7
                                        ; implicit-def: $vgpr13
.LBB2_6893:                             ;   in Loop: Header=BB2_5776 Depth=3
	s_andn2_saveexec_b64 s[72:73], s[72:73]
; %bb.6894:                             ;   in Loop: Header=BB2_5776 Depth=3
	v_cmp_lt_i64_e32 vcc, -1, v[8:9]
	v_mov_b32_e32 v7, 0xc7600000
	v_mov_b32_e32 v15, 0x47600000
	v_cndmask_b32_e32 v7, v7, v15, vcc
	v_cmp_eq_u32_e32 vcc, 0, v13
	v_mov_b32_e32 v13, 0x7f800001
	v_cndmask_b32_e32 v7, v13, v7, vcc
; %bb.6895:                             ;   in Loop: Header=BB2_5776 Depth=3
	s_or_b64 exec, exec, s[72:73]
.LBB2_6896:                             ;   in Loop: Header=BB2_5776 Depth=3
	s_or_b64 exec, exec, s[70:71]
.LBB2_6897:                             ;   in Loop: Header=BB2_5776 Depth=3
	s_or_b64 exec, exec, s[68:69]
	v_max_f32_e32 v7, v7, v7
	v_max_f32_e32 v0, v0, v0
	;; [unrolled: 1-line block ×3, first 2 shown]
	s_branch .LBB2_6916
.LBB2_6898:                             ;   in Loop: Header=BB2_5776 Depth=3
                                        ; implicit-def: $vgpr7
	s_cbranch_execz .LBB2_6916
; %bb.6899:                             ;   in Loop: Header=BB2_5776 Depth=3
	v_mov_b32_e32 v7, 0
	v_mov_b32_e32 v0, 0
	s_and_saveexec_b64 s[68:69], s[30:31]
	s_cbranch_execz .LBB2_6907
; %bb.6900:                             ;   in Loop: Header=BB2_5776 Depth=3
	v_cmp_ne_u32_e32 vcc, s97, v14
	v_bfrev_b32_e32 v0, 1
	s_and_saveexec_b64 s[30:31], vcc
	s_cbranch_execz .LBB2_6906
; %bb.6901:                             ;   in Loop: Header=BB2_5776 Depth=3
	v_and_b32_e32 v0, 0x7c000000, v27
	v_bfe_u32 v13, v27, 24, 2
	v_cmp_ne_u32_e32 vcc, s37, v0
                                        ; implicit-def: $vgpr0
	s_and_saveexec_b64 s[70:71], vcc
	s_xor_b64 s[70:71], exec, s[70:71]
	s_cbranch_execz .LBB2_6903
; %bb.6902:                             ;   in Loop: Header=BB2_5776 Depth=3
	v_ffbh_u32_e32 v15, v13
	v_min_u32_e32 v24, 32, v15
	v_subrev_u32_e32 v15, 29, v24
	v_bfe_u32 v0, v27, 26, 5
	v_lshlrev_b64 v[14:15], v15, v[14:15]
	v_sub_u32_e32 v15, 30, v24
	v_and_b32_e32 v14, 3, v14
	v_cmp_eq_u32_e32 vcc, 0, v0
	v_cndmask_b32_e32 v0, v0, v15, vcc
	v_cndmask_b32_e32 v13, v13, v14, vcc
	v_bfrev_b32_e32 v14, 28
	v_lshl_add_u32 v0, v0, 23, v14
	v_and_or_b32 v0, v27, s96, v0
	v_lshl_or_b32 v0, v13, 21, v0
                                        ; implicit-def: $vgpr13
.LBB2_6903:                             ;   in Loop: Header=BB2_5776 Depth=3
	s_andn2_saveexec_b64 s[70:71], s[70:71]
; %bb.6904:                             ;   in Loop: Header=BB2_5776 Depth=3
	v_cmp_lt_i64_e32 vcc, -1, v[26:27]
	v_mov_b32_e32 v0, 0xc7600000
	v_mov_b32_e32 v14, 0x47600000
	v_cndmask_b32_e32 v0, v0, v14, vcc
	v_cmp_eq_u32_e32 vcc, 0, v13
	v_mov_b32_e32 v13, 0x7f800001
	v_cndmask_b32_e32 v0, v13, v0, vcc
; %bb.6905:                             ;   in Loop: Header=BB2_5776 Depth=3
	s_or_b64 exec, exec, s[70:71]
.LBB2_6906:                             ;   in Loop: Header=BB2_5776 Depth=3
	s_or_b64 exec, exec, s[30:31]
.LBB2_6907:                             ;   in Loop: Header=BB2_5776 Depth=3
	s_or_b64 exec, exec, s[68:69]
	v_cmp_lt_u64_e32 vcc, s[42:43], v[8:9]
	s_and_saveexec_b64 s[30:31], vcc
	s_cbranch_execz .LBB2_6915
; %bb.6908:                             ;   in Loop: Header=BB2_5776 Depth=3
	v_cmp_ne_u32_e32 vcc, s97, v12
	v_bfrev_b32_e32 v7, 1
	s_and_saveexec_b64 s[68:69], vcc
	s_cbranch_execz .LBB2_6914
; %bb.6909:                             ;   in Loop: Header=BB2_5776 Depth=3
	v_and_b32_e32 v7, 0x7c000000, v9
	v_bfe_u32 v13, v9, 24, 2
	v_cmp_ne_u32_e32 vcc, s37, v7
                                        ; implicit-def: $vgpr7
	s_and_saveexec_b64 s[70:71], vcc
	s_xor_b64 s[70:71], exec, s[70:71]
	s_cbranch_execz .LBB2_6911
; %bb.6910:                             ;   in Loop: Header=BB2_5776 Depth=3
	v_ffbh_u32_e32 v8, v13
	v_min_u32_e32 v8, 32, v8
	v_subrev_u32_e32 v14, 29, v8
	v_bfe_u32 v7, v9, 26, 5
	v_lshlrev_b64 v[14:15], v14, v[12:13]
	v_sub_u32_e32 v8, 30, v8
	v_and_b32_e32 v12, 3, v14
	v_cmp_eq_u32_e32 vcc, 0, v7
	v_cndmask_b32_e32 v7, v7, v8, vcc
	v_cndmask_b32_e32 v8, v13, v12, vcc
	v_bfrev_b32_e32 v12, 28
	v_lshl_add_u32 v7, v7, 23, v12
	v_and_or_b32 v7, v9, s96, v7
	v_lshl_or_b32 v7, v8, 21, v7
                                        ; implicit-def: $vgpr13
.LBB2_6911:                             ;   in Loop: Header=BB2_5776 Depth=3
	s_andn2_saveexec_b64 s[70:71], s[70:71]
; %bb.6912:                             ;   in Loop: Header=BB2_5776 Depth=3
	v_cmp_lt_i64_e32 vcc, -1, v[8:9]
	v_mov_b32_e32 v7, 0xc7600000
	v_mov_b32_e32 v8, 0x47600000
	v_cndmask_b32_e32 v7, v7, v8, vcc
	v_cmp_eq_u32_e32 vcc, 0, v13
	v_mov_b32_e32 v8, 0x7f800001
	v_cndmask_b32_e32 v7, v8, v7, vcc
; %bb.6913:                             ;   in Loop: Header=BB2_5776 Depth=3
	s_or_b64 exec, exec, s[70:71]
.LBB2_6914:                             ;   in Loop: Header=BB2_5776 Depth=3
	s_or_b64 exec, exec, s[68:69]
.LBB2_6915:                             ;   in Loop: Header=BB2_5776 Depth=3
	s_or_b64 exec, exec, s[30:31]
	v_max_f32_e32 v7, v7, v7
	v_max_f32_e32 v0, v0, v0
	v_min_f32_e32 v7, v0, v7
.LBB2_6916:                             ;   in Loop: Header=BB2_5776 Depth=3
	v_and_b32_sdwa v0, v7, s97 dst_sel:DWORD dst_unused:UNUSED_PAD src0_sel:BYTE_3 src1_sel:DWORD
	v_and_b32_e32 v8, 0x7f800000, v7
	v_mov_b32_e32 v9, v51
	v_and_b32_e32 v50, 0x7fffff, v7
	v_or_b32_e32 v26, 0x7b, v0
	v_cmp_ne_u64_e32 vcc, s[52:53], v[8:9]
	s_and_saveexec_b64 s[30:31], vcc
	s_xor_b64 s[68:69], exec, s[30:31]
	s_cbranch_execz .LBB2_6944
; %bb.6917:                             ;   in Loop: Header=BB2_5776 Depth=3
	v_and_b32_e32 v8, 0x7fffffff, v7
	v_mov_b32_e32 v9, v51
	v_cmp_gt_u64_e32 vcc, s[54:55], v[8:9]
	s_and_saveexec_b64 s[70:71], vcc
	s_cbranch_execz .LBB2_6925
; %bb.6918:                             ;   in Loop: Header=BB2_5776 Depth=3
	v_cmp_ne_u32_e32 vcc, 0, v7
	v_mov_b32_e32 v26, 0
	s_and_saveexec_b64 s[72:73], vcc
	s_cbranch_execz .LBB2_6924
; %bb.6919:                             ;   in Loop: Header=BB2_5776 Depth=3
	v_bfe_u32 v7, v7, 23, 8
	v_sub_u32_e32 v9, 0x71, v7
	v_cmp_gt_u32_e32 vcc, s38, v7
	v_add_u32_e32 v8, 0xffffff81, v7
	v_cndmask_b32_e32 v9, 0, v9, vcc
	v_cmp_eq_u32_e32 vcc, 0, v7
	v_mov_b32_e32 v7, 0xffffff82
	v_cndmask_b32_e32 v7, v8, v7, vcc
	v_mov_b32_e32 v8, 0x70
	v_or_b32_e32 v12, 0x800000, v50
	v_cndmask_b32_e32 v13, v9, v8, vcc
	v_cndmask_b32_e32 v50, v12, v50, vcc
	v_add_u32_e32 v8, 21, v13
	v_lshlrev_b64 v[8:9], v8, -1
	v_add_u32_e32 v12, 20, v13
	v_lshrrev_b64 v[26:27], v13, v[50:51]
	v_not_b32_e32 v9, v9
	v_not_b32_e32 v8, v8
	v_lshlrev_b64 v[14:15], v12, 1
	v_lshrrev_b32_e32 v12, 23, v26
	v_and_b32_e32 v9, 0, v9
	v_and_b32_e32 v8, v50, v8
	v_add3_u32 v13, v13, v7, v12
	v_bfe_u32 v7, v26, 21, 1
	v_add_u32_e32 v7, -1, v7
	v_cmp_eq_u64_e32 vcc, v[8:9], v[14:15]
	v_cndmask_b32_e32 v7, 0, v7, vcc
	v_add_u32_e32 v7, v7, v26
	v_and_b32_e32 v7, 0x1fffff, v7
	v_add_co_u32_e32 v8, vcc, v7, v26
	v_add_u32_e32 v12, 14, v13
	v_addc_co_u32_e32 v9, vcc, 0, v27, vcc
	v_cmp_ne_u32_e32 vcc, 0, v12
                                        ; implicit-def: $vgpr7
	s_and_saveexec_b64 s[30:31], vcc
	s_xor_b64 s[30:31], exec, s[30:31]
; %bb.6920:                             ;   in Loop: Header=BB2_5776 Depth=3
	v_add_u32_e32 v7, 15, v13
	v_cmp_lt_u64_e32 vcc, s[56:57], v[8:9]
	v_cndmask_b32_e32 v7, v12, v7, vcc
	v_cndmask_b32_e64 v12, 0, 1, vcc
	v_lshrrev_b64 v[8:9], v12, v[8:9]
; %bb.6921:                             ;   in Loop: Header=BB2_5776 Depth=3
	s_andn2_saveexec_b64 vcc, s[30:31]
; %bb.6922:                             ;   in Loop: Header=BB2_5776 Depth=3
	v_bfe_u32 v7, v8, 23, 1
; %bb.6923:                             ;   in Loop: Header=BB2_5776 Depth=3
	s_or_b64 exec, exec, vcc
	v_lshrrev_b64 v[8:9], 21, v[8:9]
	v_cmp_gt_i32_e32 vcc, 32, v7
	v_cndmask_b32_e32 v9, 0, v9, vcc
	v_cndmask_b32_e32 v8, 3, v8, vcc
	v_cmp_eq_u32_e32 vcc, 0, v7
	v_min_i32_e32 v7, 31, v7
	v_lshlrev_b32_e32 v7, 2, v7
	v_cmp_eq_u64_e64 s[30:31], 0, v[8:9]
	v_and_b32_e32 v7, 0xfc, v7
	v_and_or_b32 v7, v8, 3, v7
	s_and_b64 vcc, vcc, s[30:31]
	v_cndmask_b32_e64 v7, v7, 0, vcc
	v_or_b32_e32 v26, v7, v0
.LBB2_6924:                             ;   in Loop: Header=BB2_5776 Depth=3
	s_or_b64 exec, exec, s[72:73]
.LBB2_6925:                             ;   in Loop: Header=BB2_5776 Depth=3
	s_or_b64 exec, exec, s[70:71]
                                        ; implicit-def: $vgpr7
	s_andn2_saveexec_b64 s[30:31], s[68:69]
	s_cbranch_execnz .LBB2_6945
.LBB2_6926:                             ;   in Loop: Header=BB2_5776 Depth=3
	s_or_b64 exec, exec, s[30:31]
	s_and_b64 vcc, exec, s[28:29]
	v_cmp_ne_u16_sdwa s[30:31], v28, v51 src0_sel:BYTE_0 src1_sel:DWORD
	s_cbranch_vccnz .LBB2_6946
.LBB2_6927:                             ;   in Loop: Header=BB2_5776 Depth=3
	v_mov_b32_e32 v7, 0
	v_mov_b32_e32 v0, 0
	s_and_saveexec_b64 s[68:69], s[30:31]
	s_cbranch_execz .LBB2_6935
; %bb.6928:                             ;   in Loop: Header=BB2_5776 Depth=3
	v_cmp_ne_u16_sdwa vcc, sext(v28), s94 src0_sel:BYTE_0 src1_sel:DWORD
	v_bfrev_b32_e32 v0, 1
	s_and_saveexec_b64 s[70:71], vcc
	s_cbranch_execz .LBB2_6934
; %bb.6929:                             ;   in Loop: Header=BB2_5776 Depth=3
	v_and_b32_e32 v0, 0x7c, v28
	v_and_b32_e32 v8, 3, v28
	v_cmp_ne_u32_e32 vcc, s95, v0
                                        ; implicit-def: $vgpr0
	s_and_saveexec_b64 s[72:73], vcc
	s_xor_b64 s[72:73], exec, s[72:73]
	s_cbranch_execz .LBB2_6931
; %bb.6930:                             ;   in Loop: Header=BB2_5776 Depth=3
	v_ffbh_u32_e32 v9, v8
	v_min_u32_e32 v9, 32, v9
	v_subrev_u32_e32 v12, 29, v9
	v_bfe_u32 v0, v28, 2, 5
	v_lshlrev_b64 v[12:13], v12, v[28:29]
	v_sub_u32_e32 v9, 30, v9
	v_and_b32_e32 v12, 3, v12
	v_cmp_eq_u32_e32 vcc, 0, v0
	v_cndmask_b32_e32 v0, v0, v9, vcc
	v_cndmask_b32_e32 v8, v8, v12, vcc
	v_bfrev_b32_e32 v12, 28
	v_lshlrev_b32_e32 v9, 24, v28
	v_lshl_add_u32 v0, v0, 23, v12
	v_and_or_b32 v0, v9, s96, v0
	v_lshl_or_b32 v0, v8, 21, v0
                                        ; implicit-def: $vgpr8
.LBB2_6931:                             ;   in Loop: Header=BB2_5776 Depth=3
	s_andn2_saveexec_b64 s[72:73], s[72:73]
; %bb.6932:                             ;   in Loop: Header=BB2_5776 Depth=3
	v_mov_b32_e32 v0, -1
	v_cmp_gt_i16_sdwa vcc, sext(v28), v0 src0_sel:BYTE_0 src1_sel:DWORD
	v_mov_b32_e32 v0, 0xc7600000
	v_mov_b32_e32 v9, 0x47600000
	v_cndmask_b32_e32 v0, v0, v9, vcc
	v_cmp_eq_u32_e32 vcc, 0, v8
	v_mov_b32_e32 v8, 0x7f800001
	v_cndmask_b32_e32 v0, v8, v0, vcc
; %bb.6933:                             ;   in Loop: Header=BB2_5776 Depth=3
	s_or_b64 exec, exec, s[72:73]
.LBB2_6934:                             ;   in Loop: Header=BB2_5776 Depth=3
	s_or_b64 exec, exec, s[70:71]
.LBB2_6935:                             ;   in Loop: Header=BB2_5776 Depth=3
	s_or_b64 exec, exec, s[68:69]
	v_cmp_ne_u16_sdwa vcc, sext(v10), v51 src0_sel:BYTE_0 src1_sel:DWORD
	s_and_saveexec_b64 s[68:69], vcc
	s_cbranch_execz .LBB2_6943
; %bb.6936:                             ;   in Loop: Header=BB2_5776 Depth=3
	v_cmp_ne_u16_sdwa vcc, sext(v10), s94 src0_sel:BYTE_0 src1_sel:DWORD
	v_bfrev_b32_e32 v7, 1
	s_and_saveexec_b64 s[70:71], vcc
	s_cbranch_execz .LBB2_6942
; %bb.6937:                             ;   in Loop: Header=BB2_5776 Depth=3
	v_and_b32_e32 v7, 0x7c, v10
	v_and_b32_e32 v8, 3, v10
	v_cmp_ne_u32_e32 vcc, s95, v7
                                        ; implicit-def: $vgpr7
	s_and_saveexec_b64 s[72:73], vcc
	s_xor_b64 s[72:73], exec, s[72:73]
	s_cbranch_execz .LBB2_6939
; %bb.6938:                             ;   in Loop: Header=BB2_5776 Depth=3
	v_ffbh_u32_e32 v9, v8
	v_min_u32_e32 v9, 32, v9
	v_subrev_u32_e32 v12, 29, v9
	v_bfe_u32 v7, v10, 2, 5
	v_lshlrev_b64 v[12:13], v12, v[10:11]
	v_sub_u32_e32 v9, 30, v9
	v_and_b32_e32 v12, 3, v12
	v_cmp_eq_u32_e32 vcc, 0, v7
	v_cndmask_b32_e32 v7, v7, v9, vcc
	v_cndmask_b32_e32 v8, v8, v12, vcc
	v_bfrev_b32_e32 v12, 28
	v_lshlrev_b32_e32 v9, 24, v10
	v_lshl_add_u32 v7, v7, 23, v12
	v_and_or_b32 v7, v9, s96, v7
	v_lshl_or_b32 v7, v8, 21, v7
                                        ; implicit-def: $vgpr8
.LBB2_6939:                             ;   in Loop: Header=BB2_5776 Depth=3
	s_andn2_saveexec_b64 s[72:73], s[72:73]
; %bb.6940:                             ;   in Loop: Header=BB2_5776 Depth=3
	v_mov_b32_e32 v7, -1
	v_cmp_gt_i16_sdwa vcc, sext(v10), v7 src0_sel:BYTE_0 src1_sel:DWORD
	v_mov_b32_e32 v7, 0xc7600000
	v_mov_b32_e32 v9, 0x47600000
	v_cndmask_b32_e32 v7, v7, v9, vcc
	v_cmp_eq_u32_e32 vcc, 0, v8
	v_mov_b32_e32 v8, 0x7f800001
	v_cndmask_b32_e32 v7, v8, v7, vcc
; %bb.6941:                             ;   in Loop: Header=BB2_5776 Depth=3
	s_or_b64 exec, exec, s[72:73]
.LBB2_6942:                             ;   in Loop: Header=BB2_5776 Depth=3
	s_or_b64 exec, exec, s[70:71]
.LBB2_6943:                             ;   in Loop: Header=BB2_5776 Depth=3
	s_or_b64 exec, exec, s[68:69]
	v_max_f32_e32 v7, v7, v7
	v_max_f32_e32 v0, v0, v0
	v_max_f32_e32 v7, v0, v7
	s_branch .LBB2_6964
.LBB2_6944:                             ;   in Loop: Header=BB2_5776 Depth=3
	s_andn2_saveexec_b64 s[30:31], s[68:69]
	s_cbranch_execz .LBB2_6926
.LBB2_6945:                             ;   in Loop: Header=BB2_5776 Depth=3
	v_or_b32_sdwa v0, v7, s39 dst_sel:DWORD dst_unused:UNUSED_PAD src0_sel:BYTE_3 src1_sel:DWORD
	v_cmp_eq_u64_e32 vcc, 0, v[50:51]
	v_cndmask_b32_e32 v26, v0, v26, vcc
	s_or_b64 exec, exec, s[30:31]
	s_and_b64 vcc, exec, s[28:29]
	v_cmp_ne_u16_sdwa s[30:31], v28, v51 src0_sel:BYTE_0 src1_sel:DWORD
	s_cbranch_vccz .LBB2_6927
.LBB2_6946:                             ;   in Loop: Header=BB2_5776 Depth=3
                                        ; implicit-def: $vgpr7
	s_cbranch_execz .LBB2_6964
; %bb.6947:                             ;   in Loop: Header=BB2_5776 Depth=3
	v_mov_b32_e32 v7, 0
	v_mov_b32_e32 v0, 0
	s_and_saveexec_b64 s[68:69], s[30:31]
	s_cbranch_execz .LBB2_6955
; %bb.6948:                             ;   in Loop: Header=BB2_5776 Depth=3
	v_cmp_ne_u16_sdwa vcc, sext(v28), s94 src0_sel:BYTE_0 src1_sel:DWORD
	v_bfrev_b32_e32 v0, 1
	s_and_saveexec_b64 s[30:31], vcc
	s_cbranch_execz .LBB2_6954
; %bb.6949:                             ;   in Loop: Header=BB2_5776 Depth=3
	v_and_b32_e32 v0, 0x7c, v28
	v_and_b32_e32 v8, 3, v28
	v_cmp_ne_u32_e32 vcc, s95, v0
                                        ; implicit-def: $vgpr0
	s_and_saveexec_b64 s[70:71], vcc
	s_xor_b64 s[70:71], exec, s[70:71]
	s_cbranch_execz .LBB2_6951
; %bb.6950:                             ;   in Loop: Header=BB2_5776 Depth=3
	v_ffbh_u32_e32 v9, v8
	v_min_u32_e32 v9, 32, v9
	v_subrev_u32_e32 v12, 29, v9
	v_bfe_u32 v0, v28, 2, 5
	v_lshlrev_b64 v[12:13], v12, v[28:29]
	v_sub_u32_e32 v9, 30, v9
	v_and_b32_e32 v12, 3, v12
	v_cmp_eq_u32_e32 vcc, 0, v0
	v_cndmask_b32_e32 v0, v0, v9, vcc
	v_cndmask_b32_e32 v8, v8, v12, vcc
	v_bfrev_b32_e32 v12, 28
	v_lshlrev_b32_e32 v9, 24, v28
	v_lshl_add_u32 v0, v0, 23, v12
	v_and_or_b32 v0, v9, s96, v0
	v_lshl_or_b32 v0, v8, 21, v0
                                        ; implicit-def: $vgpr8
.LBB2_6951:                             ;   in Loop: Header=BB2_5776 Depth=3
	s_andn2_saveexec_b64 s[70:71], s[70:71]
; %bb.6952:                             ;   in Loop: Header=BB2_5776 Depth=3
	v_mov_b32_e32 v0, -1
	v_cmp_gt_i16_sdwa vcc, sext(v28), v0 src0_sel:BYTE_0 src1_sel:DWORD
	v_mov_b32_e32 v0, 0xc7600000
	v_mov_b32_e32 v9, 0x47600000
	v_cndmask_b32_e32 v0, v0, v9, vcc
	v_cmp_eq_u32_e32 vcc, 0, v8
	v_mov_b32_e32 v8, 0x7f800001
	v_cndmask_b32_e32 v0, v8, v0, vcc
; %bb.6953:                             ;   in Loop: Header=BB2_5776 Depth=3
	s_or_b64 exec, exec, s[70:71]
.LBB2_6954:                             ;   in Loop: Header=BB2_5776 Depth=3
	s_or_b64 exec, exec, s[30:31]
.LBB2_6955:                             ;   in Loop: Header=BB2_5776 Depth=3
	s_or_b64 exec, exec, s[68:69]
	v_cmp_ne_u16_sdwa vcc, sext(v10), v51 src0_sel:BYTE_0 src1_sel:DWORD
	s_and_saveexec_b64 s[30:31], vcc
	s_cbranch_execz .LBB2_6963
; %bb.6956:                             ;   in Loop: Header=BB2_5776 Depth=3
	v_cmp_ne_u16_sdwa vcc, sext(v10), s94 src0_sel:BYTE_0 src1_sel:DWORD
	v_bfrev_b32_e32 v7, 1
	s_and_saveexec_b64 s[68:69], vcc
	s_cbranch_execz .LBB2_6962
; %bb.6957:                             ;   in Loop: Header=BB2_5776 Depth=3
	v_and_b32_e32 v7, 0x7c, v10
	v_and_b32_e32 v8, 3, v10
	v_cmp_ne_u32_e32 vcc, s95, v7
                                        ; implicit-def: $vgpr7
	s_and_saveexec_b64 s[70:71], vcc
	s_xor_b64 s[70:71], exec, s[70:71]
	s_cbranch_execz .LBB2_6959
; %bb.6958:                             ;   in Loop: Header=BB2_5776 Depth=3
	v_ffbh_u32_e32 v9, v8
	v_min_u32_e32 v9, 32, v9
	v_subrev_u32_e32 v12, 29, v9
	v_bfe_u32 v7, v10, 2, 5
	v_lshlrev_b64 v[12:13], v12, v[10:11]
	v_sub_u32_e32 v9, 30, v9
	v_and_b32_e32 v12, 3, v12
	v_cmp_eq_u32_e32 vcc, 0, v7
	v_cndmask_b32_e32 v7, v7, v9, vcc
	v_cndmask_b32_e32 v8, v8, v12, vcc
	v_bfrev_b32_e32 v12, 28
	v_lshlrev_b32_e32 v9, 24, v10
	v_lshl_add_u32 v7, v7, 23, v12
	v_and_or_b32 v7, v9, s96, v7
	v_lshl_or_b32 v7, v8, 21, v7
                                        ; implicit-def: $vgpr8
.LBB2_6959:                             ;   in Loop: Header=BB2_5776 Depth=3
	s_andn2_saveexec_b64 s[70:71], s[70:71]
; %bb.6960:                             ;   in Loop: Header=BB2_5776 Depth=3
	v_mov_b32_e32 v7, -1
	v_cmp_gt_i16_sdwa vcc, sext(v10), v7 src0_sel:BYTE_0 src1_sel:DWORD
	v_mov_b32_e32 v7, 0xc7600000
	v_mov_b32_e32 v9, 0x47600000
	v_cndmask_b32_e32 v7, v7, v9, vcc
	v_cmp_eq_u32_e32 vcc, 0, v8
	v_mov_b32_e32 v8, 0x7f800001
	v_cndmask_b32_e32 v7, v8, v7, vcc
; %bb.6961:                             ;   in Loop: Header=BB2_5776 Depth=3
	s_or_b64 exec, exec, s[70:71]
.LBB2_6962:                             ;   in Loop: Header=BB2_5776 Depth=3
	s_or_b64 exec, exec, s[68:69]
.LBB2_6963:                             ;   in Loop: Header=BB2_5776 Depth=3
	s_or_b64 exec, exec, s[30:31]
	v_max_f32_e32 v7, v7, v7
	v_max_f32_e32 v0, v0, v0
	v_min_f32_e32 v7, v0, v7
.LBB2_6964:                             ;   in Loop: Header=BB2_5776 Depth=3
	v_and_b32_sdwa v0, v7, s97 dst_sel:DWORD dst_unused:UNUSED_PAD src0_sel:BYTE_3 src1_sel:DWORD
	v_and_b32_e32 v8, 0x7f800000, v7
	v_mov_b32_e32 v9, v51
	v_and_b32_e32 v50, 0x7fffff, v7
	v_or_b32_e32 v27, 0x7b, v0
	v_cmp_ne_u64_e32 vcc, s[52:53], v[8:9]
	s_and_saveexec_b64 s[30:31], vcc
	s_xor_b64 s[68:69], exec, s[30:31]
	s_cbranch_execz .LBB2_6974
; %bb.6965:                             ;   in Loop: Header=BB2_5776 Depth=3
	v_and_b32_e32 v8, 0x7fffffff, v7
	v_mov_b32_e32 v9, v51
	v_cmp_gt_u64_e32 vcc, s[54:55], v[8:9]
	s_and_saveexec_b64 s[70:71], vcc
	s_cbranch_execz .LBB2_6973
; %bb.6966:                             ;   in Loop: Header=BB2_5776 Depth=3
	v_cmp_ne_u32_e32 vcc, 0, v7
	v_mov_b32_e32 v27, 0
	s_and_saveexec_b64 s[72:73], vcc
	s_cbranch_execz .LBB2_6972
; %bb.6967:                             ;   in Loop: Header=BB2_5776 Depth=3
	v_bfe_u32 v7, v7, 23, 8
	v_sub_u32_e32 v9, 0x71, v7
	v_cmp_gt_u32_e32 vcc, s38, v7
	v_add_u32_e32 v8, 0xffffff81, v7
	v_cndmask_b32_e32 v9, 0, v9, vcc
	v_cmp_eq_u32_e32 vcc, 0, v7
	v_mov_b32_e32 v7, 0xffffff82
	v_cndmask_b32_e32 v7, v8, v7, vcc
	v_mov_b32_e32 v8, 0x70
	v_or_b32_e32 v12, 0x800000, v50
	v_cndmask_b32_e32 v13, v9, v8, vcc
	v_cndmask_b32_e32 v50, v12, v50, vcc
	v_add_u32_e32 v8, 21, v13
	v_lshlrev_b64 v[8:9], v8, -1
	v_add_u32_e32 v12, 20, v13
	v_lshrrev_b64 v[30:31], v13, v[50:51]
	v_not_b32_e32 v9, v9
	v_not_b32_e32 v8, v8
	v_lshlrev_b64 v[14:15], v12, 1
	v_lshrrev_b32_e32 v12, 23, v30
	v_and_b32_e32 v9, 0, v9
	v_and_b32_e32 v8, v50, v8
	v_add3_u32 v13, v13, v7, v12
	v_bfe_u32 v7, v30, 21, 1
	v_add_u32_e32 v7, -1, v7
	v_cmp_eq_u64_e32 vcc, v[8:9], v[14:15]
	v_cndmask_b32_e32 v7, 0, v7, vcc
	v_add_u32_e32 v7, v7, v30
	v_and_b32_e32 v7, 0x1fffff, v7
	v_add_co_u32_e32 v8, vcc, v7, v30
	v_add_u32_e32 v12, 14, v13
	v_addc_co_u32_e32 v9, vcc, 0, v31, vcc
	v_cmp_ne_u32_e32 vcc, 0, v12
                                        ; implicit-def: $vgpr7
	s_and_saveexec_b64 s[30:31], vcc
	s_xor_b64 s[30:31], exec, s[30:31]
; %bb.6968:                             ;   in Loop: Header=BB2_5776 Depth=3
	v_add_u32_e32 v7, 15, v13
	v_cmp_lt_u64_e32 vcc, s[56:57], v[8:9]
	v_cndmask_b32_e32 v7, v12, v7, vcc
	v_cndmask_b32_e64 v12, 0, 1, vcc
	v_lshrrev_b64 v[8:9], v12, v[8:9]
; %bb.6969:                             ;   in Loop: Header=BB2_5776 Depth=3
	s_andn2_saveexec_b64 vcc, s[30:31]
; %bb.6970:                             ;   in Loop: Header=BB2_5776 Depth=3
	v_bfe_u32 v7, v8, 23, 1
; %bb.6971:                             ;   in Loop: Header=BB2_5776 Depth=3
	s_or_b64 exec, exec, vcc
	v_lshrrev_b64 v[8:9], 21, v[8:9]
	v_cmp_gt_i32_e32 vcc, 32, v7
	v_cndmask_b32_e32 v9, 0, v9, vcc
	v_cndmask_b32_e32 v8, 3, v8, vcc
	v_cmp_eq_u32_e32 vcc, 0, v7
	v_min_i32_e32 v7, 31, v7
	v_cmp_eq_u64_e64 s[30:31], 0, v[8:9]
	v_lshlrev_b32_e32 v7, 2, v7
	v_and_or_b32 v7, v8, 3, v7
	s_and_b64 vcc, vcc, s[30:31]
	v_cndmask_b32_e64 v7, v7, 0, vcc
	v_or_b32_e32 v27, v7, v0
.LBB2_6972:                             ;   in Loop: Header=BB2_5776 Depth=3
	s_or_b64 exec, exec, s[72:73]
.LBB2_6973:                             ;   in Loop: Header=BB2_5776 Depth=3
	s_or_b64 exec, exec, s[70:71]
                                        ; implicit-def: $vgpr7
.LBB2_6974:                             ;   in Loop: Header=BB2_5776 Depth=3
	s_andn2_saveexec_b64 s[30:31], s[68:69]
; %bb.6975:                             ;   in Loop: Header=BB2_5776 Depth=3
	v_or_b32_sdwa v0, v7, s39 dst_sel:DWORD dst_unused:UNUSED_PAD src0_sel:BYTE_3 src1_sel:DWORD
	v_cmp_eq_u64_e32 vcc, 0, v[50:51]
	v_cndmask_b32_e32 v27, v0, v27, vcc
; %bb.6976:                             ;   in Loop: Header=BB2_5776 Depth=3
	s_or_b64 exec, exec, s[30:31]
	v_lshrrev_b16_e32 v50, 8, v28
	v_lshrrev_b16_e32 v8, 8, v10
	s_and_b64 vcc, exec, s[28:29]
	v_cmp_ne_u16_e64 s[30:31], 0, v50
	s_cbranch_vccnz .LBB2_6994
; %bb.6977:                             ;   in Loop: Header=BB2_5776 Depth=3
	v_mov_b32_e32 v7, 0
	v_mov_b32_e32 v0, 0
	s_and_saveexec_b64 s[68:69], s[30:31]
	s_cbranch_execz .LBB2_6985
; %bb.6978:                             ;   in Loop: Header=BB2_5776 Depth=3
	v_cmp_ne_u16_e32 vcc, s97, v50
	v_bfrev_b32_e32 v0, 1
	s_and_saveexec_b64 s[70:71], vcc
	s_cbranch_execz .LBB2_6984
; %bb.6979:                             ;   in Loop: Header=BB2_5776 Depth=3
	v_and_b32_e32 v0, 0x7c, v50
	v_and_b32_e32 v9, 3, v50
	v_cmp_ne_u32_e32 vcc, s95, v0
                                        ; implicit-def: $vgpr0
	s_and_saveexec_b64 s[72:73], vcc
	s_xor_b64 s[72:73], exec, s[72:73]
	s_cbranch_execz .LBB2_6981
; %bb.6980:                             ;   in Loop: Header=BB2_5776 Depth=3
	v_ffbh_u32_e32 v12, v9
	v_min_u32_e32 v14, 32, v12
	v_subrev_u32_e32 v12, 29, v14
	v_bfe_u32 v0, v50, 2, 5
	v_lshlrev_b64 v[12:13], v12, v[50:51]
	v_sub_u32_e32 v13, 30, v14
	v_cmp_eq_u32_e32 vcc, 0, v0
	v_and_b32_e32 v12, 3, v12
	v_cndmask_b32_e32 v0, v0, v13, vcc
	v_bfrev_b32_e32 v13, 28
	v_cndmask_b32_e32 v9, v9, v12, vcc
	v_lshlrev_b32_e32 v12, 16, v28
	v_lshl_add_u32 v0, v0, 23, v13
	v_and_or_b32 v0, v12, s96, v0
	v_lshl_or_b32 v0, v9, 21, v0
                                        ; implicit-def: $vgpr9
.LBB2_6981:                             ;   in Loop: Header=BB2_5776 Depth=3
	s_andn2_saveexec_b64 s[72:73], s[72:73]
; %bb.6982:                             ;   in Loop: Header=BB2_5776 Depth=3
	v_cmp_lt_i16_e32 vcc, -1, v28
	v_mov_b32_e32 v0, 0xc7600000
	v_mov_b32_e32 v12, 0x47600000
	v_cndmask_b32_e32 v0, v0, v12, vcc
	v_cmp_eq_u32_e32 vcc, 0, v9
	v_mov_b32_e32 v9, 0x7f800001
	v_cndmask_b32_e32 v0, v9, v0, vcc
; %bb.6983:                             ;   in Loop: Header=BB2_5776 Depth=3
	s_or_b64 exec, exec, s[72:73]
.LBB2_6984:                             ;   in Loop: Header=BB2_5776 Depth=3
	s_or_b64 exec, exec, s[70:71]
.LBB2_6985:                             ;   in Loop: Header=BB2_5776 Depth=3
	s_or_b64 exec, exec, s[68:69]
	v_cmp_ne_u16_e32 vcc, 0, v8
	s_and_saveexec_b64 s[68:69], vcc
	s_cbranch_execz .LBB2_6993
; %bb.6986:                             ;   in Loop: Header=BB2_5776 Depth=3
	v_cmp_ne_u16_e32 vcc, s97, v8
	v_bfrev_b32_e32 v7, 1
	s_and_saveexec_b64 s[70:71], vcc
	s_cbranch_execz .LBB2_6992
; %bb.6987:                             ;   in Loop: Header=BB2_5776 Depth=3
	v_and_b32_e32 v7, 0x7c, v8
	v_and_b32_e32 v12, 3, v8
	v_cmp_ne_u32_e32 vcc, s95, v7
                                        ; implicit-def: $vgpr7
	s_and_saveexec_b64 s[72:73], vcc
	s_xor_b64 s[72:73], exec, s[72:73]
	s_cbranch_execz .LBB2_6989
; %bb.6988:                             ;   in Loop: Header=BB2_5776 Depth=3
	v_ffbh_u32_e32 v13, v12
	v_min_u32_e32 v13, 32, v13
	v_mov_b32_e32 v9, v51
	v_subrev_u32_e32 v14, 29, v13
	v_bfe_u32 v7, v8, 2, 5
	v_lshlrev_b64 v[14:15], v14, v[8:9]
	v_sub_u32_e32 v9, 30, v13
	v_and_b32_e32 v13, 3, v14
	v_cmp_eq_u32_e32 vcc, 0, v7
	v_cndmask_b32_e32 v7, v7, v9, vcc
	v_cndmask_b32_e32 v9, v12, v13, vcc
	v_bfrev_b32_e32 v13, 28
	v_lshlrev_b32_e32 v12, 16, v10
	v_lshl_add_u32 v7, v7, 23, v13
	v_and_or_b32 v7, v12, s96, v7
	v_lshl_or_b32 v7, v9, 21, v7
                                        ; implicit-def: $vgpr12
.LBB2_6989:                             ;   in Loop: Header=BB2_5776 Depth=3
	s_andn2_saveexec_b64 s[72:73], s[72:73]
; %bb.6990:                             ;   in Loop: Header=BB2_5776 Depth=3
	v_cmp_lt_i16_e32 vcc, -1, v10
	v_mov_b32_e32 v7, 0xc7600000
	v_mov_b32_e32 v9, 0x47600000
	v_cndmask_b32_e32 v7, v7, v9, vcc
	v_cmp_eq_u32_e32 vcc, 0, v12
	v_mov_b32_e32 v9, 0x7f800001
	v_cndmask_b32_e32 v7, v9, v7, vcc
; %bb.6991:                             ;   in Loop: Header=BB2_5776 Depth=3
	s_or_b64 exec, exec, s[72:73]
.LBB2_6992:                             ;   in Loop: Header=BB2_5776 Depth=3
	s_or_b64 exec, exec, s[70:71]
.LBB2_6993:                             ;   in Loop: Header=BB2_5776 Depth=3
	s_or_b64 exec, exec, s[68:69]
	v_max_f32_e32 v7, v7, v7
	v_max_f32_e32 v0, v0, v0
	;; [unrolled: 1-line block ×3, first 2 shown]
	s_branch .LBB2_7012
.LBB2_6994:                             ;   in Loop: Header=BB2_5776 Depth=3
                                        ; implicit-def: $vgpr7
	s_cbranch_execz .LBB2_7012
; %bb.6995:                             ;   in Loop: Header=BB2_5776 Depth=3
	v_mov_b32_e32 v7, 0
	v_mov_b32_e32 v0, 0
	s_and_saveexec_b64 s[68:69], s[30:31]
	s_cbranch_execz .LBB2_7003
; %bb.6996:                             ;   in Loop: Header=BB2_5776 Depth=3
	v_cmp_ne_u16_e32 vcc, s97, v50
	v_bfrev_b32_e32 v0, 1
	s_and_saveexec_b64 s[30:31], vcc
	s_cbranch_execz .LBB2_7002
; %bb.6997:                             ;   in Loop: Header=BB2_5776 Depth=3
	v_and_b32_e32 v0, 0x7c, v50
	v_and_b32_e32 v9, 3, v50
	v_cmp_ne_u32_e32 vcc, s95, v0
                                        ; implicit-def: $vgpr0
	s_and_saveexec_b64 s[70:71], vcc
	s_xor_b64 s[70:71], exec, s[70:71]
	s_cbranch_execz .LBB2_6999
; %bb.6998:                             ;   in Loop: Header=BB2_5776 Depth=3
	v_ffbh_u32_e32 v12, v9
	v_min_u32_e32 v14, 32, v12
	v_subrev_u32_e32 v12, 29, v14
	v_bfe_u32 v0, v50, 2, 5
	v_lshlrev_b64 v[12:13], v12, v[50:51]
	v_sub_u32_e32 v13, 30, v14
	v_cmp_eq_u32_e32 vcc, 0, v0
	v_and_b32_e32 v12, 3, v12
	v_cndmask_b32_e32 v0, v0, v13, vcc
	v_bfrev_b32_e32 v13, 28
	v_cndmask_b32_e32 v9, v9, v12, vcc
	v_lshlrev_b32_e32 v12, 16, v28
	v_lshl_add_u32 v0, v0, 23, v13
	v_and_or_b32 v0, v12, s96, v0
	v_lshl_or_b32 v0, v9, 21, v0
                                        ; implicit-def: $vgpr9
.LBB2_6999:                             ;   in Loop: Header=BB2_5776 Depth=3
	s_andn2_saveexec_b64 s[70:71], s[70:71]
; %bb.7000:                             ;   in Loop: Header=BB2_5776 Depth=3
	v_cmp_lt_i16_e32 vcc, -1, v28
	v_mov_b32_e32 v0, 0xc7600000
	v_mov_b32_e32 v12, 0x47600000
	v_cndmask_b32_e32 v0, v0, v12, vcc
	v_cmp_eq_u32_e32 vcc, 0, v9
	v_mov_b32_e32 v9, 0x7f800001
	v_cndmask_b32_e32 v0, v9, v0, vcc
; %bb.7001:                             ;   in Loop: Header=BB2_5776 Depth=3
	s_or_b64 exec, exec, s[70:71]
.LBB2_7002:                             ;   in Loop: Header=BB2_5776 Depth=3
	s_or_b64 exec, exec, s[30:31]
.LBB2_7003:                             ;   in Loop: Header=BB2_5776 Depth=3
	s_or_b64 exec, exec, s[68:69]
	v_cmp_ne_u16_e32 vcc, 0, v8
	s_and_saveexec_b64 s[30:31], vcc
	s_cbranch_execz .LBB2_7011
; %bb.7004:                             ;   in Loop: Header=BB2_5776 Depth=3
	v_cmp_ne_u16_e32 vcc, s97, v8
	v_bfrev_b32_e32 v7, 1
	s_and_saveexec_b64 s[68:69], vcc
	s_cbranch_execz .LBB2_7010
; %bb.7005:                             ;   in Loop: Header=BB2_5776 Depth=3
	v_and_b32_e32 v7, 0x7c, v8
	v_and_b32_e32 v12, 3, v8
	v_cmp_ne_u32_e32 vcc, s95, v7
                                        ; implicit-def: $vgpr7
	s_and_saveexec_b64 s[70:71], vcc
	s_xor_b64 s[70:71], exec, s[70:71]
	s_cbranch_execz .LBB2_7007
; %bb.7006:                             ;   in Loop: Header=BB2_5776 Depth=3
	v_ffbh_u32_e32 v13, v12
	v_min_u32_e32 v13, 32, v13
	v_mov_b32_e32 v9, v51
	v_subrev_u32_e32 v14, 29, v13
	v_bfe_u32 v7, v8, 2, 5
	v_lshlrev_b64 v[8:9], v14, v[8:9]
	v_sub_u32_e32 v9, 30, v13
	v_and_b32_e32 v8, 3, v8
	v_cmp_eq_u32_e32 vcc, 0, v7
	v_cndmask_b32_e32 v7, v7, v9, vcc
	v_cndmask_b32_e32 v8, v12, v8, vcc
	v_bfrev_b32_e32 v12, 28
	v_lshlrev_b32_e32 v9, 16, v10
	v_lshl_add_u32 v7, v7, 23, v12
	v_and_or_b32 v7, v9, s96, v7
	v_lshl_or_b32 v7, v8, 21, v7
                                        ; implicit-def: $vgpr12
.LBB2_7007:                             ;   in Loop: Header=BB2_5776 Depth=3
	s_andn2_saveexec_b64 s[70:71], s[70:71]
; %bb.7008:                             ;   in Loop: Header=BB2_5776 Depth=3
	v_cmp_lt_i16_e32 vcc, -1, v10
	v_mov_b32_e32 v7, 0xc7600000
	v_mov_b32_e32 v8, 0x47600000
	v_cndmask_b32_e32 v7, v7, v8, vcc
	v_cmp_eq_u32_e32 vcc, 0, v12
	v_mov_b32_e32 v8, 0x7f800001
	v_cndmask_b32_e32 v7, v8, v7, vcc
; %bb.7009:                             ;   in Loop: Header=BB2_5776 Depth=3
	s_or_b64 exec, exec, s[70:71]
.LBB2_7010:                             ;   in Loop: Header=BB2_5776 Depth=3
	s_or_b64 exec, exec, s[68:69]
.LBB2_7011:                             ;   in Loop: Header=BB2_5776 Depth=3
	s_or_b64 exec, exec, s[30:31]
	v_max_f32_e32 v7, v7, v7
	v_max_f32_e32 v0, v0, v0
	v_min_f32_e32 v7, v0, v7
.LBB2_7012:                             ;   in Loop: Header=BB2_5776 Depth=3
	v_and_b32_sdwa v0, v7, s97 dst_sel:DWORD dst_unused:UNUSED_PAD src0_sel:BYTE_3 src1_sel:DWORD
	v_and_b32_e32 v8, 0x7f800000, v7
	v_mov_b32_e32 v9, v51
	v_and_b32_e32 v50, 0x7fffff, v7
	v_or_b32_e32 v31, 0x7b, v0
	v_cmp_ne_u64_e32 vcc, s[52:53], v[8:9]
	s_and_saveexec_b64 s[30:31], vcc
	s_xor_b64 s[68:69], exec, s[30:31]
	s_cbranch_execz .LBB2_7022
; %bb.7013:                             ;   in Loop: Header=BB2_5776 Depth=3
	v_and_b32_e32 v8, 0x7fffffff, v7
	v_mov_b32_e32 v9, v51
	v_cmp_gt_u64_e32 vcc, s[54:55], v[8:9]
	s_and_saveexec_b64 s[70:71], vcc
	s_cbranch_execz .LBB2_7021
; %bb.7014:                             ;   in Loop: Header=BB2_5776 Depth=3
	v_cmp_ne_u32_e32 vcc, 0, v7
	v_mov_b32_e32 v31, 0
	s_and_saveexec_b64 s[72:73], vcc
	s_cbranch_execz .LBB2_7020
; %bb.7015:                             ;   in Loop: Header=BB2_5776 Depth=3
	v_bfe_u32 v7, v7, 23, 8
	v_sub_u32_e32 v9, 0x71, v7
	v_cmp_gt_u32_e32 vcc, s38, v7
	v_add_u32_e32 v8, 0xffffff81, v7
	v_cndmask_b32_e32 v9, 0, v9, vcc
	v_cmp_eq_u32_e32 vcc, 0, v7
	v_mov_b32_e32 v7, 0xffffff82
	v_cndmask_b32_e32 v7, v8, v7, vcc
	v_mov_b32_e32 v8, 0x70
	v_or_b32_e32 v12, 0x800000, v50
	v_cndmask_b32_e32 v13, v9, v8, vcc
	v_cndmask_b32_e32 v50, v12, v50, vcc
	v_add_u32_e32 v8, 21, v13
	v_lshlrev_b64 v[8:9], v8, -1
	v_add_u32_e32 v12, 20, v13
	v_lshrrev_b64 v[30:31], v13, v[50:51]
	v_not_b32_e32 v9, v9
	v_not_b32_e32 v8, v8
	v_lshlrev_b64 v[14:15], v12, 1
	v_lshrrev_b32_e32 v12, 23, v30
	v_and_b32_e32 v9, 0, v9
	v_and_b32_e32 v8, v50, v8
	v_add3_u32 v13, v13, v7, v12
	v_bfe_u32 v7, v30, 21, 1
	v_add_u32_e32 v7, -1, v7
	v_cmp_eq_u64_e32 vcc, v[8:9], v[14:15]
	v_cndmask_b32_e32 v7, 0, v7, vcc
	v_add_u32_e32 v7, v7, v30
	v_and_b32_e32 v7, 0x1fffff, v7
	v_add_co_u32_e32 v8, vcc, v7, v30
	v_add_u32_e32 v12, 14, v13
	v_addc_co_u32_e32 v9, vcc, 0, v31, vcc
	v_cmp_ne_u32_e32 vcc, 0, v12
                                        ; implicit-def: $vgpr7
	s_and_saveexec_b64 s[30:31], vcc
	s_xor_b64 s[30:31], exec, s[30:31]
; %bb.7016:                             ;   in Loop: Header=BB2_5776 Depth=3
	v_add_u32_e32 v7, 15, v13
	v_cmp_lt_u64_e32 vcc, s[56:57], v[8:9]
	v_cndmask_b32_e32 v7, v12, v7, vcc
	v_cndmask_b32_e64 v12, 0, 1, vcc
	v_lshrrev_b64 v[8:9], v12, v[8:9]
; %bb.7017:                             ;   in Loop: Header=BB2_5776 Depth=3
	s_andn2_saveexec_b64 vcc, s[30:31]
; %bb.7018:                             ;   in Loop: Header=BB2_5776 Depth=3
	v_bfe_u32 v7, v8, 23, 1
; %bb.7019:                             ;   in Loop: Header=BB2_5776 Depth=3
	s_or_b64 exec, exec, vcc
	v_lshrrev_b64 v[8:9], 21, v[8:9]
	v_cmp_gt_i32_e32 vcc, 32, v7
	v_cndmask_b32_e32 v9, 0, v9, vcc
	v_cndmask_b32_e32 v8, 3, v8, vcc
	v_cmp_eq_u32_e32 vcc, 0, v7
	v_min_i32_e32 v7, 31, v7
	v_cmp_eq_u64_e64 s[30:31], 0, v[8:9]
	v_lshlrev_b32_e32 v7, 2, v7
	v_and_or_b32 v7, v8, 3, v7
	s_and_b64 vcc, vcc, s[30:31]
	v_cndmask_b32_e64 v7, v7, 0, vcc
	v_or_b32_e32 v31, v7, v0
.LBB2_7020:                             ;   in Loop: Header=BB2_5776 Depth=3
	s_or_b64 exec, exec, s[72:73]
.LBB2_7021:                             ;   in Loop: Header=BB2_5776 Depth=3
	s_or_b64 exec, exec, s[70:71]
                                        ; implicit-def: $vgpr7
.LBB2_7022:                             ;   in Loop: Header=BB2_5776 Depth=3
	s_andn2_saveexec_b64 s[30:31], s[68:69]
; %bb.7023:                             ;   in Loop: Header=BB2_5776 Depth=3
	v_or_b32_sdwa v0, v7, s39 dst_sel:DWORD dst_unused:UNUSED_PAD src0_sel:BYTE_3 src1_sel:DWORD
	v_cmp_eq_u64_e32 vcc, 0, v[50:51]
	v_cndmask_b32_e32 v31, v0, v31, vcc
; %bb.7024:                             ;   in Loop: Header=BB2_5776 Depth=3
	s_or_b64 exec, exec, s[30:31]
	v_lshrrev_b32_e32 v12, 16, v28
	v_lshrrev_b32_e32 v8, 16, v10
	s_and_b64 vcc, exec, s[28:29]
	v_cmp_ne_u16_sdwa s[30:31], v12, v51 src0_sel:BYTE_0 src1_sel:DWORD
	s_cbranch_vccnz .LBB2_7042
; %bb.7025:                             ;   in Loop: Header=BB2_5776 Depth=3
	v_mov_b32_e32 v7, 0
	v_mov_b32_e32 v0, 0
	s_and_saveexec_b64 s[68:69], s[30:31]
	s_cbranch_execz .LBB2_7033
; %bb.7026:                             ;   in Loop: Header=BB2_5776 Depth=3
	v_cmp_ne_u16_sdwa vcc, v12, s97 src0_sel:BYTE_0 src1_sel:DWORD
	v_bfrev_b32_e32 v0, 1
	s_and_saveexec_b64 s[70:71], vcc
	s_cbranch_execz .LBB2_7032
; %bb.7027:                             ;   in Loop: Header=BB2_5776 Depth=3
	v_and_b32_e32 v0, 0x7c0000, v28
	v_bfe_u32 v9, v28, 16, 2
	v_cmp_ne_u32_e32 vcc, s36, v0
                                        ; implicit-def: $vgpr0
	s_and_saveexec_b64 s[72:73], vcc
	s_xor_b64 s[72:73], exec, s[72:73]
	s_cbranch_execz .LBB2_7029
; %bb.7028:                             ;   in Loop: Header=BB2_5776 Depth=3
	v_ffbh_u32_e32 v13, v9
	v_min_u32_e32 v13, 32, v13
	v_subrev_u32_e32 v14, 29, v13
	v_bfe_u32 v0, v28, 18, 5
	v_lshlrev_b64 v[14:15], v14, v[12:13]
	v_sub_u32_e32 v13, 30, v13
	v_and_b32_e32 v14, 3, v14
	v_cmp_eq_u32_e32 vcc, 0, v0
	v_cndmask_b32_e32 v0, v0, v13, vcc
	v_cndmask_b32_e32 v9, v9, v14, vcc
	v_bfrev_b32_e32 v14, 28
	v_lshlrev_b32_e32 v13, 24, v12
	v_lshl_add_u32 v0, v0, 23, v14
	v_and_or_b32 v0, v13, s96, v0
	v_lshl_or_b32 v0, v9, 21, v0
                                        ; implicit-def: $vgpr9
.LBB2_7029:                             ;   in Loop: Header=BB2_5776 Depth=3
	s_andn2_saveexec_b64 s[72:73], s[72:73]
; %bb.7030:                             ;   in Loop: Header=BB2_5776 Depth=3
	v_mov_b32_e32 v0, -1
	v_cmp_gt_i16_sdwa vcc, sext(v12), v0 src0_sel:BYTE_0 src1_sel:DWORD
	v_mov_b32_e32 v0, 0xc7600000
	v_mov_b32_e32 v13, 0x47600000
	v_cndmask_b32_e32 v0, v0, v13, vcc
	v_cmp_eq_u32_e32 vcc, 0, v9
	v_mov_b32_e32 v9, 0x7f800001
	v_cndmask_b32_e32 v0, v9, v0, vcc
; %bb.7031:                             ;   in Loop: Header=BB2_5776 Depth=3
	s_or_b64 exec, exec, s[72:73]
.LBB2_7032:                             ;   in Loop: Header=BB2_5776 Depth=3
	s_or_b64 exec, exec, s[70:71]
.LBB2_7033:                             ;   in Loop: Header=BB2_5776 Depth=3
	s_or_b64 exec, exec, s[68:69]
	v_cmp_ne_u16_sdwa vcc, v8, v51 src0_sel:BYTE_0 src1_sel:DWORD
	s_and_saveexec_b64 s[68:69], vcc
	s_cbranch_execz .LBB2_7041
; %bb.7034:                             ;   in Loop: Header=BB2_5776 Depth=3
	v_cmp_ne_u16_sdwa vcc, v8, s97 src0_sel:BYTE_0 src1_sel:DWORD
	v_bfrev_b32_e32 v7, 1
	s_and_saveexec_b64 s[70:71], vcc
	s_cbranch_execz .LBB2_7040
; %bb.7035:                             ;   in Loop: Header=BB2_5776 Depth=3
	v_and_b32_e32 v7, 0x7c0000, v10
	v_bfe_u32 v9, v10, 16, 2
	v_cmp_ne_u32_e32 vcc, s36, v7
                                        ; implicit-def: $vgpr7
	s_and_saveexec_b64 s[72:73], vcc
	s_xor_b64 s[72:73], exec, s[72:73]
	s_cbranch_execz .LBB2_7037
; %bb.7036:                             ;   in Loop: Header=BB2_5776 Depth=3
	v_ffbh_u32_e32 v13, v9
	v_min_u32_e32 v13, 32, v13
	v_subrev_u32_e32 v14, 29, v13
	v_bfe_u32 v7, v10, 18, 5
	v_lshlrev_b64 v[14:15], v14, v[8:9]
	v_sub_u32_e32 v13, 30, v13
	v_and_b32_e32 v14, 3, v14
	v_cmp_eq_u32_e32 vcc, 0, v7
	v_cndmask_b32_e32 v7, v7, v13, vcc
	v_cndmask_b32_e32 v9, v9, v14, vcc
	v_bfrev_b32_e32 v14, 28
	v_lshlrev_b32_e32 v13, 24, v8
	v_lshl_add_u32 v7, v7, 23, v14
	v_and_or_b32 v7, v13, s96, v7
	v_lshl_or_b32 v7, v9, 21, v7
                                        ; implicit-def: $vgpr9
.LBB2_7037:                             ;   in Loop: Header=BB2_5776 Depth=3
	s_andn2_saveexec_b64 s[72:73], s[72:73]
; %bb.7038:                             ;   in Loop: Header=BB2_5776 Depth=3
	v_mov_b32_e32 v7, -1
	v_cmp_gt_i16_sdwa vcc, sext(v8), v7 src0_sel:BYTE_0 src1_sel:DWORD
	v_mov_b32_e32 v7, 0xc7600000
	v_mov_b32_e32 v13, 0x47600000
	v_cndmask_b32_e32 v7, v7, v13, vcc
	v_cmp_eq_u32_e32 vcc, 0, v9
	v_mov_b32_e32 v9, 0x7f800001
	v_cndmask_b32_e32 v7, v9, v7, vcc
; %bb.7039:                             ;   in Loop: Header=BB2_5776 Depth=3
	s_or_b64 exec, exec, s[72:73]
.LBB2_7040:                             ;   in Loop: Header=BB2_5776 Depth=3
	s_or_b64 exec, exec, s[70:71]
.LBB2_7041:                             ;   in Loop: Header=BB2_5776 Depth=3
	s_or_b64 exec, exec, s[68:69]
	v_max_f32_e32 v7, v7, v7
	v_max_f32_e32 v0, v0, v0
	;; [unrolled: 1-line block ×3, first 2 shown]
	s_branch .LBB2_7060
.LBB2_7042:                             ;   in Loop: Header=BB2_5776 Depth=3
                                        ; implicit-def: $vgpr9
	s_cbranch_execz .LBB2_7060
; %bb.7043:                             ;   in Loop: Header=BB2_5776 Depth=3
	v_mov_b32_e32 v7, 0
	v_mov_b32_e32 v0, 0
	s_and_saveexec_b64 s[68:69], s[30:31]
	s_cbranch_execz .LBB2_7051
; %bb.7044:                             ;   in Loop: Header=BB2_5776 Depth=3
	v_cmp_ne_u16_sdwa vcc, v12, s97 src0_sel:BYTE_0 src1_sel:DWORD
	v_bfrev_b32_e32 v0, 1
	s_and_saveexec_b64 s[30:31], vcc
	s_cbranch_execz .LBB2_7050
; %bb.7045:                             ;   in Loop: Header=BB2_5776 Depth=3
	v_and_b32_e32 v0, 0x7c0000, v28
	v_bfe_u32 v9, v28, 16, 2
	v_cmp_ne_u32_e32 vcc, s36, v0
                                        ; implicit-def: $vgpr0
	s_and_saveexec_b64 s[70:71], vcc
	s_xor_b64 s[70:71], exec, s[70:71]
	s_cbranch_execz .LBB2_7047
; %bb.7046:                             ;   in Loop: Header=BB2_5776 Depth=3
	v_ffbh_u32_e32 v13, v9
	v_min_u32_e32 v13, 32, v13
	v_bfe_u32 v0, v28, 18, 5
	v_subrev_u32_e32 v14, 29, v13
	v_lshlrev_b64 v[14:15], v14, v[12:13]
	v_sub_u32_e32 v13, 30, v13
	v_cmp_eq_u32_e32 vcc, 0, v0
	v_cndmask_b32_e32 v0, v0, v13, vcc
	v_bfrev_b32_e32 v13, 28
	v_and_b32_e32 v14, 3, v14
	v_lshlrev_b32_e32 v12, 24, v12
	v_lshl_add_u32 v0, v0, 23, v13
	v_cndmask_b32_e32 v9, v9, v14, vcc
	v_and_or_b32 v0, v12, s96, v0
	v_lshl_or_b32 v0, v9, 21, v0
                                        ; implicit-def: $vgpr9
                                        ; implicit-def: $vgpr12
.LBB2_7047:                             ;   in Loop: Header=BB2_5776 Depth=3
	s_andn2_saveexec_b64 s[70:71], s[70:71]
; %bb.7048:                             ;   in Loop: Header=BB2_5776 Depth=3
	v_mov_b32_e32 v0, -1
	v_cmp_gt_i16_sdwa vcc, sext(v12), v0 src0_sel:BYTE_0 src1_sel:DWORD
	v_mov_b32_e32 v0, 0xc7600000
	v_mov_b32_e32 v12, 0x47600000
	v_cndmask_b32_e32 v0, v0, v12, vcc
	v_cmp_eq_u32_e32 vcc, 0, v9
	v_mov_b32_e32 v9, 0x7f800001
	v_cndmask_b32_e32 v0, v9, v0, vcc
; %bb.7049:                             ;   in Loop: Header=BB2_5776 Depth=3
	s_or_b64 exec, exec, s[70:71]
.LBB2_7050:                             ;   in Loop: Header=BB2_5776 Depth=3
	s_or_b64 exec, exec, s[30:31]
.LBB2_7051:                             ;   in Loop: Header=BB2_5776 Depth=3
	s_or_b64 exec, exec, s[68:69]
	v_cmp_ne_u16_sdwa vcc, v8, v51 src0_sel:BYTE_0 src1_sel:DWORD
	s_and_saveexec_b64 s[30:31], vcc
	s_cbranch_execz .LBB2_7059
; %bb.7052:                             ;   in Loop: Header=BB2_5776 Depth=3
	v_cmp_ne_u16_sdwa vcc, v8, s97 src0_sel:BYTE_0 src1_sel:DWORD
	v_bfrev_b32_e32 v7, 1
	s_and_saveexec_b64 s[68:69], vcc
	s_cbranch_execz .LBB2_7058
; %bb.7053:                             ;   in Loop: Header=BB2_5776 Depth=3
	v_and_b32_e32 v7, 0x7c0000, v10
	v_bfe_u32 v9, v10, 16, 2
	v_cmp_ne_u32_e32 vcc, s36, v7
                                        ; implicit-def: $vgpr7
	s_and_saveexec_b64 s[70:71], vcc
	s_xor_b64 s[70:71], exec, s[70:71]
	s_cbranch_execz .LBB2_7055
; %bb.7054:                             ;   in Loop: Header=BB2_5776 Depth=3
	v_ffbh_u32_e32 v12, v9
	v_min_u32_e32 v14, 32, v12
	v_subrev_u32_e32 v12, 29, v14
	v_bfe_u32 v7, v10, 18, 5
	v_lshlrev_b64 v[12:13], v12, v[8:9]
	v_sub_u32_e32 v13, 30, v14
	v_and_b32_e32 v12, 3, v12
	v_cmp_eq_u32_e32 vcc, 0, v7
	v_cndmask_b32_e32 v7, v7, v13, vcc
	v_cndmask_b32_e32 v9, v9, v12, vcc
	v_bfrev_b32_e32 v12, 28
	v_lshlrev_b32_e32 v8, 24, v8
	v_lshl_add_u32 v7, v7, 23, v12
	v_and_or_b32 v7, v8, s96, v7
	v_lshl_or_b32 v7, v9, 21, v7
                                        ; implicit-def: $vgpr9
                                        ; implicit-def: $vgpr8
.LBB2_7055:                             ;   in Loop: Header=BB2_5776 Depth=3
	s_andn2_saveexec_b64 s[70:71], s[70:71]
; %bb.7056:                             ;   in Loop: Header=BB2_5776 Depth=3
	v_mov_b32_e32 v7, -1
	v_cmp_gt_i16_sdwa vcc, sext(v8), v7 src0_sel:BYTE_0 src1_sel:DWORD
	v_mov_b32_e32 v7, 0xc7600000
	v_mov_b32_e32 v8, 0x47600000
	v_cndmask_b32_e32 v7, v7, v8, vcc
	v_cmp_eq_u32_e32 vcc, 0, v9
	v_mov_b32_e32 v8, 0x7f800001
	v_cndmask_b32_e32 v7, v8, v7, vcc
; %bb.7057:                             ;   in Loop: Header=BB2_5776 Depth=3
	s_or_b64 exec, exec, s[70:71]
.LBB2_7058:                             ;   in Loop: Header=BB2_5776 Depth=3
	s_or_b64 exec, exec, s[68:69]
.LBB2_7059:                             ;   in Loop: Header=BB2_5776 Depth=3
	s_or_b64 exec, exec, s[30:31]
	v_max_f32_e32 v7, v7, v7
	v_max_f32_e32 v0, v0, v0
	v_min_f32_e32 v9, v0, v7
.LBB2_7060:                             ;   in Loop: Header=BB2_5776 Depth=3
	v_and_b32_sdwa v0, v9, s97 dst_sel:DWORD dst_unused:UNUSED_PAD src0_sel:BYTE_3 src1_sel:DWORD
	v_and_b32_e32 v12, 0x7f800000, v9
	v_mov_b32_e32 v13, v51
	v_and_b32_e32 v50, 0x7fffff, v9
	v_or_b32_e32 v7, 0x7b, v0
	v_cmp_ne_u64_e32 vcc, s[52:53], v[12:13]
	s_and_saveexec_b64 s[30:31], vcc
	s_xor_b64 s[68:69], exec, s[30:31]
	s_cbranch_execz .LBB2_7070
; %bb.7061:                             ;   in Loop: Header=BB2_5776 Depth=3
	v_and_b32_e32 v12, 0x7fffffff, v9
	v_mov_b32_e32 v13, v51
	v_cmp_gt_u64_e32 vcc, s[54:55], v[12:13]
	s_and_saveexec_b64 s[70:71], vcc
	s_cbranch_execz .LBB2_7069
; %bb.7062:                             ;   in Loop: Header=BB2_5776 Depth=3
	v_cmp_ne_u32_e32 vcc, 0, v9
	v_mov_b32_e32 v7, 0
	s_and_saveexec_b64 s[72:73], vcc
	s_cbranch_execz .LBB2_7068
; %bb.7063:                             ;   in Loop: Header=BB2_5776 Depth=3
	v_bfe_u32 v7, v9, 23, 8
	v_sub_u32_e32 v9, 0x71, v7
	v_cmp_gt_u32_e32 vcc, s38, v7
	v_add_u32_e32 v8, 0xffffff81, v7
	v_cndmask_b32_e32 v9, 0, v9, vcc
	v_cmp_eq_u32_e32 vcc, 0, v7
	v_mov_b32_e32 v7, 0xffffff82
	v_cndmask_b32_e32 v7, v8, v7, vcc
	v_mov_b32_e32 v8, 0x70
	v_or_b32_e32 v12, 0x800000, v50
	v_cndmask_b32_e32 v13, v9, v8, vcc
	v_cndmask_b32_e32 v50, v12, v50, vcc
	v_add_u32_e32 v8, 21, v13
	v_lshlrev_b64 v[8:9], v8, -1
	v_add_u32_e32 v12, 20, v13
	v_lshrrev_b64 v[36:37], v13, v[50:51]
	v_not_b32_e32 v9, v9
	v_not_b32_e32 v8, v8
	v_lshlrev_b64 v[14:15], v12, 1
	v_lshrrev_b32_e32 v12, 23, v36
	v_and_b32_e32 v9, 0, v9
	v_and_b32_e32 v8, v50, v8
	v_add3_u32 v13, v13, v7, v12
	v_bfe_u32 v7, v36, 21, 1
	v_add_u32_e32 v7, -1, v7
	v_cmp_eq_u64_e32 vcc, v[8:9], v[14:15]
	v_cndmask_b32_e32 v7, 0, v7, vcc
	v_add_u32_e32 v7, v7, v36
	v_and_b32_e32 v7, 0x1fffff, v7
	v_add_co_u32_e32 v8, vcc, v7, v36
	v_add_u32_e32 v12, 14, v13
	v_addc_co_u32_e32 v9, vcc, 0, v37, vcc
	v_cmp_ne_u32_e32 vcc, 0, v12
                                        ; implicit-def: $vgpr7
	s_and_saveexec_b64 s[30:31], vcc
	s_xor_b64 s[30:31], exec, s[30:31]
; %bb.7064:                             ;   in Loop: Header=BB2_5776 Depth=3
	v_add_u32_e32 v7, 15, v13
	v_cmp_lt_u64_e32 vcc, s[56:57], v[8:9]
	v_cndmask_b32_e32 v7, v12, v7, vcc
	v_cndmask_b32_e64 v12, 0, 1, vcc
	v_lshrrev_b64 v[8:9], v12, v[8:9]
; %bb.7065:                             ;   in Loop: Header=BB2_5776 Depth=3
	s_andn2_saveexec_b64 vcc, s[30:31]
; %bb.7066:                             ;   in Loop: Header=BB2_5776 Depth=3
	v_bfe_u32 v7, v8, 23, 1
; %bb.7067:                             ;   in Loop: Header=BB2_5776 Depth=3
	s_or_b64 exec, exec, vcc
	v_lshrrev_b64 v[8:9], 21, v[8:9]
	v_cmp_gt_i32_e32 vcc, 32, v7
	v_cndmask_b32_e32 v9, 0, v9, vcc
	v_cndmask_b32_e32 v8, 3, v8, vcc
	v_cmp_eq_u32_e32 vcc, 0, v7
	v_min_i32_e32 v7, 31, v7
	v_cmp_eq_u64_e64 s[30:31], 0, v[8:9]
	v_lshlrev_b32_e32 v7, 2, v7
	v_and_or_b32 v7, v8, 3, v7
	s_and_b64 vcc, vcc, s[30:31]
	v_cndmask_b32_e64 v7, v7, 0, vcc
	v_or_b32_e32 v7, v7, v0
.LBB2_7068:                             ;   in Loop: Header=BB2_5776 Depth=3
	s_or_b64 exec, exec, s[72:73]
.LBB2_7069:                             ;   in Loop: Header=BB2_5776 Depth=3
	s_or_b64 exec, exec, s[70:71]
                                        ; implicit-def: $vgpr9
.LBB2_7070:                             ;   in Loop: Header=BB2_5776 Depth=3
	s_andn2_saveexec_b64 s[30:31], s[68:69]
; %bb.7071:                             ;   in Loop: Header=BB2_5776 Depth=3
	v_or_b32_sdwa v0, v9, s39 dst_sel:DWORD dst_unused:UNUSED_PAD src0_sel:BYTE_3 src1_sel:DWORD
	v_cmp_eq_u64_e32 vcc, 0, v[50:51]
	v_cndmask_b32_e32 v7, v0, v7, vcc
; %bb.7072:                             ;   in Loop: Header=BB2_5776 Depth=3
	s_or_b64 exec, exec, s[30:31]
	v_lshrrev_b32_e32 v12, 24, v28
	v_lshrrev_b32_e32 v8, 24, v10
	s_and_b64 vcc, exec, s[28:29]
	v_cmp_lt_u32_e64 s[30:31], s43, v28
	s_cbranch_vccnz .LBB2_7090
; %bb.7073:                             ;   in Loop: Header=BB2_5776 Depth=3
	v_mov_b32_e32 v9, 0
	v_mov_b32_e32 v0, 0
	s_and_saveexec_b64 s[68:69], s[30:31]
	s_cbranch_execz .LBB2_7081
; %bb.7074:                             ;   in Loop: Header=BB2_5776 Depth=3
	v_cmp_ne_u32_e32 vcc, s97, v12
	v_bfrev_b32_e32 v0, 1
	s_and_saveexec_b64 s[70:71], vcc
	s_cbranch_execz .LBB2_7080
; %bb.7075:                             ;   in Loop: Header=BB2_5776 Depth=3
	v_and_b32_e32 v0, 0x7c000000, v28
	v_bfe_u32 v13, v28, 24, 2
	v_cmp_ne_u32_e32 vcc, s37, v0
                                        ; implicit-def: $vgpr0
	s_and_saveexec_b64 s[72:73], vcc
	s_xor_b64 s[72:73], exec, s[72:73]
	s_cbranch_execz .LBB2_7077
; %bb.7076:                             ;   in Loop: Header=BB2_5776 Depth=3
	v_ffbh_u32_e32 v14, v13
	v_min_u32_e32 v24, 32, v14
	v_subrev_u32_e32 v14, 29, v24
	v_bfe_u32 v0, v28, 26, 5
	v_lshlrev_b64 v[14:15], v14, v[12:13]
	v_sub_u32_e32 v15, 30, v24
	v_and_b32_e32 v14, 3, v14
	v_cmp_eq_u32_e32 vcc, 0, v0
	v_cndmask_b32_e32 v0, v0, v15, vcc
	v_cndmask_b32_e32 v13, v13, v14, vcc
	v_bfrev_b32_e32 v14, 28
	v_lshl_add_u32 v0, v0, 23, v14
	v_and_or_b32 v0, v28, s96, v0
	v_lshl_or_b32 v0, v13, 21, v0
                                        ; implicit-def: $vgpr13
.LBB2_7077:                             ;   in Loop: Header=BB2_5776 Depth=3
	s_andn2_saveexec_b64 s[72:73], s[72:73]
; %bb.7078:                             ;   in Loop: Header=BB2_5776 Depth=3
	v_cmp_lt_i32_e32 vcc, -1, v28
	v_mov_b32_e32 v0, 0xc7600000
	v_mov_b32_e32 v14, 0x47600000
	v_cndmask_b32_e32 v0, v0, v14, vcc
	v_cmp_eq_u32_e32 vcc, 0, v13
	v_mov_b32_e32 v13, 0x7f800001
	v_cndmask_b32_e32 v0, v13, v0, vcc
; %bb.7079:                             ;   in Loop: Header=BB2_5776 Depth=3
	s_or_b64 exec, exec, s[72:73]
.LBB2_7080:                             ;   in Loop: Header=BB2_5776 Depth=3
	s_or_b64 exec, exec, s[70:71]
.LBB2_7081:                             ;   in Loop: Header=BB2_5776 Depth=3
	s_or_b64 exec, exec, s[68:69]
	v_cmp_lt_u32_e32 vcc, s43, v10
	s_and_saveexec_b64 s[68:69], vcc
	s_cbranch_execz .LBB2_7089
; %bb.7082:                             ;   in Loop: Header=BB2_5776 Depth=3
	v_cmp_ne_u32_e32 vcc, s97, v8
	v_bfrev_b32_e32 v9, 1
	s_and_saveexec_b64 s[70:71], vcc
	s_cbranch_execz .LBB2_7088
; %bb.7083:                             ;   in Loop: Header=BB2_5776 Depth=3
	v_and_b32_e32 v9, 0x7c000000, v10
	v_bfe_u32 v13, v10, 24, 2
	v_cmp_ne_u32_e32 vcc, s37, v9
                                        ; implicit-def: $vgpr9
	s_and_saveexec_b64 s[72:73], vcc
	s_xor_b64 s[72:73], exec, s[72:73]
	s_cbranch_execz .LBB2_7085
; %bb.7084:                             ;   in Loop: Header=BB2_5776 Depth=3
	v_ffbh_u32_e32 v14, v13
	v_min_u32_e32 v24, 32, v14
	v_bfe_u32 v9, v10, 26, 5
	v_subrev_u32_e32 v14, 29, v24
	v_lshlrev_b64 v[14:15], v14, v[8:9]
	v_sub_u32_e32 v15, 30, v24
	v_and_b32_e32 v14, 3, v14
	v_cmp_eq_u32_e32 vcc, 0, v9
	v_cndmask_b32_e32 v9, v9, v15, vcc
	v_cndmask_b32_e32 v13, v13, v14, vcc
	v_bfrev_b32_e32 v14, 28
	v_lshl_add_u32 v9, v9, 23, v14
	v_and_or_b32 v9, v10, s96, v9
	v_lshl_or_b32 v9, v13, 21, v9
                                        ; implicit-def: $vgpr13
.LBB2_7085:                             ;   in Loop: Header=BB2_5776 Depth=3
	s_andn2_saveexec_b64 s[72:73], s[72:73]
; %bb.7086:                             ;   in Loop: Header=BB2_5776 Depth=3
	v_cmp_lt_i32_e32 vcc, -1, v10
	v_mov_b32_e32 v9, 0xc7600000
	v_mov_b32_e32 v14, 0x47600000
	v_cndmask_b32_e32 v9, v9, v14, vcc
	v_cmp_eq_u32_e32 vcc, 0, v13
	v_mov_b32_e32 v13, 0x7f800001
	v_cndmask_b32_e32 v9, v13, v9, vcc
; %bb.7087:                             ;   in Loop: Header=BB2_5776 Depth=3
	s_or_b64 exec, exec, s[72:73]
.LBB2_7088:                             ;   in Loop: Header=BB2_5776 Depth=3
	s_or_b64 exec, exec, s[70:71]
.LBB2_7089:                             ;   in Loop: Header=BB2_5776 Depth=3
	s_or_b64 exec, exec, s[68:69]
	v_max_f32_e32 v9, v9, v9
	v_max_f32_e32 v0, v0, v0
	v_max_f32_e32 v9, v0, v9
	s_branch .LBB2_7108
.LBB2_7090:                             ;   in Loop: Header=BB2_5776 Depth=3
                                        ; implicit-def: $vgpr9
	s_cbranch_execz .LBB2_7108
; %bb.7091:                             ;   in Loop: Header=BB2_5776 Depth=3
	v_mov_b32_e32 v9, 0
	v_mov_b32_e32 v0, 0
	s_and_saveexec_b64 s[68:69], s[30:31]
	s_cbranch_execz .LBB2_7099
; %bb.7092:                             ;   in Loop: Header=BB2_5776 Depth=3
	v_cmp_ne_u32_e32 vcc, s97, v12
	v_bfrev_b32_e32 v0, 1
	s_and_saveexec_b64 s[30:31], vcc
	s_cbranch_execz .LBB2_7098
; %bb.7093:                             ;   in Loop: Header=BB2_5776 Depth=3
	v_and_b32_e32 v0, 0x7c000000, v28
	v_bfe_u32 v13, v28, 24, 2
	v_cmp_ne_u32_e32 vcc, s37, v0
                                        ; implicit-def: $vgpr0
	s_and_saveexec_b64 s[70:71], vcc
	s_xor_b64 s[70:71], exec, s[70:71]
	s_cbranch_execz .LBB2_7095
; %bb.7094:                             ;   in Loop: Header=BB2_5776 Depth=3
	v_ffbh_u32_e32 v14, v13
	v_min_u32_e32 v24, 32, v14
	v_subrev_u32_e32 v14, 29, v24
	v_bfe_u32 v0, v28, 26, 5
	v_lshlrev_b64 v[14:15], v14, v[12:13]
	v_sub_u32_e32 v12, 30, v24
	v_and_b32_e32 v14, 3, v14
	v_cmp_eq_u32_e32 vcc, 0, v0
	v_cndmask_b32_e32 v0, v0, v12, vcc
	v_cndmask_b32_e32 v12, v13, v14, vcc
	v_bfrev_b32_e32 v13, 28
	v_lshl_add_u32 v0, v0, 23, v13
	v_and_or_b32 v0, v28, s96, v0
	v_lshl_or_b32 v0, v12, 21, v0
                                        ; implicit-def: $vgpr13
.LBB2_7095:                             ;   in Loop: Header=BB2_5776 Depth=3
	s_andn2_saveexec_b64 s[70:71], s[70:71]
; %bb.7096:                             ;   in Loop: Header=BB2_5776 Depth=3
	v_cmp_lt_i32_e32 vcc, -1, v28
	v_mov_b32_e32 v0, 0xc7600000
	v_mov_b32_e32 v12, 0x47600000
	v_cndmask_b32_e32 v0, v0, v12, vcc
	v_cmp_eq_u32_e32 vcc, 0, v13
	v_mov_b32_e32 v12, 0x7f800001
	v_cndmask_b32_e32 v0, v12, v0, vcc
; %bb.7097:                             ;   in Loop: Header=BB2_5776 Depth=3
	s_or_b64 exec, exec, s[70:71]
.LBB2_7098:                             ;   in Loop: Header=BB2_5776 Depth=3
	s_or_b64 exec, exec, s[30:31]
.LBB2_7099:                             ;   in Loop: Header=BB2_5776 Depth=3
	s_or_b64 exec, exec, s[68:69]
	v_cmp_lt_u32_e32 vcc, s43, v10
	s_and_saveexec_b64 s[30:31], vcc
	s_cbranch_execz .LBB2_7107
; %bb.7100:                             ;   in Loop: Header=BB2_5776 Depth=3
	v_cmp_ne_u32_e32 vcc, s97, v8
	v_bfrev_b32_e32 v9, 1
	s_and_saveexec_b64 s[68:69], vcc
	s_cbranch_execz .LBB2_7106
; %bb.7101:                             ;   in Loop: Header=BB2_5776 Depth=3
	v_and_b32_e32 v9, 0x7c000000, v10
	v_bfe_u32 v12, v10, 24, 2
	v_cmp_ne_u32_e32 vcc, s37, v9
                                        ; implicit-def: $vgpr9
	s_and_saveexec_b64 s[70:71], vcc
	s_xor_b64 s[70:71], exec, s[70:71]
	s_cbranch_execz .LBB2_7103
; %bb.7102:                             ;   in Loop: Header=BB2_5776 Depth=3
	v_ffbh_u32_e32 v9, v12
	v_min_u32_e32 v14, 32, v9
	v_subrev_u32_e32 v9, 29, v14
	v_bfe_u32 v13, v10, 26, 5
	v_lshlrev_b64 v[8:9], v9, v[8:9]
	v_sub_u32_e32 v9, 30, v14
	v_and_b32_e32 v8, 3, v8
	v_cmp_eq_u32_e32 vcc, 0, v13
	v_cndmask_b32_e32 v9, v13, v9, vcc
	v_cndmask_b32_e32 v8, v12, v8, vcc
	v_bfrev_b32_e32 v12, 28
	v_lshl_add_u32 v9, v9, 23, v12
	v_and_or_b32 v9, v10, s96, v9
	v_lshl_or_b32 v9, v8, 21, v9
                                        ; implicit-def: $vgpr12
.LBB2_7103:                             ;   in Loop: Header=BB2_5776 Depth=3
	s_andn2_saveexec_b64 s[70:71], s[70:71]
; %bb.7104:                             ;   in Loop: Header=BB2_5776 Depth=3
	v_cmp_lt_i32_e32 vcc, -1, v10
	v_mov_b32_e32 v8, 0xc7600000
	v_mov_b32_e32 v9, 0x47600000
	v_cndmask_b32_e32 v8, v8, v9, vcc
	v_cmp_eq_u32_e32 vcc, 0, v12
	v_mov_b32_e32 v9, 0x7f800001
	v_cndmask_b32_e32 v9, v9, v8, vcc
; %bb.7105:                             ;   in Loop: Header=BB2_5776 Depth=3
	s_or_b64 exec, exec, s[70:71]
.LBB2_7106:                             ;   in Loop: Header=BB2_5776 Depth=3
	s_or_b64 exec, exec, s[68:69]
.LBB2_7107:                             ;   in Loop: Header=BB2_5776 Depth=3
	s_or_b64 exec, exec, s[30:31]
	v_max_f32_e32 v8, v9, v9
	v_max_f32_e32 v0, v0, v0
	v_min_f32_e32 v9, v0, v8
.LBB2_7108:                             ;   in Loop: Header=BB2_5776 Depth=3
	v_and_b32_sdwa v0, v9, s97 dst_sel:DWORD dst_unused:UNUSED_PAD src0_sel:BYTE_3 src1_sel:DWORD
	v_and_b32_e32 v12, 0x7f800000, v9
	v_mov_b32_e32 v13, v51
	v_and_b32_e32 v50, 0x7fffff, v9
	v_or_b32_e32 v30, 0x7b, v0
	v_cmp_ne_u64_e32 vcc, s[52:53], v[12:13]
	s_and_saveexec_b64 s[30:31], vcc
	s_xor_b64 s[68:69], exec, s[30:31]
	s_cbranch_execz .LBB2_7118
; %bb.7109:                             ;   in Loop: Header=BB2_5776 Depth=3
	v_and_b32_e32 v12, 0x7fffffff, v9
	v_mov_b32_e32 v13, v51
	v_cmp_gt_u64_e32 vcc, s[54:55], v[12:13]
	s_and_saveexec_b64 s[70:71], vcc
	s_cbranch_execz .LBB2_7117
; %bb.7110:                             ;   in Loop: Header=BB2_5776 Depth=3
	v_cmp_ne_u32_e32 vcc, 0, v9
	v_mov_b32_e32 v30, 0
	s_and_saveexec_b64 s[72:73], vcc
	s_cbranch_execz .LBB2_7116
; %bb.7111:                             ;   in Loop: Header=BB2_5776 Depth=3
	v_bfe_u32 v8, v9, 23, 8
	v_cmp_eq_u32_e32 vcc, 0, v8
	v_add_u32_e32 v9, 0xffffff81, v8
	v_cmp_gt_u32_e64 s[30:31], s38, v8
	v_sub_u32_e32 v8, 0x71, v8
	v_mov_b32_e32 v13, 0xffffff82
	v_cndmask_b32_e64 v8, 0, v8, s[30:31]
	v_cndmask_b32_e32 v14, v9, v13, vcc
	v_mov_b32_e32 v9, 0x70
	v_cndmask_b32_e32 v15, v8, v9, vcc
	v_add_u32_e32 v8, 21, v15
	v_or_b32_e32 v12, 0x800000, v50
	v_lshlrev_b64 v[8:9], v8, -1
	v_cndmask_b32_e32 v50, v12, v50, vcc
	v_not_b32_e32 v9, v9
	v_not_b32_e32 v8, v8
	v_add_u32_e32 v12, 20, v15
	v_and_b32_e32 v9, 0, v9
	v_and_b32_e32 v8, v50, v8
	v_lshlrev_b64 v[12:13], v12, 1
	v_cmp_eq_u64_e32 vcc, v[8:9], v[12:13]
	v_lshrrev_b64 v[8:9], v15, v[50:51]
	v_lshrrev_b32_e32 v12, 23, v8
	v_add3_u32 v14, v15, v14, v12
	v_bfe_u32 v12, v8, 21, 1
	v_add_u32_e32 v12, -1, v12
	v_cndmask_b32_e32 v12, 0, v12, vcc
	v_add_u32_e32 v12, v12, v8
	v_and_b32_e32 v12, 0x1fffff, v12
	v_add_co_u32_e32 v8, vcc, v12, v8
	v_add_u32_e32 v13, 14, v14
	v_addc_co_u32_e32 v9, vcc, 0, v9, vcc
	v_cmp_ne_u32_e32 vcc, 0, v13
                                        ; implicit-def: $vgpr12
	s_and_saveexec_b64 s[30:31], vcc
	s_xor_b64 s[30:31], exec, s[30:31]
; %bb.7112:                             ;   in Loop: Header=BB2_5776 Depth=3
	v_add_u32_e32 v12, 15, v14
	v_cmp_lt_u64_e32 vcc, s[56:57], v[8:9]
	v_cndmask_b32_e32 v12, v13, v12, vcc
	v_cndmask_b32_e64 v13, 0, 1, vcc
	v_lshrrev_b64 v[8:9], v13, v[8:9]
; %bb.7113:                             ;   in Loop: Header=BB2_5776 Depth=3
	s_andn2_saveexec_b64 vcc, s[30:31]
; %bb.7114:                             ;   in Loop: Header=BB2_5776 Depth=3
	v_bfe_u32 v12, v8, 23, 1
; %bb.7115:                             ;   in Loop: Header=BB2_5776 Depth=3
	s_or_b64 exec, exec, vcc
	v_lshrrev_b64 v[8:9], 21, v[8:9]
	v_cmp_gt_i32_e32 vcc, 32, v12
	v_cndmask_b32_e32 v9, 0, v9, vcc
	v_cndmask_b32_e32 v8, 3, v8, vcc
	v_cmp_eq_u64_e64 s[30:31], 0, v[8:9]
	v_min_i32_e32 v9, 31, v12
	v_cmp_eq_u32_e32 vcc, 0, v12
	v_lshlrev_b32_e32 v9, 2, v9
	v_and_or_b32 v8, v8, 3, v9
	s_and_b64 vcc, vcc, s[30:31]
	v_cndmask_b32_e64 v8, v8, 0, vcc
	v_or_b32_e32 v30, v8, v0
.LBB2_7116:                             ;   in Loop: Header=BB2_5776 Depth=3
	s_or_b64 exec, exec, s[72:73]
.LBB2_7117:                             ;   in Loop: Header=BB2_5776 Depth=3
	s_or_b64 exec, exec, s[70:71]
                                        ; implicit-def: $vgpr9
.LBB2_7118:                             ;   in Loop: Header=BB2_5776 Depth=3
	s_andn2_saveexec_b64 s[30:31], s[68:69]
; %bb.7119:                             ;   in Loop: Header=BB2_5776 Depth=3
	v_or_b32_sdwa v0, v9, s39 dst_sel:DWORD dst_unused:UNUSED_PAD src0_sel:BYTE_3 src1_sel:DWORD
	v_cmp_eq_u64_e32 vcc, 0, v[50:51]
	v_cndmask_b32_e32 v30, v0, v30, vcc
; %bb.7120:                             ;   in Loop: Header=BB2_5776 Depth=3
	s_or_b64 exec, exec, s[30:31]
	v_mov_b32_e32 v50, v29
	v_mov_b32_e32 v8, v11
	;; [unrolled: 1-line block ×3, first 2 shown]
	s_and_b64 vcc, exec, s[28:29]
	v_cmp_ne_u16_sdwa s[30:31], v29, v51 src0_sel:BYTE_0 src1_sel:DWORD
	s_cbranch_vccnz .LBB2_7138
; %bb.7121:                             ;   in Loop: Header=BB2_5776 Depth=3
	v_mov_b32_e32 v12, 0
	v_mov_b32_e32 v0, 0
	s_and_saveexec_b64 s[68:69], s[30:31]
	s_cbranch_execz .LBB2_7129
; %bb.7122:                             ;   in Loop: Header=BB2_5776 Depth=3
	v_cmp_ne_u16_sdwa vcc, v29, s97 src0_sel:BYTE_0 src1_sel:DWORD
	v_bfrev_b32_e32 v0, 1
	s_and_saveexec_b64 s[70:71], vcc
	s_cbranch_execz .LBB2_7128
; %bb.7123:                             ;   in Loop: Header=BB2_5776 Depth=3
	v_and_b32_e32 v0, 0x7c, v29
	v_and_b32_e32 v13, 3, v29
	v_cmp_ne_u32_e32 vcc, s95, v0
                                        ; implicit-def: $vgpr0
	s_and_saveexec_b64 s[72:73], vcc
	s_xor_b64 s[72:73], exec, s[72:73]
	s_cbranch_execz .LBB2_7125
; %bb.7124:                             ;   in Loop: Header=BB2_5776 Depth=3
	v_ffbh_u32_e32 v14, v13
	v_min_u32_e32 v24, 32, v14
	v_subrev_u32_e32 v14, 29, v24
	v_bfe_u32 v0, v29, 2, 5
	v_lshlrev_b64 v[14:15], v14, v[50:51]
	v_sub_u32_e32 v15, 30, v24
	v_cmp_eq_u32_e32 vcc, 0, v0
	v_and_b32_e32 v14, 3, v14
	v_cndmask_b32_e32 v0, v0, v15, vcc
	v_bfrev_b32_e32 v15, 28
	v_cndmask_b32_e32 v13, v13, v14, vcc
	v_lshlrev_b32_e32 v14, 24, v29
	v_lshl_add_u32 v0, v0, 23, v15
	v_and_or_b32 v0, v14, s96, v0
	v_lshl_or_b32 v0, v13, 21, v0
                                        ; implicit-def: $vgpr13
.LBB2_7125:                             ;   in Loop: Header=BB2_5776 Depth=3
	s_andn2_saveexec_b64 s[72:73], s[72:73]
; %bb.7126:                             ;   in Loop: Header=BB2_5776 Depth=3
	v_mov_b32_e32 v0, -1
	v_cmp_gt_i16_sdwa vcc, sext(v29), v0 src0_sel:BYTE_0 src1_sel:DWORD
	v_mov_b32_e32 v0, 0xc7600000
	v_mov_b32_e32 v14, 0x47600000
	v_cndmask_b32_e32 v0, v0, v14, vcc
	v_cmp_eq_u32_e32 vcc, 0, v13
	v_mov_b32_e32 v13, 0x7f800001
	v_cndmask_b32_e32 v0, v13, v0, vcc
; %bb.7127:                             ;   in Loop: Header=BB2_5776 Depth=3
	s_or_b64 exec, exec, s[72:73]
.LBB2_7128:                             ;   in Loop: Header=BB2_5776 Depth=3
	s_or_b64 exec, exec, s[70:71]
.LBB2_7129:                             ;   in Loop: Header=BB2_5776 Depth=3
	s_or_b64 exec, exec, s[68:69]
	v_cmp_ne_u16_sdwa vcc, v11, v51 src0_sel:BYTE_0 src1_sel:DWORD
	s_and_saveexec_b64 s[68:69], vcc
	s_cbranch_execz .LBB2_7137
; %bb.7130:                             ;   in Loop: Header=BB2_5776 Depth=3
	v_cmp_ne_u16_sdwa vcc, v11, s97 src0_sel:BYTE_0 src1_sel:DWORD
	v_bfrev_b32_e32 v12, 1
	s_and_saveexec_b64 s[70:71], vcc
	s_cbranch_execz .LBB2_7136
; %bb.7131:                             ;   in Loop: Header=BB2_5776 Depth=3
	v_and_b32_e32 v12, 0x7c, v11
	v_and_b32_e32 v13, 3, v11
	v_cmp_ne_u32_e32 vcc, s95, v12
                                        ; implicit-def: $vgpr12
	s_and_saveexec_b64 s[72:73], vcc
	s_xor_b64 s[72:73], exec, s[72:73]
	s_cbranch_execz .LBB2_7133
; %bb.7132:                             ;   in Loop: Header=BB2_5776 Depth=3
	v_ffbh_u32_e32 v14, v13
	v_min_u32_e32 v24, 32, v14
	v_subrev_u32_e32 v14, 29, v24
	v_bfe_u32 v12, v11, 2, 5
	v_lshlrev_b64 v[14:15], v14, v[8:9]
	v_sub_u32_e32 v15, 30, v24
	v_cmp_eq_u32_e32 vcc, 0, v12
	v_and_b32_e32 v14, 3, v14
	v_cndmask_b32_e32 v12, v12, v15, vcc
	v_bfrev_b32_e32 v15, 28
	v_cndmask_b32_e32 v13, v13, v14, vcc
	v_lshlrev_b32_e32 v14, 24, v11
	v_lshl_add_u32 v12, v12, 23, v15
	v_and_or_b32 v12, v14, s96, v12
	v_lshl_or_b32 v12, v13, 21, v12
                                        ; implicit-def: $vgpr13
.LBB2_7133:                             ;   in Loop: Header=BB2_5776 Depth=3
	s_andn2_saveexec_b64 s[72:73], s[72:73]
; %bb.7134:                             ;   in Loop: Header=BB2_5776 Depth=3
	v_mov_b32_e32 v12, -1
	v_cmp_gt_i16_sdwa vcc, sext(v11), v12 src0_sel:BYTE_0 src1_sel:DWORD
	v_mov_b32_e32 v12, 0xc7600000
	v_mov_b32_e32 v14, 0x47600000
	v_cndmask_b32_e32 v12, v12, v14, vcc
	v_cmp_eq_u32_e32 vcc, 0, v13
	v_mov_b32_e32 v13, 0x7f800001
	v_cndmask_b32_e32 v12, v13, v12, vcc
; %bb.7135:                             ;   in Loop: Header=BB2_5776 Depth=3
	s_or_b64 exec, exec, s[72:73]
.LBB2_7136:                             ;   in Loop: Header=BB2_5776 Depth=3
	s_or_b64 exec, exec, s[70:71]
.LBB2_7137:                             ;   in Loop: Header=BB2_5776 Depth=3
	s_or_b64 exec, exec, s[68:69]
	v_max_f32_e32 v12, v12, v12
	v_max_f32_e32 v0, v0, v0
	;; [unrolled: 1-line block ×3, first 2 shown]
	s_branch .LBB2_7156
.LBB2_7138:                             ;   in Loop: Header=BB2_5776 Depth=3
                                        ; implicit-def: $vgpr14
	s_cbranch_execz .LBB2_7156
; %bb.7139:                             ;   in Loop: Header=BB2_5776 Depth=3
	v_mov_b32_e32 v12, 0
	v_mov_b32_e32 v0, 0
	s_and_saveexec_b64 s[68:69], s[30:31]
	s_cbranch_execz .LBB2_7147
; %bb.7140:                             ;   in Loop: Header=BB2_5776 Depth=3
	v_cmp_ne_u16_sdwa vcc, v29, s97 src0_sel:BYTE_0 src1_sel:DWORD
	v_bfrev_b32_e32 v0, 1
	s_and_saveexec_b64 s[30:31], vcc
	s_cbranch_execz .LBB2_7146
; %bb.7141:                             ;   in Loop: Header=BB2_5776 Depth=3
	v_and_b32_e32 v0, 0x7c, v29
	v_and_b32_e32 v13, 3, v29
	v_cmp_ne_u32_e32 vcc, s95, v0
                                        ; implicit-def: $vgpr0
	s_and_saveexec_b64 s[70:71], vcc
	s_xor_b64 s[70:71], exec, s[70:71]
	s_cbranch_execz .LBB2_7143
; %bb.7142:                             ;   in Loop: Header=BB2_5776 Depth=3
	v_ffbh_u32_e32 v14, v13
	v_min_u32_e32 v24, 32, v14
	v_subrev_u32_e32 v14, 29, v24
	v_bfe_u32 v0, v29, 2, 5
	v_lshlrev_b64 v[14:15], v14, v[50:51]
	v_sub_u32_e32 v15, 30, v24
	v_cmp_eq_u32_e32 vcc, 0, v0
	v_and_b32_e32 v14, 3, v14
	v_cndmask_b32_e32 v0, v0, v15, vcc
	v_bfrev_b32_e32 v15, 28
	v_cndmask_b32_e32 v13, v13, v14, vcc
	v_lshlrev_b32_e32 v14, 24, v29
	v_lshl_add_u32 v0, v0, 23, v15
	v_and_or_b32 v0, v14, s96, v0
	v_lshl_or_b32 v0, v13, 21, v0
                                        ; implicit-def: $vgpr13
.LBB2_7143:                             ;   in Loop: Header=BB2_5776 Depth=3
	s_andn2_saveexec_b64 s[70:71], s[70:71]
; %bb.7144:                             ;   in Loop: Header=BB2_5776 Depth=3
	v_mov_b32_e32 v0, -1
	v_cmp_gt_i16_sdwa vcc, sext(v29), v0 src0_sel:BYTE_0 src1_sel:DWORD
	v_mov_b32_e32 v0, 0xc7600000
	v_mov_b32_e32 v14, 0x47600000
	v_cndmask_b32_e32 v0, v0, v14, vcc
	v_cmp_eq_u32_e32 vcc, 0, v13
	v_mov_b32_e32 v13, 0x7f800001
	v_cndmask_b32_e32 v0, v13, v0, vcc
; %bb.7145:                             ;   in Loop: Header=BB2_5776 Depth=3
	s_or_b64 exec, exec, s[70:71]
.LBB2_7146:                             ;   in Loop: Header=BB2_5776 Depth=3
	s_or_b64 exec, exec, s[30:31]
.LBB2_7147:                             ;   in Loop: Header=BB2_5776 Depth=3
	s_or_b64 exec, exec, s[68:69]
	v_cmp_ne_u16_sdwa vcc, v11, v51 src0_sel:BYTE_0 src1_sel:DWORD
	s_and_saveexec_b64 s[30:31], vcc
	s_cbranch_execz .LBB2_7155
; %bb.7148:                             ;   in Loop: Header=BB2_5776 Depth=3
	v_cmp_ne_u16_sdwa vcc, v11, s97 src0_sel:BYTE_0 src1_sel:DWORD
	v_bfrev_b32_e32 v12, 1
	s_and_saveexec_b64 s[68:69], vcc
	s_cbranch_execz .LBB2_7154
; %bb.7149:                             ;   in Loop: Header=BB2_5776 Depth=3
	v_and_b32_e32 v12, 0x7c, v11
	v_and_b32_e32 v13, 3, v11
	v_cmp_ne_u32_e32 vcc, s95, v12
                                        ; implicit-def: $vgpr12
	s_and_saveexec_b64 s[70:71], vcc
	s_xor_b64 s[70:71], exec, s[70:71]
	s_cbranch_execz .LBB2_7151
; %bb.7150:                             ;   in Loop: Header=BB2_5776 Depth=3
	v_ffbh_u32_e32 v14, v13
	v_min_u32_e32 v24, 32, v14
	v_subrev_u32_e32 v14, 29, v24
	v_bfe_u32 v12, v11, 2, 5
	v_lshlrev_b64 v[14:15], v14, v[8:9]
	v_sub_u32_e32 v9, 30, v24
	v_and_b32_e32 v14, 3, v14
	v_cmp_eq_u32_e32 vcc, 0, v12
	v_cndmask_b32_e32 v9, v12, v9, vcc
	v_cndmask_b32_e32 v12, v13, v14, vcc
	v_bfrev_b32_e32 v14, 28
	v_lshlrev_b32_e32 v13, 24, v11
	v_lshl_add_u32 v9, v9, 23, v14
	v_and_or_b32 v9, v13, s96, v9
	v_lshl_or_b32 v12, v12, 21, v9
                                        ; implicit-def: $vgpr13
.LBB2_7151:                             ;   in Loop: Header=BB2_5776 Depth=3
	s_andn2_saveexec_b64 s[70:71], s[70:71]
; %bb.7152:                             ;   in Loop: Header=BB2_5776 Depth=3
	v_mov_b32_e32 v9, -1
	v_cmp_gt_i16_sdwa vcc, sext(v11), v9 src0_sel:BYTE_0 src1_sel:DWORD
	v_mov_b32_e32 v9, 0xc7600000
	v_mov_b32_e32 v12, 0x47600000
	v_cndmask_b32_e32 v9, v9, v12, vcc
	v_cmp_eq_u32_e32 vcc, 0, v13
	v_mov_b32_e32 v12, 0x7f800001
	v_cndmask_b32_e32 v12, v12, v9, vcc
; %bb.7153:                             ;   in Loop: Header=BB2_5776 Depth=3
	s_or_b64 exec, exec, s[70:71]
.LBB2_7154:                             ;   in Loop: Header=BB2_5776 Depth=3
	s_or_b64 exec, exec, s[68:69]
.LBB2_7155:                             ;   in Loop: Header=BB2_5776 Depth=3
	s_or_b64 exec, exec, s[30:31]
	v_max_f32_e32 v9, v12, v12
	v_max_f32_e32 v0, v0, v0
	v_min_f32_e32 v14, v0, v9
.LBB2_7156:                             ;   in Loop: Header=BB2_5776 Depth=3
	v_and_b32_sdwa v9, v14, s97 dst_sel:DWORD dst_unused:UNUSED_PAD src0_sel:BYTE_3 src1_sel:DWORD
	v_and_b32_e32 v36, 0x7f800000, v14
	v_mov_b32_e32 v37, v51
	v_and_b32_e32 v12, 0x7fffff, v14
	v_mov_b32_e32 v13, v51
	v_or_b32_e32 v0, 0x7b, v9
	v_cmp_ne_u64_e32 vcc, s[52:53], v[36:37]
	s_and_saveexec_b64 s[30:31], vcc
	s_xor_b64 s[68:69], exec, s[30:31]
	s_cbranch_execz .LBB2_7166
; %bb.7157:                             ;   in Loop: Header=BB2_5776 Depth=3
	v_and_b32_e32 v36, 0x7fffffff, v14
	v_mov_b32_e32 v37, v51
	v_cmp_gt_u64_e32 vcc, s[54:55], v[36:37]
	s_and_saveexec_b64 s[70:71], vcc
	s_cbranch_execz .LBB2_7165
; %bb.7158:                             ;   in Loop: Header=BB2_5776 Depth=3
	v_cmp_ne_u32_e32 vcc, 0, v14
	v_mov_b32_e32 v0, 0
	s_and_saveexec_b64 s[72:73], vcc
	s_cbranch_execz .LBB2_7164
; %bb.7159:                             ;   in Loop: Header=BB2_5776 Depth=3
	v_bfe_u32 v0, v14, 23, 8
	v_cmp_eq_u32_e32 vcc, 0, v0
	v_add_u32_e32 v14, 0xffffff81, v0
	v_cmp_gt_u32_e64 s[30:31], s38, v0
	v_sub_u32_e32 v0, 0x71, v0
	v_mov_b32_e32 v24, 0xffffff82
	v_cndmask_b32_e64 v0, 0, v0, s[30:31]
	v_cndmask_b32_e32 v24, v14, v24, vcc
	v_mov_b32_e32 v14, 0x70
	v_cndmask_b32_e32 v0, v0, v14, vcc
	v_or_b32_e32 v15, 0x800000, v12
	v_add_u32_e32 v14, 21, v0
	v_cndmask_b32_e32 v12, v15, v12, vcc
	v_lshlrev_b64 v[14:15], v14, -1
	v_not_b32_e32 v15, v15
	v_not_b32_e32 v14, v14
	v_add_u32_e32 v25, 20, v0
	v_and_b32_e32 v15, 0, v15
	v_and_b32_e32 v14, v12, v14
	v_lshlrev_b64 v[36:37], v25, 1
	v_lshrrev_b64 v[12:13], v0, v[12:13]
	v_cmp_eq_u64_e32 vcc, v[14:15], v[36:37]
	v_lshrrev_b32_e32 v14, 23, v12
	v_add3_u32 v15, v0, v24, v14
	v_bfe_u32 v0, v12, 21, 1
	v_add_u32_e32 v0, -1, v0
	v_cndmask_b32_e32 v0, 0, v0, vcc
	v_add_u32_e32 v0, v0, v12
	v_and_b32_e32 v0, 0x1fffff, v0
	v_add_co_u32_e32 v12, vcc, v0, v12
	v_add_u32_e32 v14, 14, v15
	v_addc_co_u32_e32 v13, vcc, 0, v13, vcc
	v_cmp_ne_u32_e32 vcc, 0, v14
                                        ; implicit-def: $vgpr0
	s_and_saveexec_b64 s[30:31], vcc
	s_xor_b64 s[30:31], exec, s[30:31]
; %bb.7160:                             ;   in Loop: Header=BB2_5776 Depth=3
	v_add_u32_e32 v0, 15, v15
	v_cmp_lt_u64_e32 vcc, s[56:57], v[12:13]
	v_cndmask_b32_e32 v0, v14, v0, vcc
	v_cndmask_b32_e64 v14, 0, 1, vcc
	v_lshrrev_b64 v[12:13], v14, v[12:13]
; %bb.7161:                             ;   in Loop: Header=BB2_5776 Depth=3
	s_andn2_saveexec_b64 vcc, s[30:31]
; %bb.7162:                             ;   in Loop: Header=BB2_5776 Depth=3
	v_bfe_u32 v0, v12, 23, 1
; %bb.7163:                             ;   in Loop: Header=BB2_5776 Depth=3
	s_or_b64 exec, exec, vcc
	v_lshrrev_b64 v[12:13], 21, v[12:13]
	v_cmp_gt_i32_e32 vcc, 32, v0
	v_cndmask_b32_e32 v13, 0, v13, vcc
	v_cndmask_b32_e32 v12, 3, v12, vcc
	v_cmp_eq_u32_e32 vcc, 0, v0
	v_min_i32_e32 v0, 31, v0
	v_cmp_eq_u64_e64 s[30:31], 0, v[12:13]
	v_lshlrev_b32_e32 v0, 2, v0
	v_and_or_b32 v0, v12, 3, v0
	s_and_b64 vcc, vcc, s[30:31]
	v_cndmask_b32_e64 v0, v0, 0, vcc
	v_or_b32_e32 v0, v0, v9
.LBB2_7164:                             ;   in Loop: Header=BB2_5776 Depth=3
	s_or_b64 exec, exec, s[72:73]
.LBB2_7165:                             ;   in Loop: Header=BB2_5776 Depth=3
	s_or_b64 exec, exec, s[70:71]
                                        ; implicit-def: $vgpr14
                                        ; implicit-def: $vgpr12_vgpr13
.LBB2_7166:                             ;   in Loop: Header=BB2_5776 Depth=3
	s_andn2_saveexec_b64 s[30:31], s[68:69]
; %bb.7167:                             ;   in Loop: Header=BB2_5776 Depth=3
	v_or_b32_sdwa v9, v14, s39 dst_sel:DWORD dst_unused:UNUSED_PAD src0_sel:BYTE_3 src1_sel:DWORD
	v_cmp_eq_u64_e32 vcc, 0, v[12:13]
	v_cndmask_b32_e32 v0, v9, v0, vcc
; %bb.7168:                             ;   in Loop: Header=BB2_5776 Depth=3
	s_or_b64 exec, exec, s[30:31]
	v_lshrrev_b16_e32 v14, 8, v50
	v_lshrrev_b16_e32 v12, 8, v8
	s_and_b64 vcc, exec, s[28:29]
	v_cmp_ne_u16_e64 s[30:31], 0, v14
	s_cbranch_vccnz .LBB2_7186
; %bb.7169:                             ;   in Loop: Header=BB2_5776 Depth=3
	v_mov_b32_e32 v13, 0
	v_mov_b32_e32 v9, 0
	s_and_saveexec_b64 s[68:69], s[30:31]
	s_cbranch_execz .LBB2_7177
; %bb.7170:                             ;   in Loop: Header=BB2_5776 Depth=3
	v_cmp_ne_u16_e32 vcc, s97, v14
	v_bfrev_b32_e32 v9, 1
	s_and_saveexec_b64 s[70:71], vcc
	s_cbranch_execz .LBB2_7176
; %bb.7171:                             ;   in Loop: Header=BB2_5776 Depth=3
	v_and_b32_e32 v9, 0x7c, v14
	v_and_b32_e32 v56, 3, v14
	v_cmp_ne_u32_e32 vcc, s95, v9
                                        ; implicit-def: $vgpr9
	s_and_saveexec_b64 s[72:73], vcc
	s_xor_b64 s[72:73], exec, s[72:73]
	s_cbranch_execz .LBB2_7173
; %bb.7172:                             ;   in Loop: Header=BB2_5776 Depth=3
	v_ffbh_u32_e32 v24, v56
	v_min_u32_e32 v24, 32, v24
	v_mov_b32_e32 v15, v51
	v_bfe_u32 v9, v14, 2, 5
	v_subrev_u32_e32 v25, 29, v24
	v_lshlrev_b64 v[36:37], v25, v[14:15]
	v_sub_u32_e32 v15, 30, v24
	v_cmp_eq_u32_e32 vcc, 0, v9
	v_and_b32_e32 v24, 3, v36
	v_cndmask_b32_e32 v9, v9, v15, vcc
	v_bfrev_b32_e32 v25, 28
	v_cndmask_b32_e32 v15, v56, v24, vcc
	v_lshlrev_b32_e32 v24, 16, v50
	v_lshl_add_u32 v9, v9, 23, v25
	v_and_or_b32 v9, v24, s96, v9
	v_lshl_or_b32 v9, v15, 21, v9
                                        ; implicit-def: $vgpr56
.LBB2_7173:                             ;   in Loop: Header=BB2_5776 Depth=3
	s_andn2_saveexec_b64 s[72:73], s[72:73]
; %bb.7174:                             ;   in Loop: Header=BB2_5776 Depth=3
	v_cmp_lt_i16_e32 vcc, -1, v50
	v_mov_b32_e32 v9, 0xc7600000
	v_mov_b32_e32 v15, 0x47600000
	v_cndmask_b32_e32 v9, v9, v15, vcc
	v_cmp_eq_u32_e32 vcc, 0, v56
	v_mov_b32_e32 v15, 0x7f800001
	v_cndmask_b32_e32 v9, v15, v9, vcc
; %bb.7175:                             ;   in Loop: Header=BB2_5776 Depth=3
	s_or_b64 exec, exec, s[72:73]
.LBB2_7176:                             ;   in Loop: Header=BB2_5776 Depth=3
	s_or_b64 exec, exec, s[70:71]
.LBB2_7177:                             ;   in Loop: Header=BB2_5776 Depth=3
	s_or_b64 exec, exec, s[68:69]
	v_cmp_ne_u16_e32 vcc, 0, v12
	s_and_saveexec_b64 s[68:69], vcc
	s_cbranch_execz .LBB2_7185
; %bb.7178:                             ;   in Loop: Header=BB2_5776 Depth=3
	v_cmp_ne_u16_e32 vcc, s97, v12
	v_bfrev_b32_e32 v13, 1
	s_and_saveexec_b64 s[70:71], vcc
	s_cbranch_execz .LBB2_7184
; %bb.7179:                             ;   in Loop: Header=BB2_5776 Depth=3
	v_and_b32_e32 v13, 0x7c, v12
	v_and_b32_e32 v15, 3, v12
	v_cmp_ne_u32_e32 vcc, s95, v13
                                        ; implicit-def: $vgpr13
	s_and_saveexec_b64 s[72:73], vcc
	s_xor_b64 s[72:73], exec, s[72:73]
	s_cbranch_execz .LBB2_7181
; %bb.7180:                             ;   in Loop: Header=BB2_5776 Depth=3
	v_ffbh_u32_e32 v25, v15
	v_min_u32_e32 v25, 32, v25
	v_mov_b32_e32 v13, v51
	v_subrev_u32_e32 v36, 29, v25
	v_bfe_u32 v24, v12, 2, 5
	v_lshlrev_b64 v[36:37], v36, v[12:13]
	v_sub_u32_e32 v13, 30, v25
	v_and_b32_e32 v25, 3, v36
	v_cmp_eq_u32_e32 vcc, 0, v24
	v_cndmask_b32_e32 v13, v24, v13, vcc
	v_cndmask_b32_e32 v15, v15, v25, vcc
	v_bfrev_b32_e32 v25, 28
	v_lshlrev_b32_e32 v24, 16, v8
	v_lshl_add_u32 v13, v13, 23, v25
	v_and_or_b32 v13, v24, s96, v13
	v_lshl_or_b32 v13, v15, 21, v13
                                        ; implicit-def: $vgpr15
.LBB2_7181:                             ;   in Loop: Header=BB2_5776 Depth=3
	s_andn2_saveexec_b64 s[72:73], s[72:73]
; %bb.7182:                             ;   in Loop: Header=BB2_5776 Depth=3
	v_cmp_lt_i16_e32 vcc, -1, v8
	v_mov_b32_e32 v13, 0xc7600000
	v_mov_b32_e32 v24, 0x47600000
	v_cndmask_b32_e32 v13, v13, v24, vcc
	v_cmp_eq_u32_e32 vcc, 0, v15
	v_mov_b32_e32 v15, 0x7f800001
	v_cndmask_b32_e32 v13, v15, v13, vcc
; %bb.7183:                             ;   in Loop: Header=BB2_5776 Depth=3
	s_or_b64 exec, exec, s[72:73]
.LBB2_7184:                             ;   in Loop: Header=BB2_5776 Depth=3
	s_or_b64 exec, exec, s[70:71]
.LBB2_7185:                             ;   in Loop: Header=BB2_5776 Depth=3
	s_or_b64 exec, exec, s[68:69]
	v_max_f32_e32 v13, v13, v13
	v_max_f32_e32 v9, v9, v9
	v_max_f32_e32 v9, v9, v13
	s_branch .LBB2_7204
.LBB2_7186:                             ;   in Loop: Header=BB2_5776 Depth=3
                                        ; implicit-def: $vgpr9
	s_cbranch_execz .LBB2_7204
; %bb.7187:                             ;   in Loop: Header=BB2_5776 Depth=3
	v_mov_b32_e32 v13, 0
	v_mov_b32_e32 v15, 0
	s_and_saveexec_b64 s[68:69], s[30:31]
	s_cbranch_execz .LBB2_7195
; %bb.7188:                             ;   in Loop: Header=BB2_5776 Depth=3
	v_cmp_ne_u16_e32 vcc, s97, v14
	v_bfrev_b32_e32 v15, 1
	s_and_saveexec_b64 s[30:31], vcc
	s_cbranch_execz .LBB2_7194
; %bb.7189:                             ;   in Loop: Header=BB2_5776 Depth=3
	v_and_b32_e32 v15, 0x7c, v14
	v_and_b32_e32 v9, 3, v14
	v_cmp_ne_u32_e32 vcc, s95, v15
                                        ; implicit-def: $vgpr15
	s_and_saveexec_b64 s[70:71], vcc
	s_xor_b64 s[70:71], exec, s[70:71]
	s_cbranch_execz .LBB2_7191
; %bb.7190:                             ;   in Loop: Header=BB2_5776 Depth=3
	v_ffbh_u32_e32 v25, v9
	v_min_u32_e32 v25, 32, v25
	v_mov_b32_e32 v15, v51
	v_subrev_u32_e32 v36, 29, v25
	v_bfe_u32 v24, v14, 2, 5
	v_lshlrev_b64 v[14:15], v36, v[14:15]
	v_sub_u32_e32 v15, 30, v25
	v_cmp_eq_u32_e32 vcc, 0, v24
	v_and_b32_e32 v14, 3, v14
	v_cndmask_b32_e32 v15, v24, v15, vcc
	v_bfrev_b32_e32 v24, 28
	v_cndmask_b32_e32 v9, v9, v14, vcc
	v_lshlrev_b32_e32 v14, 16, v50
	v_lshl_add_u32 v15, v15, 23, v24
	v_and_or_b32 v14, v14, s96, v15
	v_lshl_or_b32 v15, v9, 21, v14
                                        ; implicit-def: $vgpr9
.LBB2_7191:                             ;   in Loop: Header=BB2_5776 Depth=3
	s_andn2_saveexec_b64 s[70:71], s[70:71]
; %bb.7192:                             ;   in Loop: Header=BB2_5776 Depth=3
	v_cmp_lt_i16_e32 vcc, -1, v50
	v_mov_b32_e32 v14, 0xc7600000
	v_mov_b32_e32 v15, 0x47600000
	v_cndmask_b32_e32 v14, v14, v15, vcc
	v_cmp_eq_u32_e32 vcc, 0, v9
	v_mov_b32_e32 v9, 0x7f800001
	v_cndmask_b32_e32 v15, v9, v14, vcc
; %bb.7193:                             ;   in Loop: Header=BB2_5776 Depth=3
	s_or_b64 exec, exec, s[70:71]
.LBB2_7194:                             ;   in Loop: Header=BB2_5776 Depth=3
	s_or_b64 exec, exec, s[30:31]
.LBB2_7195:                             ;   in Loop: Header=BB2_5776 Depth=3
	s_or_b64 exec, exec, s[68:69]
	v_cmp_ne_u16_e32 vcc, 0, v12
	s_and_saveexec_b64 s[30:31], vcc
	s_cbranch_execz .LBB2_7203
; %bb.7196:                             ;   in Loop: Header=BB2_5776 Depth=3
	v_cmp_ne_u16_e32 vcc, s97, v12
	v_bfrev_b32_e32 v13, 1
	s_and_saveexec_b64 s[68:69], vcc
	s_cbranch_execz .LBB2_7202
; %bb.7197:                             ;   in Loop: Header=BB2_5776 Depth=3
	v_and_b32_e32 v9, 0x7c, v12
	v_and_b32_e32 v14, 3, v12
	v_cmp_ne_u32_e32 vcc, s95, v9
                                        ; implicit-def: $vgpr13
	s_and_saveexec_b64 s[70:71], vcc
	s_xor_b64 s[70:71], exec, s[70:71]
	s_cbranch_execz .LBB2_7199
; %bb.7198:                             ;   in Loop: Header=BB2_5776 Depth=3
	v_ffbh_u32_e32 v24, v14
	v_min_u32_e32 v24, 32, v24
	v_mov_b32_e32 v13, v51
	v_subrev_u32_e32 v25, 29, v24
	v_bfe_u32 v9, v12, 2, 5
	v_lshlrev_b64 v[12:13], v25, v[12:13]
	v_sub_u32_e32 v13, 30, v24
	v_cmp_eq_u32_e32 vcc, 0, v9
	v_cndmask_b32_e32 v9, v9, v13, vcc
	v_bfrev_b32_e32 v13, 28
	v_and_b32_e32 v12, 3, v12
	v_lshlrev_b32_e32 v8, 16, v8
	v_lshl_add_u32 v9, v9, 23, v13
	v_cndmask_b32_e32 v12, v14, v12, vcc
	v_and_or_b32 v8, v8, s96, v9
	v_lshl_or_b32 v13, v12, 21, v8
                                        ; implicit-def: $vgpr14
                                        ; implicit-def: $vgpr8_vgpr9
.LBB2_7199:                             ;   in Loop: Header=BB2_5776 Depth=3
	s_andn2_saveexec_b64 s[70:71], s[70:71]
; %bb.7200:                             ;   in Loop: Header=BB2_5776 Depth=3
	v_cmp_lt_i16_e32 vcc, -1, v8
	v_mov_b32_e32 v8, 0xc7600000
	v_mov_b32_e32 v9, 0x47600000
	v_cndmask_b32_e32 v8, v8, v9, vcc
	v_cmp_eq_u32_e32 vcc, 0, v14
	v_mov_b32_e32 v9, 0x7f800001
	v_cndmask_b32_e32 v13, v9, v8, vcc
; %bb.7201:                             ;   in Loop: Header=BB2_5776 Depth=3
	s_or_b64 exec, exec, s[70:71]
.LBB2_7202:                             ;   in Loop: Header=BB2_5776 Depth=3
	s_or_b64 exec, exec, s[68:69]
.LBB2_7203:                             ;   in Loop: Header=BB2_5776 Depth=3
	s_or_b64 exec, exec, s[30:31]
	v_max_f32_e32 v8, v13, v13
	v_max_f32_e32 v9, v15, v15
	v_min_f32_e32 v9, v9, v8
.LBB2_7204:                             ;   in Loop: Header=BB2_5776 Depth=3
	v_and_b32_sdwa v12, v9, s97 dst_sel:DWORD dst_unused:UNUSED_PAD src0_sel:BYTE_3 src1_sel:DWORD
	v_and_b32_e32 v14, 0x7f800000, v9
	v_mov_b32_e32 v15, v51
	v_and_b32_e32 v50, 0x7fffff, v9
	v_or_b32_e32 v13, 0x7b, v12
	v_cmp_ne_u64_e32 vcc, s[52:53], v[14:15]
	s_and_saveexec_b64 s[30:31], vcc
	s_xor_b64 s[68:69], exec, s[30:31]
	s_cbranch_execz .LBB2_7214
; %bb.7205:                             ;   in Loop: Header=BB2_5776 Depth=3
	v_and_b32_e32 v14, 0x7fffffff, v9
	v_mov_b32_e32 v15, v51
	v_cmp_gt_u64_e32 vcc, s[54:55], v[14:15]
	s_and_saveexec_b64 s[70:71], vcc
	s_cbranch_execz .LBB2_7213
; %bb.7206:                             ;   in Loop: Header=BB2_5776 Depth=3
	v_cmp_ne_u32_e32 vcc, 0, v9
	v_mov_b32_e32 v13, 0
	s_and_saveexec_b64 s[72:73], vcc
	s_cbranch_execz .LBB2_7212
; %bb.7207:                             ;   in Loop: Header=BB2_5776 Depth=3
	v_bfe_u32 v8, v9, 23, 8
	v_cmp_eq_u32_e32 vcc, 0, v8
	v_add_u32_e32 v9, 0xffffff81, v8
	v_cmp_gt_u32_e64 s[30:31], s38, v8
	v_sub_u32_e32 v8, 0x71, v8
	v_mov_b32_e32 v14, 0xffffff82
	v_cndmask_b32_e64 v8, 0, v8, s[30:31]
	v_cndmask_b32_e32 v24, v9, v14, vcc
	v_mov_b32_e32 v9, 0x70
	v_cndmask_b32_e32 v25, v8, v9, vcc
	v_add_u32_e32 v8, 21, v25
	v_or_b32_e32 v13, 0x800000, v50
	v_lshlrev_b64 v[8:9], v8, -1
	v_cndmask_b32_e32 v50, v13, v50, vcc
	v_not_b32_e32 v9, v9
	v_not_b32_e32 v8, v8
	v_add_u32_e32 v13, 20, v25
	v_and_b32_e32 v9, 0, v9
	v_and_b32_e32 v8, v50, v8
	v_lshlrev_b64 v[14:15], v13, 1
	v_cmp_eq_u64_e32 vcc, v[8:9], v[14:15]
	v_lshrrev_b64 v[8:9], v25, v[50:51]
	v_lshrrev_b32_e32 v13, 23, v8
	v_add3_u32 v15, v25, v24, v13
	v_bfe_u32 v13, v8, 21, 1
	v_add_u32_e32 v13, -1, v13
	v_cndmask_b32_e32 v13, 0, v13, vcc
	v_add_u32_e32 v13, v13, v8
	v_and_b32_e32 v13, 0x1fffff, v13
	v_add_co_u32_e32 v8, vcc, v13, v8
	v_add_u32_e32 v14, 14, v15
	v_addc_co_u32_e32 v9, vcc, 0, v9, vcc
	v_cmp_ne_u32_e32 vcc, 0, v14
                                        ; implicit-def: $vgpr13
	s_and_saveexec_b64 s[30:31], vcc
	s_xor_b64 s[30:31], exec, s[30:31]
; %bb.7208:                             ;   in Loop: Header=BB2_5776 Depth=3
	v_add_u32_e32 v13, 15, v15
	v_cmp_lt_u64_e32 vcc, s[56:57], v[8:9]
	v_cndmask_b32_e32 v13, v14, v13, vcc
	v_cndmask_b32_e64 v14, 0, 1, vcc
	v_lshrrev_b64 v[8:9], v14, v[8:9]
; %bb.7209:                             ;   in Loop: Header=BB2_5776 Depth=3
	s_andn2_saveexec_b64 vcc, s[30:31]
; %bb.7210:                             ;   in Loop: Header=BB2_5776 Depth=3
	v_bfe_u32 v13, v8, 23, 1
; %bb.7211:                             ;   in Loop: Header=BB2_5776 Depth=3
	s_or_b64 exec, exec, vcc
	v_lshrrev_b64 v[8:9], 21, v[8:9]
	v_cmp_gt_i32_e32 vcc, 32, v13
	v_cndmask_b32_e32 v9, 0, v9, vcc
	v_cndmask_b32_e32 v8, 3, v8, vcc
	v_cmp_eq_u64_e64 s[30:31], 0, v[8:9]
	v_min_i32_e32 v9, 31, v13
	v_cmp_eq_u32_e32 vcc, 0, v13
	v_lshlrev_b32_e32 v9, 2, v9
	v_and_or_b32 v8, v8, 3, v9
	s_and_b64 vcc, vcc, s[30:31]
	v_cndmask_b32_e64 v8, v8, 0, vcc
	v_or_b32_e32 v13, v8, v12
.LBB2_7212:                             ;   in Loop: Header=BB2_5776 Depth=3
	s_or_b64 exec, exec, s[72:73]
.LBB2_7213:                             ;   in Loop: Header=BB2_5776 Depth=3
	s_or_b64 exec, exec, s[70:71]
                                        ; implicit-def: $vgpr9
.LBB2_7214:                             ;   in Loop: Header=BB2_5776 Depth=3
	s_andn2_saveexec_b64 s[30:31], s[68:69]
; %bb.7215:                             ;   in Loop: Header=BB2_5776 Depth=3
	v_or_b32_sdwa v8, v9, s39 dst_sel:DWORD dst_unused:UNUSED_PAD src0_sel:BYTE_3 src1_sel:DWORD
	v_cmp_eq_u64_e32 vcc, 0, v[50:51]
	v_cndmask_b32_e32 v13, v8, v13, vcc
; %bb.7216:                             ;   in Loop: Header=BB2_5776 Depth=3
	s_or_b64 exec, exec, s[30:31]
	v_lshrrev_b32_e32 v12, 16, v29
	v_lshrrev_b32_e32 v8, 16, v11
	s_and_b64 vcc, exec, s[28:29]
	v_cmp_ne_u16_sdwa s[30:31], v12, v51 src0_sel:BYTE_0 src1_sel:DWORD
	s_cbranch_vccnz .LBB2_7234
; %bb.7217:                             ;   in Loop: Header=BB2_5776 Depth=3
	v_mov_b32_e32 v14, 0
	v_mov_b32_e32 v9, 0
	s_and_saveexec_b64 s[68:69], s[30:31]
	s_cbranch_execz .LBB2_7225
; %bb.7218:                             ;   in Loop: Header=BB2_5776 Depth=3
	v_cmp_ne_u16_sdwa vcc, v12, s97 src0_sel:BYTE_0 src1_sel:DWORD
	v_bfrev_b32_e32 v9, 1
	s_and_saveexec_b64 s[70:71], vcc
	s_cbranch_execz .LBB2_7224
; %bb.7219:                             ;   in Loop: Header=BB2_5776 Depth=3
	v_and_b32_e32 v9, 0x7c0000, v29
	v_bfe_u32 v15, v29, 16, 2
	v_cmp_ne_u32_e32 vcc, s36, v9
                                        ; implicit-def: $vgpr9
	s_and_saveexec_b64 s[72:73], vcc
	s_xor_b64 s[72:73], exec, s[72:73]
	s_cbranch_execz .LBB2_7221
; %bb.7220:                             ;   in Loop: Header=BB2_5776 Depth=3
	v_ffbh_u32_e32 v24, v15
	v_min_u32_e32 v24, 32, v24
	v_subrev_u32_e32 v25, 29, v24
	v_bfe_u32 v9, v29, 18, 5
	v_lshlrev_b64 v[36:37], v25, v[12:13]
	v_sub_u32_e32 v24, 30, v24
	v_and_b32_e32 v25, 3, v36
	v_cmp_eq_u32_e32 vcc, 0, v9
	v_cndmask_b32_e32 v9, v9, v24, vcc
	v_cndmask_b32_e32 v15, v15, v25, vcc
	v_bfrev_b32_e32 v25, 28
	v_lshlrev_b32_e32 v24, 24, v12
	v_lshl_add_u32 v9, v9, 23, v25
	v_and_or_b32 v9, v24, s96, v9
	v_lshl_or_b32 v9, v15, 21, v9
                                        ; implicit-def: $vgpr15
.LBB2_7221:                             ;   in Loop: Header=BB2_5776 Depth=3
	s_andn2_saveexec_b64 s[72:73], s[72:73]
; %bb.7222:                             ;   in Loop: Header=BB2_5776 Depth=3
	v_mov_b32_e32 v9, -1
	v_cmp_gt_i16_sdwa vcc, sext(v12), v9 src0_sel:BYTE_0 src1_sel:DWORD
	v_mov_b32_e32 v9, 0xc7600000
	v_mov_b32_e32 v24, 0x47600000
	v_cndmask_b32_e32 v9, v9, v24, vcc
	v_cmp_eq_u32_e32 vcc, 0, v15
	v_mov_b32_e32 v15, 0x7f800001
	v_cndmask_b32_e32 v9, v15, v9, vcc
; %bb.7223:                             ;   in Loop: Header=BB2_5776 Depth=3
	s_or_b64 exec, exec, s[72:73]
.LBB2_7224:                             ;   in Loop: Header=BB2_5776 Depth=3
	s_or_b64 exec, exec, s[70:71]
.LBB2_7225:                             ;   in Loop: Header=BB2_5776 Depth=3
	s_or_b64 exec, exec, s[68:69]
	v_cmp_ne_u16_sdwa vcc, v8, v51 src0_sel:BYTE_0 src1_sel:DWORD
	s_and_saveexec_b64 s[68:69], vcc
	s_cbranch_execz .LBB2_7233
; %bb.7226:                             ;   in Loop: Header=BB2_5776 Depth=3
	v_cmp_ne_u16_sdwa vcc, v8, s97 src0_sel:BYTE_0 src1_sel:DWORD
	v_bfrev_b32_e32 v14, 1
	s_and_saveexec_b64 s[70:71], vcc
	s_cbranch_execz .LBB2_7232
; %bb.7227:                             ;   in Loop: Header=BB2_5776 Depth=3
	v_and_b32_e32 v14, 0x7c0000, v11
	v_bfe_u32 v15, v11, 16, 2
	v_cmp_ne_u32_e32 vcc, s36, v14
                                        ; implicit-def: $vgpr14
	s_and_saveexec_b64 s[72:73], vcc
	s_xor_b64 s[72:73], exec, s[72:73]
	s_cbranch_execz .LBB2_7229
; %bb.7228:                             ;   in Loop: Header=BB2_5776 Depth=3
	v_ffbh_u32_e32 v24, v15
	v_min_u32_e32 v24, 32, v24
	v_subrev_u32_e32 v25, 29, v24
	v_bfe_u32 v14, v11, 18, 5
	v_lshlrev_b64 v[36:37], v25, v[8:9]
	v_sub_u32_e32 v24, 30, v24
	v_and_b32_e32 v25, 3, v36
	v_cmp_eq_u32_e32 vcc, 0, v14
	v_cndmask_b32_e32 v14, v14, v24, vcc
	v_cndmask_b32_e32 v15, v15, v25, vcc
	v_bfrev_b32_e32 v25, 28
	v_lshlrev_b32_e32 v24, 24, v8
	v_lshl_add_u32 v14, v14, 23, v25
	v_and_or_b32 v14, v24, s96, v14
	v_lshl_or_b32 v14, v15, 21, v14
                                        ; implicit-def: $vgpr15
.LBB2_7229:                             ;   in Loop: Header=BB2_5776 Depth=3
	s_andn2_saveexec_b64 s[72:73], s[72:73]
; %bb.7230:                             ;   in Loop: Header=BB2_5776 Depth=3
	v_mov_b32_e32 v14, -1
	v_cmp_gt_i16_sdwa vcc, sext(v8), v14 src0_sel:BYTE_0 src1_sel:DWORD
	v_mov_b32_e32 v14, 0xc7600000
	v_mov_b32_e32 v24, 0x47600000
	v_cndmask_b32_e32 v14, v14, v24, vcc
	v_cmp_eq_u32_e32 vcc, 0, v15
	v_mov_b32_e32 v15, 0x7f800001
	v_cndmask_b32_e32 v14, v15, v14, vcc
; %bb.7231:                             ;   in Loop: Header=BB2_5776 Depth=3
	s_or_b64 exec, exec, s[72:73]
.LBB2_7232:                             ;   in Loop: Header=BB2_5776 Depth=3
	s_or_b64 exec, exec, s[70:71]
.LBB2_7233:                             ;   in Loop: Header=BB2_5776 Depth=3
	s_or_b64 exec, exec, s[68:69]
	v_max_f32_e32 v14, v14, v14
	v_max_f32_e32 v9, v9, v9
	v_max_f32_e32 v9, v9, v14
	s_branch .LBB2_7252
.LBB2_7234:                             ;   in Loop: Header=BB2_5776 Depth=3
                                        ; implicit-def: $vgpr9
	s_cbranch_execz .LBB2_7252
; %bb.7235:                             ;   in Loop: Header=BB2_5776 Depth=3
	v_mov_b32_e32 v14, 0
	v_mov_b32_e32 v9, 0
	s_and_saveexec_b64 s[68:69], s[30:31]
	s_cbranch_execz .LBB2_7243
; %bb.7236:                             ;   in Loop: Header=BB2_5776 Depth=3
	v_cmp_ne_u16_sdwa vcc, v12, s97 src0_sel:BYTE_0 src1_sel:DWORD
	v_bfrev_b32_e32 v9, 1
	s_and_saveexec_b64 s[30:31], vcc
	s_cbranch_execz .LBB2_7242
; %bb.7237:                             ;   in Loop: Header=BB2_5776 Depth=3
	v_and_b32_e32 v9, 0x7c0000, v29
	v_bfe_u32 v15, v29, 16, 2
	v_cmp_ne_u32_e32 vcc, s36, v9
                                        ; implicit-def: $vgpr9
	s_and_saveexec_b64 s[70:71], vcc
	s_xor_b64 s[70:71], exec, s[70:71]
	s_cbranch_execz .LBB2_7239
; %bb.7238:                             ;   in Loop: Header=BB2_5776 Depth=3
	v_ffbh_u32_e32 v24, v15
	v_bfe_u32 v9, v29, 18, 5
	v_min_u32_e32 v24, 32, v24
	v_subrev_u32_e32 v25, 29, v24
	v_sub_u32_e32 v24, 30, v24
	v_cmp_eq_u32_e32 vcc, 0, v9
	v_lshlrev_b64 v[36:37], v25, v[12:13]
	v_cndmask_b32_e32 v9, v9, v24, vcc
	v_bfrev_b32_e32 v24, 28
	v_and_b32_e32 v25, 3, v36
	v_lshlrev_b32_e32 v12, 24, v12
	v_lshl_add_u32 v9, v9, 23, v24
	v_cndmask_b32_e32 v15, v15, v25, vcc
	v_and_or_b32 v9, v12, s96, v9
	v_lshl_or_b32 v9, v15, 21, v9
                                        ; implicit-def: $vgpr15
                                        ; implicit-def: $vgpr12
.LBB2_7239:                             ;   in Loop: Header=BB2_5776 Depth=3
	s_andn2_saveexec_b64 s[70:71], s[70:71]
; %bb.7240:                             ;   in Loop: Header=BB2_5776 Depth=3
	v_mov_b32_e32 v9, -1
	v_cmp_gt_i16_sdwa vcc, sext(v12), v9 src0_sel:BYTE_0 src1_sel:DWORD
	v_mov_b32_e32 v9, 0xc7600000
	v_mov_b32_e32 v12, 0x47600000
	v_cndmask_b32_e32 v9, v9, v12, vcc
	v_cmp_eq_u32_e32 vcc, 0, v15
	v_mov_b32_e32 v12, 0x7f800001
	v_cndmask_b32_e32 v9, v12, v9, vcc
; %bb.7241:                             ;   in Loop: Header=BB2_5776 Depth=3
	s_or_b64 exec, exec, s[70:71]
.LBB2_7242:                             ;   in Loop: Header=BB2_5776 Depth=3
	s_or_b64 exec, exec, s[30:31]
.LBB2_7243:                             ;   in Loop: Header=BB2_5776 Depth=3
	s_or_b64 exec, exec, s[68:69]
	v_cmp_ne_u16_sdwa vcc, v8, v51 src0_sel:BYTE_0 src1_sel:DWORD
	s_and_saveexec_b64 s[30:31], vcc
	s_cbranch_execz .LBB2_7251
; %bb.7244:                             ;   in Loop: Header=BB2_5776 Depth=3
	v_cmp_ne_u16_sdwa vcc, v8, s97 src0_sel:BYTE_0 src1_sel:DWORD
	v_bfrev_b32_e32 v14, 1
	s_and_saveexec_b64 s[68:69], vcc
	s_cbranch_execz .LBB2_7250
; %bb.7245:                             ;   in Loop: Header=BB2_5776 Depth=3
	v_and_b32_e32 v14, 0x7c0000, v11
	v_bfe_u32 v12, v11, 16, 2
	v_cmp_ne_u32_e32 vcc, s36, v14
                                        ; implicit-def: $vgpr14
	s_and_saveexec_b64 s[70:71], vcc
	s_xor_b64 s[70:71], exec, s[70:71]
	s_cbranch_execz .LBB2_7247
; %bb.7246:                             ;   in Loop: Header=BB2_5776 Depth=3
	v_ffbh_u32_e32 v14, v12
	v_min_u32_e32 v25, 32, v14
	v_subrev_u32_e32 v14, 29, v25
	v_bfe_u32 v24, v11, 18, 5
	v_lshlrev_b64 v[14:15], v14, v[8:9]
	v_sub_u32_e32 v15, 30, v25
	v_and_b32_e32 v14, 3, v14
	v_cmp_eq_u32_e32 vcc, 0, v24
	v_cndmask_b32_e32 v15, v24, v15, vcc
	v_cndmask_b32_e32 v12, v12, v14, vcc
	v_bfrev_b32_e32 v14, 28
	v_lshlrev_b32_e32 v8, 24, v8
	v_lshl_add_u32 v14, v15, 23, v14
	v_and_or_b32 v8, v8, s96, v14
	v_lshl_or_b32 v14, v12, 21, v8
                                        ; implicit-def: $vgpr12
                                        ; implicit-def: $vgpr8
.LBB2_7247:                             ;   in Loop: Header=BB2_5776 Depth=3
	s_andn2_saveexec_b64 s[70:71], s[70:71]
; %bb.7248:                             ;   in Loop: Header=BB2_5776 Depth=3
	v_mov_b32_e32 v14, -1
	v_cmp_gt_i16_sdwa vcc, sext(v8), v14 src0_sel:BYTE_0 src1_sel:DWORD
	v_mov_b32_e32 v8, 0xc7600000
	v_mov_b32_e32 v14, 0x47600000
	v_cndmask_b32_e32 v8, v8, v14, vcc
	v_cmp_eq_u32_e32 vcc, 0, v12
	v_mov_b32_e32 v12, 0x7f800001
	v_cndmask_b32_e32 v14, v12, v8, vcc
; %bb.7249:                             ;   in Loop: Header=BB2_5776 Depth=3
	s_or_b64 exec, exec, s[70:71]
.LBB2_7250:                             ;   in Loop: Header=BB2_5776 Depth=3
	s_or_b64 exec, exec, s[68:69]
.LBB2_7251:                             ;   in Loop: Header=BB2_5776 Depth=3
	s_or_b64 exec, exec, s[30:31]
	v_max_f32_e32 v8, v14, v14
	v_max_f32_e32 v9, v9, v9
	v_min_f32_e32 v9, v9, v8
.LBB2_7252:                             ;   in Loop: Header=BB2_5776 Depth=3
	v_and_b32_sdwa v12, v9, s97 dst_sel:DWORD dst_unused:UNUSED_PAD src0_sel:BYTE_3 src1_sel:DWORD
	v_and_b32_e32 v36, 0x7f800000, v9
	v_mov_b32_e32 v37, v51
	v_and_b32_e32 v50, 0x7fffff, v9
	v_or_b32_e32 v14, 0x7b, v12
	v_cmp_ne_u64_e32 vcc, s[52:53], v[36:37]
	s_and_saveexec_b64 s[30:31], vcc
	s_xor_b64 s[68:69], exec, s[30:31]
	s_cbranch_execz .LBB2_7262
; %bb.7253:                             ;   in Loop: Header=BB2_5776 Depth=3
	v_and_b32_e32 v36, 0x7fffffff, v9
	v_mov_b32_e32 v37, v51
	v_cmp_gt_u64_e32 vcc, s[54:55], v[36:37]
	s_and_saveexec_b64 s[70:71], vcc
	s_cbranch_execz .LBB2_7261
; %bb.7254:                             ;   in Loop: Header=BB2_5776 Depth=3
	v_cmp_ne_u32_e32 vcc, 0, v9
	v_mov_b32_e32 v14, 0
	s_and_saveexec_b64 s[72:73], vcc
	s_cbranch_execz .LBB2_7260
; %bb.7255:                             ;   in Loop: Header=BB2_5776 Depth=3
	v_bfe_u32 v8, v9, 23, 8
	v_cmp_eq_u32_e32 vcc, 0, v8
	v_add_u32_e32 v9, 0xffffff81, v8
	v_cmp_gt_u32_e64 s[30:31], s38, v8
	v_sub_u32_e32 v8, 0x71, v8
	v_mov_b32_e32 v15, 0xffffff82
	v_cndmask_b32_e64 v8, 0, v8, s[30:31]
	v_cndmask_b32_e32 v24, v9, v15, vcc
	v_mov_b32_e32 v9, 0x70
	v_cndmask_b32_e32 v25, v8, v9, vcc
	v_add_u32_e32 v8, 21, v25
	v_or_b32_e32 v14, 0x800000, v50
	v_lshlrev_b64 v[8:9], v8, -1
	v_cndmask_b32_e32 v50, v14, v50, vcc
	v_not_b32_e32 v9, v9
	v_not_b32_e32 v8, v8
	v_add_u32_e32 v14, 20, v25
	v_and_b32_e32 v9, 0, v9
	v_and_b32_e32 v8, v50, v8
	v_lshlrev_b64 v[14:15], v14, 1
	v_cmp_eq_u64_e32 vcc, v[8:9], v[14:15]
	v_lshrrev_b64 v[8:9], v25, v[50:51]
	v_lshrrev_b32_e32 v14, 23, v8
	v_add3_u32 v24, v25, v24, v14
	v_bfe_u32 v14, v8, 21, 1
	v_add_u32_e32 v14, -1, v14
	v_cndmask_b32_e32 v14, 0, v14, vcc
	v_add_u32_e32 v14, v14, v8
	v_and_b32_e32 v14, 0x1fffff, v14
	v_add_co_u32_e32 v8, vcc, v14, v8
	v_add_u32_e32 v15, 14, v24
	v_addc_co_u32_e32 v9, vcc, 0, v9, vcc
	v_cmp_ne_u32_e32 vcc, 0, v15
                                        ; implicit-def: $vgpr14
	s_and_saveexec_b64 s[30:31], vcc
	s_xor_b64 s[30:31], exec, s[30:31]
; %bb.7256:                             ;   in Loop: Header=BB2_5776 Depth=3
	v_add_u32_e32 v14, 15, v24
	v_cmp_lt_u64_e32 vcc, s[56:57], v[8:9]
	v_cndmask_b32_e32 v14, v15, v14, vcc
	v_cndmask_b32_e64 v15, 0, 1, vcc
	v_lshrrev_b64 v[8:9], v15, v[8:9]
; %bb.7257:                             ;   in Loop: Header=BB2_5776 Depth=3
	s_andn2_saveexec_b64 vcc, s[30:31]
; %bb.7258:                             ;   in Loop: Header=BB2_5776 Depth=3
	v_bfe_u32 v14, v8, 23, 1
; %bb.7259:                             ;   in Loop: Header=BB2_5776 Depth=3
	s_or_b64 exec, exec, vcc
	v_lshrrev_b64 v[8:9], 21, v[8:9]
	v_cmp_gt_i32_e32 vcc, 32, v14
	v_cndmask_b32_e32 v9, 0, v9, vcc
	v_cndmask_b32_e32 v8, 3, v8, vcc
	v_cmp_eq_u64_e64 s[30:31], 0, v[8:9]
	v_min_i32_e32 v9, 31, v14
	v_cmp_eq_u32_e32 vcc, 0, v14
	v_lshlrev_b32_e32 v9, 2, v9
	v_and_or_b32 v8, v8, 3, v9
	s_and_b64 vcc, vcc, s[30:31]
	v_cndmask_b32_e64 v8, v8, 0, vcc
	v_or_b32_e32 v14, v8, v12
.LBB2_7260:                             ;   in Loop: Header=BB2_5776 Depth=3
	s_or_b64 exec, exec, s[72:73]
.LBB2_7261:                             ;   in Loop: Header=BB2_5776 Depth=3
	s_or_b64 exec, exec, s[70:71]
                                        ; implicit-def: $vgpr9
.LBB2_7262:                             ;   in Loop: Header=BB2_5776 Depth=3
	s_andn2_saveexec_b64 s[30:31], s[68:69]
; %bb.7263:                             ;   in Loop: Header=BB2_5776 Depth=3
	v_or_b32_sdwa v8, v9, s39 dst_sel:DWORD dst_unused:UNUSED_PAD src0_sel:BYTE_3 src1_sel:DWORD
	v_cmp_eq_u64_e32 vcc, 0, v[50:51]
	v_cndmask_b32_e32 v14, v8, v14, vcc
; %bb.7264:                             ;   in Loop: Header=BB2_5776 Depth=3
	s_or_b64 exec, exec, s[30:31]
	v_lshrrev_b32_e32 v12, 24, v29
	v_lshrrev_b32_e32 v8, 24, v11
	s_and_b64 vcc, exec, s[28:29]
	v_cmp_lt_u64_e64 s[28:29], s[42:43], v[28:29]
	s_cbranch_vccnz .LBB2_7282
; %bb.7265:                             ;   in Loop: Header=BB2_5776 Depth=3
	v_mov_b32_e32 v15, 0
	v_mov_b32_e32 v9, 0
	s_and_saveexec_b64 s[30:31], s[28:29]
	s_cbranch_execz .LBB2_7273
; %bb.7266:                             ;   in Loop: Header=BB2_5776 Depth=3
	v_cmp_ne_u32_e32 vcc, s97, v12
	v_bfrev_b32_e32 v9, 1
	s_and_saveexec_b64 s[68:69], vcc
	s_cbranch_execz .LBB2_7272
; %bb.7267:                             ;   in Loop: Header=BB2_5776 Depth=3
	v_and_b32_e32 v9, 0x7c000000, v29
	v_bfe_u32 v24, v29, 24, 2
	v_cmp_ne_u32_e32 vcc, s37, v9
                                        ; implicit-def: $vgpr9
	s_and_saveexec_b64 s[70:71], vcc
	s_xor_b64 s[70:71], exec, s[70:71]
	s_cbranch_execz .LBB2_7269
; %bb.7268:                             ;   in Loop: Header=BB2_5776 Depth=3
	v_ffbh_u32_e32 v25, v24
	v_bfe_u32 v9, v29, 26, 5
	v_min_u32_e32 v25, 32, v25
	v_subrev_u32_e32 v36, 29, v25
	v_sub_u32_e32 v25, 30, v25
	v_cmp_eq_u32_e32 vcc, 0, v9
	v_lshlrev_b64 v[36:37], v36, v[12:13]
	v_cndmask_b32_e32 v9, v9, v25, vcc
	v_bfrev_b32_e32 v25, 28
	v_and_b32_e32 v36, 3, v36
	v_lshl_add_u32 v9, v9, 23, v25
	v_cndmask_b32_e32 v24, v24, v36, vcc
	v_and_or_b32 v9, v29, s96, v9
	v_lshl_or_b32 v9, v24, 21, v9
                                        ; implicit-def: $vgpr24
.LBB2_7269:                             ;   in Loop: Header=BB2_5776 Depth=3
	s_andn2_saveexec_b64 s[70:71], s[70:71]
; %bb.7270:                             ;   in Loop: Header=BB2_5776 Depth=3
	v_cmp_lt_i64_e32 vcc, -1, v[28:29]
	v_mov_b32_e32 v9, 0xc7600000
	v_mov_b32_e32 v25, 0x47600000
	v_cndmask_b32_e32 v9, v9, v25, vcc
	v_cmp_eq_u32_e32 vcc, 0, v24
	v_mov_b32_e32 v24, 0x7f800001
	v_cndmask_b32_e32 v9, v24, v9, vcc
; %bb.7271:                             ;   in Loop: Header=BB2_5776 Depth=3
	s_or_b64 exec, exec, s[70:71]
.LBB2_7272:                             ;   in Loop: Header=BB2_5776 Depth=3
	s_or_b64 exec, exec, s[68:69]
.LBB2_7273:                             ;   in Loop: Header=BB2_5776 Depth=3
	s_or_b64 exec, exec, s[30:31]
	v_cmp_lt_u64_e32 vcc, s[42:43], v[10:11]
	s_and_saveexec_b64 s[30:31], vcc
	s_cbranch_execz .LBB2_7281
; %bb.7274:                             ;   in Loop: Header=BB2_5776 Depth=3
	v_cmp_ne_u32_e32 vcc, s97, v8
	v_bfrev_b32_e32 v15, 1
	s_and_saveexec_b64 s[68:69], vcc
	s_cbranch_execz .LBB2_7280
; %bb.7275:                             ;   in Loop: Header=BB2_5776 Depth=3
	v_and_b32_e32 v15, 0x7c000000, v11
	v_bfe_u32 v24, v11, 24, 2
	v_cmp_ne_u32_e32 vcc, s37, v15
                                        ; implicit-def: $vgpr15
	s_and_saveexec_b64 s[70:71], vcc
	s_xor_b64 s[70:71], exec, s[70:71]
	s_cbranch_execz .LBB2_7277
; %bb.7276:                             ;   in Loop: Header=BB2_5776 Depth=3
	v_ffbh_u32_e32 v25, v24
	v_bfe_u32 v15, v11, 26, 5
	v_min_u32_e32 v25, 32, v25
	v_subrev_u32_e32 v36, 29, v25
	v_sub_u32_e32 v25, 30, v25
	v_cmp_eq_u32_e32 vcc, 0, v15
	v_lshlrev_b64 v[36:37], v36, v[8:9]
	v_cndmask_b32_e32 v15, v15, v25, vcc
	v_bfrev_b32_e32 v25, 28
	v_and_b32_e32 v36, 3, v36
	v_lshl_add_u32 v15, v15, 23, v25
	v_cndmask_b32_e32 v24, v24, v36, vcc
	v_and_or_b32 v15, v11, s96, v15
	v_lshl_or_b32 v15, v24, 21, v15
                                        ; implicit-def: $vgpr24
.LBB2_7277:                             ;   in Loop: Header=BB2_5776 Depth=3
	s_andn2_saveexec_b64 s[70:71], s[70:71]
; %bb.7278:                             ;   in Loop: Header=BB2_5776 Depth=3
	v_cmp_lt_i64_e32 vcc, -1, v[10:11]
	v_mov_b32_e32 v15, 0xc7600000
	v_mov_b32_e32 v25, 0x47600000
	v_cndmask_b32_e32 v15, v15, v25, vcc
	v_cmp_eq_u32_e32 vcc, 0, v24
	v_mov_b32_e32 v24, 0x7f800001
	v_cndmask_b32_e32 v15, v24, v15, vcc
; %bb.7279:                             ;   in Loop: Header=BB2_5776 Depth=3
	s_or_b64 exec, exec, s[70:71]
.LBB2_7280:                             ;   in Loop: Header=BB2_5776 Depth=3
	s_or_b64 exec, exec, s[68:69]
.LBB2_7281:                             ;   in Loop: Header=BB2_5776 Depth=3
	s_or_b64 exec, exec, s[30:31]
	v_max_f32_e32 v15, v15, v15
	v_max_f32_e32 v9, v9, v9
	;; [unrolled: 1-line block ×3, first 2 shown]
	s_branch .LBB2_7300
.LBB2_7282:                             ;   in Loop: Header=BB2_5776 Depth=3
                                        ; implicit-def: $vgpr9
	s_cbranch_execz .LBB2_7300
; %bb.7283:                             ;   in Loop: Header=BB2_5776 Depth=3
	v_mov_b32_e32 v15, 0
	v_mov_b32_e32 v9, 0
	s_and_saveexec_b64 s[30:31], s[28:29]
	s_cbranch_execz .LBB2_7291
; %bb.7284:                             ;   in Loop: Header=BB2_5776 Depth=3
	v_cmp_ne_u32_e32 vcc, s97, v12
	v_bfrev_b32_e32 v9, 1
	s_and_saveexec_b64 s[28:29], vcc
	s_cbranch_execz .LBB2_7290
; %bb.7285:                             ;   in Loop: Header=BB2_5776 Depth=3
	v_and_b32_e32 v9, 0x7c000000, v29
	v_bfe_u32 v24, v29, 24, 2
	v_cmp_ne_u32_e32 vcc, s37, v9
                                        ; implicit-def: $vgpr9
	s_and_saveexec_b64 s[68:69], vcc
	s_xor_b64 s[68:69], exec, s[68:69]
	s_cbranch_execz .LBB2_7287
; %bb.7286:                             ;   in Loop: Header=BB2_5776 Depth=3
	v_ffbh_u32_e32 v25, v24
	v_min_u32_e32 v25, 32, v25
	v_subrev_u32_e32 v28, 29, v25
	v_bfe_u32 v9, v29, 26, 5
	v_lshlrev_b64 v[36:37], v28, v[12:13]
	v_sub_u32_e32 v12, 30, v25
	v_and_b32_e32 v25, 3, v36
	v_cmp_eq_u32_e32 vcc, 0, v9
	v_cndmask_b32_e32 v9, v9, v12, vcc
	v_cndmask_b32_e32 v12, v24, v25, vcc
	v_bfrev_b32_e32 v24, 28
	v_lshl_add_u32 v9, v9, 23, v24
	v_and_or_b32 v9, v29, s96, v9
	v_lshl_or_b32 v9, v12, 21, v9
                                        ; implicit-def: $vgpr24
                                        ; implicit-def: $vgpr28_vgpr29
.LBB2_7287:                             ;   in Loop: Header=BB2_5776 Depth=3
	s_andn2_saveexec_b64 s[68:69], s[68:69]
; %bb.7288:                             ;   in Loop: Header=BB2_5776 Depth=3
	v_cmp_lt_i64_e32 vcc, -1, v[28:29]
	v_mov_b32_e32 v9, 0xc7600000
	v_mov_b32_e32 v12, 0x47600000
	v_cndmask_b32_e32 v9, v9, v12, vcc
	v_cmp_eq_u32_e32 vcc, 0, v24
	v_mov_b32_e32 v12, 0x7f800001
	v_cndmask_b32_e32 v9, v12, v9, vcc
; %bb.7289:                             ;   in Loop: Header=BB2_5776 Depth=3
	s_or_b64 exec, exec, s[68:69]
.LBB2_7290:                             ;   in Loop: Header=BB2_5776 Depth=3
	s_or_b64 exec, exec, s[28:29]
.LBB2_7291:                             ;   in Loop: Header=BB2_5776 Depth=3
	s_or_b64 exec, exec, s[30:31]
	v_cmp_lt_u64_e32 vcc, s[42:43], v[10:11]
	s_and_saveexec_b64 s[28:29], vcc
	s_cbranch_execz .LBB2_7299
; %bb.7292:                             ;   in Loop: Header=BB2_5776 Depth=3
	v_cmp_ne_u32_e32 vcc, s97, v8
	v_bfrev_b32_e32 v15, 1
	s_and_saveexec_b64 s[30:31], vcc
	s_cbranch_execz .LBB2_7298
; %bb.7293:                             ;   in Loop: Header=BB2_5776 Depth=3
	v_and_b32_e32 v15, 0x7c000000, v11
	v_bfe_u32 v12, v11, 24, 2
	v_cmp_ne_u32_e32 vcc, s37, v15
                                        ; implicit-def: $vgpr15
	s_and_saveexec_b64 s[68:69], vcc
	s_xor_b64 s[68:69], exec, s[68:69]
	s_cbranch_execz .LBB2_7295
; %bb.7294:                             ;   in Loop: Header=BB2_5776 Depth=3
	v_ffbh_u32_e32 v15, v12
	v_min_u32_e32 v15, 32, v15
	v_subrev_u32_e32 v24, 29, v15
	v_bfe_u32 v10, v11, 26, 5
	v_lshlrev_b64 v[28:29], v24, v[8:9]
	v_sub_u32_e32 v8, 30, v15
	v_and_b32_e32 v15, 3, v28
	v_cmp_eq_u32_e32 vcc, 0, v10
	v_cndmask_b32_e32 v8, v10, v8, vcc
	v_cndmask_b32_e32 v10, v12, v15, vcc
	v_bfrev_b32_e32 v12, 28
	v_lshl_add_u32 v8, v8, 23, v12
	v_and_or_b32 v8, v11, s96, v8
	v_lshl_or_b32 v15, v10, 21, v8
                                        ; implicit-def: $vgpr12
                                        ; implicit-def: $vgpr10_vgpr11
.LBB2_7295:                             ;   in Loop: Header=BB2_5776 Depth=3
	s_andn2_saveexec_b64 s[68:69], s[68:69]
; %bb.7296:                             ;   in Loop: Header=BB2_5776 Depth=3
	v_cmp_lt_i64_e32 vcc, -1, v[10:11]
	v_mov_b32_e32 v8, 0xc7600000
	v_mov_b32_e32 v10, 0x47600000
	v_cndmask_b32_e32 v8, v8, v10, vcc
	v_cmp_eq_u32_e32 vcc, 0, v12
	v_mov_b32_e32 v10, 0x7f800001
	v_cndmask_b32_e32 v15, v10, v8, vcc
; %bb.7297:                             ;   in Loop: Header=BB2_5776 Depth=3
	s_or_b64 exec, exec, s[68:69]
.LBB2_7298:                             ;   in Loop: Header=BB2_5776 Depth=3
	s_or_b64 exec, exec, s[30:31]
.LBB2_7299:                             ;   in Loop: Header=BB2_5776 Depth=3
	s_or_b64 exec, exec, s[28:29]
	v_max_f32_e32 v8, v15, v15
	v_max_f32_e32 v9, v9, v9
	v_min_f32_e32 v9, v9, v8
.LBB2_7300:                             ;   in Loop: Header=BB2_5776 Depth=3
	v_and_b32_sdwa v10, v9, s97 dst_sel:DWORD dst_unused:UNUSED_PAD src0_sel:BYTE_3 src1_sel:DWORD
	v_and_b32_e32 v28, 0x7f800000, v9
	v_mov_b32_e32 v29, v51
	v_and_b32_e32 v50, 0x7fffff, v9
	v_or_b32_e32 v8, 0x7b, v10
	v_cmp_ne_u64_e32 vcc, s[52:53], v[28:29]
	s_and_saveexec_b64 s[28:29], vcc
	s_xor_b64 s[30:31], exec, s[28:29]
	s_cbranch_execz .LBB2_7310
; %bb.7301:                             ;   in Loop: Header=BB2_5776 Depth=3
	v_and_b32_e32 v28, 0x7fffffff, v9
	v_mov_b32_e32 v29, v51
	v_cmp_gt_u64_e32 vcc, s[54:55], v[28:29]
	s_and_saveexec_b64 s[68:69], vcc
	s_cbranch_execz .LBB2_7309
; %bb.7302:                             ;   in Loop: Header=BB2_5776 Depth=3
	v_cmp_ne_u32_e32 vcc, 0, v9
	v_mov_b32_e32 v8, 0
	s_and_saveexec_b64 s[70:71], vcc
	s_cbranch_execz .LBB2_7308
; %bb.7303:                             ;   in Loop: Header=BB2_5776 Depth=3
	v_bfe_u32 v8, v9, 23, 8
	v_cmp_eq_u32_e32 vcc, 0, v8
	v_add_u32_e32 v9, 0xffffff81, v8
	v_cmp_gt_u32_e64 s[28:29], s38, v8
	v_sub_u32_e32 v8, 0x71, v8
	v_mov_b32_e32 v12, 0xffffff82
	v_cndmask_b32_e64 v8, 0, v8, s[28:29]
	v_cndmask_b32_e32 v12, v9, v12, vcc
	v_mov_b32_e32 v9, 0x70
	v_cndmask_b32_e32 v15, v8, v9, vcc
	v_add_u32_e32 v8, 21, v15
	v_or_b32_e32 v11, 0x800000, v50
	v_lshlrev_b64 v[8:9], v8, -1
	v_cndmask_b32_e32 v50, v11, v50, vcc
	v_not_b32_e32 v9, v9
	v_not_b32_e32 v8, v8
	v_add_u32_e32 v11, 20, v15
	v_and_b32_e32 v9, 0, v9
	v_and_b32_e32 v8, v50, v8
	v_lshlrev_b64 v[28:29], v11, 1
	v_cmp_eq_u64_e32 vcc, v[8:9], v[28:29]
	v_lshrrev_b64 v[8:9], v15, v[50:51]
	v_lshrrev_b32_e32 v11, 23, v8
	v_add3_u32 v15, v15, v12, v11
	v_bfe_u32 v11, v8, 21, 1
	v_add_u32_e32 v11, -1, v11
	v_cndmask_b32_e32 v11, 0, v11, vcc
	v_add_u32_e32 v11, v11, v8
	v_and_b32_e32 v11, 0x1fffff, v11
	v_add_co_u32_e32 v8, vcc, v11, v8
	v_add_u32_e32 v12, 14, v15
	v_addc_co_u32_e32 v9, vcc, 0, v9, vcc
	v_cmp_ne_u32_e32 vcc, 0, v12
                                        ; implicit-def: $vgpr11
	s_and_saveexec_b64 s[28:29], vcc
	s_xor_b64 s[28:29], exec, s[28:29]
; %bb.7304:                             ;   in Loop: Header=BB2_5776 Depth=3
	v_add_u32_e32 v11, 15, v15
	v_cmp_lt_u64_e32 vcc, s[56:57], v[8:9]
	v_cndmask_b32_e32 v11, v12, v11, vcc
	v_cndmask_b32_e64 v12, 0, 1, vcc
	v_lshrrev_b64 v[8:9], v12, v[8:9]
; %bb.7305:                             ;   in Loop: Header=BB2_5776 Depth=3
	s_andn2_saveexec_b64 s[28:29], s[28:29]
; %bb.7306:                             ;   in Loop: Header=BB2_5776 Depth=3
	v_bfe_u32 v11, v8, 23, 1
; %bb.7307:                             ;   in Loop: Header=BB2_5776 Depth=3
	s_or_b64 exec, exec, s[28:29]
	v_lshrrev_b64 v[8:9], 21, v[8:9]
	v_cmp_gt_i32_e32 vcc, 32, v11
	v_cndmask_b32_e32 v9, 0, v9, vcc
	v_cndmask_b32_e32 v8, 3, v8, vcc
	v_cmp_eq_u64_e64 s[28:29], 0, v[8:9]
	v_min_i32_e32 v9, 31, v11
	v_lshlrev_b32_e32 v9, 2, v9
	v_cmp_eq_u32_e32 vcc, 0, v11
	v_and_b32_e32 v9, 0xfc, v9
	v_and_or_b32 v8, v8, 3, v9
	s_and_b64 s[28:29], vcc, s[28:29]
	v_cndmask_b32_e64 v8, v8, 0, s[28:29]
	v_or_b32_e32 v8, v8, v10
.LBB2_7308:                             ;   in Loop: Header=BB2_5776 Depth=3
	s_or_b64 exec, exec, s[70:71]
.LBB2_7309:                             ;   in Loop: Header=BB2_5776 Depth=3
	s_or_b64 exec, exec, s[68:69]
                                        ; implicit-def: $vgpr9
.LBB2_7310:                             ;   in Loop: Header=BB2_5776 Depth=3
	s_andn2_saveexec_b64 s[28:29], s[30:31]
	s_cbranch_execz .LBB2_5775
; %bb.7311:                             ;   in Loop: Header=BB2_5776 Depth=3
	v_or_b32_sdwa v9, v9, s39 dst_sel:DWORD dst_unused:UNUSED_PAD src0_sel:BYTE_3 src1_sel:DWORD
	v_cmp_eq_u64_e32 vcc, 0, v[50:51]
	v_cndmask_b32_e32 v8, v9, v8, vcc
	s_branch .LBB2_5775
.LBB2_7312:                             ;   in Loop: Header=BB2_3056 Depth=2
	s_or_b64 exec, exec, s[64:65]
	v_accvgpr_read_b32 v43, a7
	v_accvgpr_read_b32 v40, a3
	;; [unrolled: 1-line block ×5, first 2 shown]
.LBB2_7313:                             ;   in Loop: Header=BB2_3056 Depth=2
	s_or_b64 exec, exec, s[34:35]
	buffer_load_dword v0, off, s[0:3], s33 offset:172 ; 4-byte Folded Reload
	v_lshlrev_b32_e32 v1, 11, v1
	s_mov_b64 s[28:29], 0
	v_mov_b32_e32 v7, 0
                                        ; implicit-def: $vgpr29
                                        ; implicit-def: $vgpr30
	s_waitcnt vmcnt(0)
	v_cmp_ne_u32_e32 vcc, v0, v1
                                        ; implicit-def: $vgpr0
	s_and_saveexec_b64 s[34:35], vcc
	s_cbranch_execz .LBB2_8089
; %bb.7314:                             ;   in Loop: Header=BB2_3056 Depth=2
	buffer_load_dword v0, off, s[0:3], s33 offset:172 ; 4-byte Folded Reload
	v_accvgpr_read_b32 v2, a40
	s_waitcnt vmcnt(0)
	v_sub_u32_e32 v4, v0, v1
	v_lshlrev_b32_e32 v0, 6, v3
	v_sub_u32_e32 v0, v2, v0
	v_ashrrev_i32_e32 v2, 31, v0
	v_lshrrev_b32_e32 v2, 26, v2
	v_ashrrev_i32_e32 v3, 31, v4
	v_add_u32_e32 v2, v0, v2
	v_lshrrev_b32_e32 v3, 22, v3
	v_ashrrev_i32_e32 v5, 6, v2
	v_and_b32_e32 v2, 0xffffffc0, v2
	v_add_u32_e32 v3, v4, v3
	v_sub_u32_e32 v2, v0, v2
	v_ashrrev_i32_e32 v6, 10, v3
	v_and_b32_e32 v3, 0xfffffc00, v3
	v_lshlrev_b32_e32 v0, 4, v2
	v_sub_u32_e32 v28, v4, v3
	v_lshl_add_u32 v0, v5, 10, v0
	v_cmp_lt_i32_e64 s[28:29], 15, v28
	v_sub_u32_e32 v29, v4, v0
	v_addc_co_u32_e64 v4, vcc, 0, v6, s[28:29]
	v_sub_u32_e32 v6, v4, v5
	v_cmp_lt_i32_e32 vcc, 15, v29
	s_and_saveexec_b64 s[64:65], vcc
	s_cbranch_execz .LBB2_8086
; %bb.7315:                             ;   in Loop: Header=BB2_3056 Depth=2
	s_trap 2
	ds_read_b128 v[8:11], v0
	v_add_u32_e32 v0, v0, v1
	ds_read_b64 v[12:13], v0
	v_ashrrev_i32_e32 v7, 31, v0
	s_bitcmp1_b32 s82, 0
	s_waitcnt lgkmcnt(0)
	v_add_co_u32_e32 v4, vcc, v8, v0
	v_addc_co_u32_e32 v5, vcc, v9, v7, vcc
	v_add_co_u32_e32 v16, vcc, v10, v0
	v_addc_co_u32_e32 v17, vcc, v11, v7, vcc
	;; [unrolled: 2-line block ×3, first 2 shown]
	s_mov_b64 s[66:67], 0
	s_cselect_b64 s[68:69], -1, 0
	s_branch .LBB2_7317
.LBB2_7316:                             ;   in Loop: Header=BB2_7317 Depth=3
	s_or_b64 exec, exec, s[30:31]
	v_lshlrev_b32_e32 v9, 16, v27
	v_lshlrev_b32_e32 v10, 8, v26
	v_perm_b32 v9, v20, v9, s81
	v_perm_b32 v10, v10, v52, s9
	v_or_b32_e32 v11, v9, v10
	v_and_b32_e32 v9, 0xff, v38
	v_lshlrev_b32_e32 v12, 8, v37
	v_lshlrev_b32_e32 v10, 24, v39
	;; [unrolled: 1-line block ×3, first 2 shown]
	v_perm_b32 v12, v12, v36, s9
	v_or3_b32 v10, v10, v9, v12
	v_and_b32_e32 v9, 0xff, v30
	v_lshlrev_b32_e32 v7, 8, v7
	v_lshlrev_b32_e32 v0, 24, v0
	;; [unrolled: 1-line block ×3, first 2 shown]
	v_perm_b32 v7, v7, v21, s9
	v_or3_b32 v12, v0, v9, v7
	v_lshlrev_b32_e32 v0, 8, v13
	v_lshlrev_b32_e32 v7, 16, v14
	v_perm_b32 v0, v0, v31, s9
	v_perm_b32 v7, v8, v7, s81
	v_or_b32_e32 v13, v7, v0
	v_accvgpr_read_b32 v0, a42
	v_add_co_u32_e32 v4, vcc, v4, v0
	v_accvgpr_read_b32 v7, a43
	v_addc_co_u32_e32 v5, vcc, v5, v7, vcc
	v_add_co_u32_e32 v16, vcc, v16, v0
	v_addc_co_u32_e32 v17, vcc, v17, v7, vcc
	global_store_dwordx4 v[18:19], v[10:13], off glc slc
	v_add_co_u32_e32 v18, vcc, v18, v0
	v_accvgpr_read_b32 v0, a28
	v_addc_co_u32_e32 v19, vcc, v19, v7, vcc
	v_sub_u32_e32 v29, v29, v0
	v_cmp_gt_i32_e32 vcc, 16, v29
	s_or_b64 s[66:67], vcc, s[66:67]
	v_sub_u32_e32 v6, v6, v44
	s_andn2_b64 exec, exec, s[66:67]
	s_cbranch_execz .LBB2_8085
.LBB2_7317:                             ;   Parent Loop BB2_47 Depth=1
                                        ;     Parent Loop BB2_3056 Depth=2
                                        ; =>    This Inner Loop Header: Depth=3
	global_load_dwordx4 v[20:23], v[4:5], off glc slc
	global_load_dwordx4 v[8:11], v[16:17], off glc slc
	s_and_b64 vcc, exec, s[68:69]
	s_waitcnt vmcnt(1)
	v_cmp_ne_u16_sdwa s[30:31], v20, v51 src0_sel:BYTE_0 src1_sel:DWORD
	s_cbranch_vccz .LBB2_7335
; %bb.7318:                             ;   in Loop: Header=BB2_7317 Depth=3
	v_mov_b32_e32 v7, 0
	v_mov_b32_e32 v0, 0
	s_and_saveexec_b64 s[70:71], s[30:31]
	s_cbranch_execz .LBB2_7326
; %bb.7319:                             ;   in Loop: Header=BB2_7317 Depth=3
	v_cmp_ne_u16_sdwa vcc, sext(v20), s94 src0_sel:BYTE_0 src1_sel:DWORD
	v_bfrev_b32_e32 v0, 1
	s_and_saveexec_b64 s[72:73], vcc
	s_cbranch_execz .LBB2_7325
; %bb.7320:                             ;   in Loop: Header=BB2_7317 Depth=3
	v_and_b32_e32 v0, 0x7c, v20
	v_and_b32_e32 v12, 3, v20
	v_cmp_ne_u32_e32 vcc, s95, v0
                                        ; implicit-def: $vgpr0
	s_and_saveexec_b64 s[74:75], vcc
	s_xor_b64 s[74:75], exec, s[74:75]
	s_cbranch_execz .LBB2_7322
; %bb.7321:                             ;   in Loop: Header=BB2_7317 Depth=3
	v_ffbh_u32_e32 v13, v12
	v_min_u32_e32 v13, 32, v13
	v_subrev_u32_e32 v14, 29, v13
	v_bfe_u32 v0, v20, 2, 5
	v_lshlrev_b64 v[14:15], v14, v[20:21]
	v_sub_u32_e32 v13, 30, v13
	v_and_b32_e32 v14, 3, v14
	v_cmp_eq_u32_e32 vcc, 0, v0
	v_cndmask_b32_e32 v0, v0, v13, vcc
	v_cndmask_b32_e32 v12, v12, v14, vcc
	v_bfrev_b32_e32 v14, 28
	v_lshlrev_b32_e32 v13, 24, v20
	v_lshl_add_u32 v0, v0, 23, v14
	v_and_or_b32 v0, v13, s96, v0
	v_lshl_or_b32 v0, v12, 21, v0
                                        ; implicit-def: $vgpr12
.LBB2_7322:                             ;   in Loop: Header=BB2_7317 Depth=3
	s_andn2_saveexec_b64 s[74:75], s[74:75]
; %bb.7323:                             ;   in Loop: Header=BB2_7317 Depth=3
	v_mov_b32_e32 v0, -1
	v_cmp_gt_i16_sdwa vcc, sext(v20), v0 src0_sel:BYTE_0 src1_sel:DWORD
	v_mov_b32_e32 v0, 0xc7600000
	v_mov_b32_e32 v13, 0x47600000
	v_cndmask_b32_e32 v0, v0, v13, vcc
	v_cmp_eq_u32_e32 vcc, 0, v12
	v_mov_b32_e32 v12, 0x7f800001
	v_cndmask_b32_e32 v0, v12, v0, vcc
; %bb.7324:                             ;   in Loop: Header=BB2_7317 Depth=3
	s_or_b64 exec, exec, s[74:75]
.LBB2_7325:                             ;   in Loop: Header=BB2_7317 Depth=3
	s_or_b64 exec, exec, s[72:73]
.LBB2_7326:                             ;   in Loop: Header=BB2_7317 Depth=3
	s_or_b64 exec, exec, s[70:71]
	s_waitcnt vmcnt(0)
	v_cmp_ne_u16_sdwa vcc, sext(v8), v51 src0_sel:BYTE_0 src1_sel:DWORD
	s_and_saveexec_b64 s[70:71], vcc
	s_cbranch_execz .LBB2_7334
; %bb.7327:                             ;   in Loop: Header=BB2_7317 Depth=3
	v_cmp_ne_u16_sdwa vcc, sext(v8), s94 src0_sel:BYTE_0 src1_sel:DWORD
	v_bfrev_b32_e32 v7, 1
	s_and_saveexec_b64 s[72:73], vcc
	s_cbranch_execz .LBB2_7333
; %bb.7328:                             ;   in Loop: Header=BB2_7317 Depth=3
	v_and_b32_e32 v7, 0x7c, v8
	v_and_b32_e32 v12, 3, v8
	v_cmp_ne_u32_e32 vcc, s95, v7
                                        ; implicit-def: $vgpr7
	s_and_saveexec_b64 s[74:75], vcc
	s_xor_b64 s[74:75], exec, s[74:75]
	s_cbranch_execz .LBB2_7330
; %bb.7329:                             ;   in Loop: Header=BB2_7317 Depth=3
	v_ffbh_u32_e32 v13, v12
	v_min_u32_e32 v13, 32, v13
	v_subrev_u32_e32 v14, 29, v13
	v_bfe_u32 v7, v8, 2, 5
	v_lshlrev_b64 v[14:15], v14, v[8:9]
	v_sub_u32_e32 v13, 30, v13
	v_and_b32_e32 v14, 3, v14
	v_cmp_eq_u32_e32 vcc, 0, v7
	v_cndmask_b32_e32 v7, v7, v13, vcc
	v_cndmask_b32_e32 v12, v12, v14, vcc
	v_bfrev_b32_e32 v14, 28
	v_lshlrev_b32_e32 v13, 24, v8
	v_lshl_add_u32 v7, v7, 23, v14
	v_and_or_b32 v7, v13, s96, v7
	v_lshl_or_b32 v7, v12, 21, v7
                                        ; implicit-def: $vgpr12
.LBB2_7330:                             ;   in Loop: Header=BB2_7317 Depth=3
	s_andn2_saveexec_b64 s[74:75], s[74:75]
; %bb.7331:                             ;   in Loop: Header=BB2_7317 Depth=3
	v_mov_b32_e32 v7, -1
	v_cmp_gt_i16_sdwa vcc, sext(v8), v7 src0_sel:BYTE_0 src1_sel:DWORD
	v_mov_b32_e32 v7, 0xc7600000
	v_mov_b32_e32 v13, 0x47600000
	v_cndmask_b32_e32 v7, v7, v13, vcc
	v_cmp_eq_u32_e32 vcc, 0, v12
	v_mov_b32_e32 v12, 0x7f800001
	v_cndmask_b32_e32 v7, v12, v7, vcc
; %bb.7332:                             ;   in Loop: Header=BB2_7317 Depth=3
	s_or_b64 exec, exec, s[74:75]
.LBB2_7333:                             ;   in Loop: Header=BB2_7317 Depth=3
	s_or_b64 exec, exec, s[72:73]
.LBB2_7334:                             ;   in Loop: Header=BB2_7317 Depth=3
	s_or_b64 exec, exec, s[70:71]
	v_max_f32_e32 v7, v7, v7
	v_max_f32_e32 v0, v0, v0
	;; [unrolled: 1-line block ×3, first 2 shown]
	s_branch .LBB2_7353
.LBB2_7335:                             ;   in Loop: Header=BB2_7317 Depth=3
                                        ; implicit-def: $vgpr7
	s_cbranch_execz .LBB2_7353
; %bb.7336:                             ;   in Loop: Header=BB2_7317 Depth=3
	v_mov_b32_e32 v7, 0
	v_mov_b32_e32 v0, 0
	s_and_saveexec_b64 s[70:71], s[30:31]
	s_cbranch_execz .LBB2_7344
; %bb.7337:                             ;   in Loop: Header=BB2_7317 Depth=3
	v_cmp_ne_u16_sdwa vcc, sext(v20), s94 src0_sel:BYTE_0 src1_sel:DWORD
	v_bfrev_b32_e32 v0, 1
	s_and_saveexec_b64 s[30:31], vcc
	s_cbranch_execz .LBB2_7343
; %bb.7338:                             ;   in Loop: Header=BB2_7317 Depth=3
	v_and_b32_e32 v0, 0x7c, v20
	v_and_b32_e32 v12, 3, v20
	v_cmp_ne_u32_e32 vcc, s95, v0
                                        ; implicit-def: $vgpr0
	s_and_saveexec_b64 s[72:73], vcc
	s_xor_b64 s[72:73], exec, s[72:73]
	s_cbranch_execz .LBB2_7340
; %bb.7339:                             ;   in Loop: Header=BB2_7317 Depth=3
	v_ffbh_u32_e32 v13, v12
	v_min_u32_e32 v13, 32, v13
	v_subrev_u32_e32 v14, 29, v13
	v_bfe_u32 v0, v20, 2, 5
	v_lshlrev_b64 v[14:15], v14, v[20:21]
	v_sub_u32_e32 v13, 30, v13
	v_and_b32_e32 v14, 3, v14
	v_cmp_eq_u32_e32 vcc, 0, v0
	v_cndmask_b32_e32 v0, v0, v13, vcc
	v_cndmask_b32_e32 v12, v12, v14, vcc
	v_bfrev_b32_e32 v14, 28
	v_lshlrev_b32_e32 v13, 24, v20
	v_lshl_add_u32 v0, v0, 23, v14
	v_and_or_b32 v0, v13, s96, v0
	v_lshl_or_b32 v0, v12, 21, v0
                                        ; implicit-def: $vgpr12
.LBB2_7340:                             ;   in Loop: Header=BB2_7317 Depth=3
	s_andn2_saveexec_b64 s[72:73], s[72:73]
; %bb.7341:                             ;   in Loop: Header=BB2_7317 Depth=3
	v_mov_b32_e32 v0, -1
	v_cmp_gt_i16_sdwa vcc, sext(v20), v0 src0_sel:BYTE_0 src1_sel:DWORD
	v_mov_b32_e32 v0, 0xc7600000
	v_mov_b32_e32 v13, 0x47600000
	v_cndmask_b32_e32 v0, v0, v13, vcc
	v_cmp_eq_u32_e32 vcc, 0, v12
	v_mov_b32_e32 v12, 0x7f800001
	v_cndmask_b32_e32 v0, v12, v0, vcc
; %bb.7342:                             ;   in Loop: Header=BB2_7317 Depth=3
	s_or_b64 exec, exec, s[72:73]
.LBB2_7343:                             ;   in Loop: Header=BB2_7317 Depth=3
	s_or_b64 exec, exec, s[30:31]
.LBB2_7344:                             ;   in Loop: Header=BB2_7317 Depth=3
	s_or_b64 exec, exec, s[70:71]
	s_waitcnt vmcnt(0)
	v_cmp_ne_u16_sdwa vcc, sext(v8), v51 src0_sel:BYTE_0 src1_sel:DWORD
	s_and_saveexec_b64 s[30:31], vcc
	s_cbranch_execz .LBB2_7352
; %bb.7345:                             ;   in Loop: Header=BB2_7317 Depth=3
	v_cmp_ne_u16_sdwa vcc, sext(v8), s94 src0_sel:BYTE_0 src1_sel:DWORD
	v_bfrev_b32_e32 v7, 1
	s_and_saveexec_b64 s[70:71], vcc
	s_cbranch_execz .LBB2_7351
; %bb.7346:                             ;   in Loop: Header=BB2_7317 Depth=3
	v_and_b32_e32 v7, 0x7c, v8
	v_and_b32_e32 v12, 3, v8
	v_cmp_ne_u32_e32 vcc, s95, v7
                                        ; implicit-def: $vgpr7
	s_and_saveexec_b64 s[72:73], vcc
	s_xor_b64 s[72:73], exec, s[72:73]
	s_cbranch_execz .LBB2_7348
; %bb.7347:                             ;   in Loop: Header=BB2_7317 Depth=3
	v_ffbh_u32_e32 v13, v12
	v_min_u32_e32 v13, 32, v13
	v_subrev_u32_e32 v14, 29, v13
	v_bfe_u32 v7, v8, 2, 5
	v_lshlrev_b64 v[14:15], v14, v[8:9]
	v_sub_u32_e32 v13, 30, v13
	v_and_b32_e32 v14, 3, v14
	v_cmp_eq_u32_e32 vcc, 0, v7
	v_cndmask_b32_e32 v7, v7, v13, vcc
	v_cndmask_b32_e32 v12, v12, v14, vcc
	v_bfrev_b32_e32 v14, 28
	v_lshlrev_b32_e32 v13, 24, v8
	v_lshl_add_u32 v7, v7, 23, v14
	v_and_or_b32 v7, v13, s96, v7
	v_lshl_or_b32 v7, v12, 21, v7
                                        ; implicit-def: $vgpr12
.LBB2_7348:                             ;   in Loop: Header=BB2_7317 Depth=3
	s_andn2_saveexec_b64 s[72:73], s[72:73]
; %bb.7349:                             ;   in Loop: Header=BB2_7317 Depth=3
	v_mov_b32_e32 v7, -1
	v_cmp_gt_i16_sdwa vcc, sext(v8), v7 src0_sel:BYTE_0 src1_sel:DWORD
	v_mov_b32_e32 v7, 0xc7600000
	v_mov_b32_e32 v13, 0x47600000
	v_cndmask_b32_e32 v7, v7, v13, vcc
	v_cmp_eq_u32_e32 vcc, 0, v12
	v_mov_b32_e32 v12, 0x7f800001
	v_cndmask_b32_e32 v7, v12, v7, vcc
; %bb.7350:                             ;   in Loop: Header=BB2_7317 Depth=3
	s_or_b64 exec, exec, s[72:73]
.LBB2_7351:                             ;   in Loop: Header=BB2_7317 Depth=3
	s_or_b64 exec, exec, s[70:71]
.LBB2_7352:                             ;   in Loop: Header=BB2_7317 Depth=3
	s_or_b64 exec, exec, s[30:31]
	v_max_f32_e32 v7, v7, v7
	v_max_f32_e32 v0, v0, v0
	v_min_f32_e32 v7, v0, v7
.LBB2_7353:                             ;   in Loop: Header=BB2_7317 Depth=3
	v_and_b32_sdwa v0, v7, s97 dst_sel:DWORD dst_unused:UNUSED_PAD src0_sel:BYTE_3 src1_sel:DWORD
	v_and_b32_e32 v12, 0x7f800000, v7
	v_mov_b32_e32 v13, v51
	v_and_b32_e32 v50, 0x7fffff, v7
	v_or_b32_e32 v36, 0x7b, v0
	v_cmp_ne_u64_e32 vcc, s[52:53], v[12:13]
	s_and_saveexec_b64 s[30:31], vcc
	s_xor_b64 s[70:71], exec, s[30:31]
	s_cbranch_execz .LBB2_7363
; %bb.7354:                             ;   in Loop: Header=BB2_7317 Depth=3
	v_and_b32_e32 v12, 0x7fffffff, v7
	v_mov_b32_e32 v13, v51
	v_cmp_gt_u64_e32 vcc, s[54:55], v[12:13]
	s_and_saveexec_b64 s[72:73], vcc
	s_cbranch_execz .LBB2_7362
; %bb.7355:                             ;   in Loop: Header=BB2_7317 Depth=3
	v_cmp_ne_u32_e32 vcc, 0, v7
	v_mov_b32_e32 v36, 0
	s_and_saveexec_b64 s[74:75], vcc
	s_cbranch_execz .LBB2_7361
; %bb.7356:                             ;   in Loop: Header=BB2_7317 Depth=3
	v_bfe_u32 v7, v7, 23, 8
	v_sub_u32_e32 v13, 0x71, v7
	v_cmp_gt_u32_e32 vcc, s38, v7
	v_add_u32_e32 v12, 0xffffff81, v7
	v_cndmask_b32_e32 v13, 0, v13, vcc
	v_cmp_eq_u32_e32 vcc, 0, v7
	v_mov_b32_e32 v7, 0xffffff82
	v_cndmask_b32_e32 v7, v12, v7, vcc
	v_mov_b32_e32 v12, 0x70
	v_or_b32_e32 v14, 0x800000, v50
	v_cndmask_b32_e32 v15, v13, v12, vcc
	v_cndmask_b32_e32 v50, v14, v50, vcc
	v_add_u32_e32 v12, 21, v15
	v_lshlrev_b64 v[12:13], v12, -1
	v_add_u32_e32 v14, 20, v15
	v_lshrrev_b64 v[30:31], v15, v[50:51]
	v_not_b32_e32 v13, v13
	v_not_b32_e32 v12, v12
	v_lshlrev_b64 v[26:27], v14, 1
	v_lshrrev_b32_e32 v14, 23, v30
	v_and_b32_e32 v13, 0, v13
	v_and_b32_e32 v12, v50, v12
	v_add3_u32 v15, v15, v7, v14
	v_bfe_u32 v7, v30, 21, 1
	v_add_u32_e32 v7, -1, v7
	v_cmp_eq_u64_e32 vcc, v[12:13], v[26:27]
	v_cndmask_b32_e32 v7, 0, v7, vcc
	v_add_u32_e32 v7, v7, v30
	v_and_b32_e32 v7, 0x1fffff, v7
	v_add_co_u32_e32 v12, vcc, v7, v30
	v_add_u32_e32 v14, 14, v15
	v_addc_co_u32_e32 v13, vcc, 0, v31, vcc
	v_cmp_ne_u32_e32 vcc, 0, v14
                                        ; implicit-def: $vgpr7
	s_and_saveexec_b64 s[30:31], vcc
	s_xor_b64 s[30:31], exec, s[30:31]
; %bb.7357:                             ;   in Loop: Header=BB2_7317 Depth=3
	v_add_u32_e32 v7, 15, v15
	v_cmp_lt_u64_e32 vcc, s[56:57], v[12:13]
	v_cndmask_b32_e32 v7, v14, v7, vcc
	v_cndmask_b32_e64 v14, 0, 1, vcc
	v_lshrrev_b64 v[12:13], v14, v[12:13]
; %bb.7358:                             ;   in Loop: Header=BB2_7317 Depth=3
	s_andn2_saveexec_b64 vcc, s[30:31]
; %bb.7359:                             ;   in Loop: Header=BB2_7317 Depth=3
	v_bfe_u32 v7, v12, 23, 1
; %bb.7360:                             ;   in Loop: Header=BB2_7317 Depth=3
	s_or_b64 exec, exec, vcc
	v_lshrrev_b64 v[12:13], 21, v[12:13]
	v_cmp_gt_i32_e32 vcc, 32, v7
	v_cndmask_b32_e32 v13, 0, v13, vcc
	v_cndmask_b32_e32 v12, 3, v12, vcc
	v_cmp_eq_u32_e32 vcc, 0, v7
	v_min_i32_e32 v7, 31, v7
	v_cmp_eq_u64_e64 s[30:31], 0, v[12:13]
	v_lshlrev_b32_e32 v7, 2, v7
	v_and_or_b32 v7, v12, 3, v7
	s_and_b64 vcc, vcc, s[30:31]
	v_cndmask_b32_e64 v7, v7, 0, vcc
	v_or_b32_e32 v36, v7, v0
.LBB2_7361:                             ;   in Loop: Header=BB2_7317 Depth=3
	s_or_b64 exec, exec, s[74:75]
.LBB2_7362:                             ;   in Loop: Header=BB2_7317 Depth=3
	s_or_b64 exec, exec, s[72:73]
                                        ; implicit-def: $vgpr7
.LBB2_7363:                             ;   in Loop: Header=BB2_7317 Depth=3
	s_andn2_saveexec_b64 s[30:31], s[70:71]
; %bb.7364:                             ;   in Loop: Header=BB2_7317 Depth=3
	v_or_b32_sdwa v0, v7, s39 dst_sel:DWORD dst_unused:UNUSED_PAD src0_sel:BYTE_3 src1_sel:DWORD
	v_cmp_eq_u64_e32 vcc, 0, v[50:51]
	v_cndmask_b32_e32 v36, v0, v36, vcc
; %bb.7365:                             ;   in Loop: Header=BB2_7317 Depth=3
	s_or_b64 exec, exec, s[30:31]
	v_lshrrev_b16_e32 v50, 8, v20
	s_waitcnt vmcnt(0)
	v_lshrrev_b16_e32 v12, 8, v8
	v_cmp_ne_u16_e64 s[30:31], 0, v50
	s_and_b64 vcc, exec, s[68:69]
	s_cbranch_vccz .LBB2_7383
; %bb.7366:                             ;   in Loop: Header=BB2_7317 Depth=3
	v_mov_b32_e32 v7, 0
	v_mov_b32_e32 v0, 0
	s_and_saveexec_b64 s[70:71], s[30:31]
	s_cbranch_execz .LBB2_7374
; %bb.7367:                             ;   in Loop: Header=BB2_7317 Depth=3
	v_cmp_ne_u16_e32 vcc, s97, v50
	v_bfrev_b32_e32 v0, 1
	s_and_saveexec_b64 s[72:73], vcc
	s_cbranch_execz .LBB2_7373
; %bb.7368:                             ;   in Loop: Header=BB2_7317 Depth=3
	v_and_b32_e32 v0, 0x7c, v50
	v_and_b32_e32 v13, 3, v50
	v_cmp_ne_u32_e32 vcc, s95, v0
                                        ; implicit-def: $vgpr0
	s_and_saveexec_b64 s[74:75], vcc
	s_xor_b64 s[74:75], exec, s[74:75]
	s_cbranch_execz .LBB2_7370
; %bb.7369:                             ;   in Loop: Header=BB2_7317 Depth=3
	v_ffbh_u32_e32 v14, v13
	v_min_u32_e32 v24, 32, v14
	v_subrev_u32_e32 v14, 29, v24
	v_bfe_u32 v0, v50, 2, 5
	v_lshlrev_b64 v[14:15], v14, v[50:51]
	v_sub_u32_e32 v15, 30, v24
	v_cmp_eq_u32_e32 vcc, 0, v0
	v_and_b32_e32 v14, 3, v14
	v_cndmask_b32_e32 v0, v0, v15, vcc
	v_bfrev_b32_e32 v15, 28
	v_cndmask_b32_e32 v13, v13, v14, vcc
	v_lshlrev_b32_e32 v14, 16, v20
	v_lshl_add_u32 v0, v0, 23, v15
	v_and_or_b32 v0, v14, s96, v0
	v_lshl_or_b32 v0, v13, 21, v0
                                        ; implicit-def: $vgpr13
.LBB2_7370:                             ;   in Loop: Header=BB2_7317 Depth=3
	s_andn2_saveexec_b64 s[74:75], s[74:75]
; %bb.7371:                             ;   in Loop: Header=BB2_7317 Depth=3
	v_cmp_lt_i16_e32 vcc, -1, v20
	v_mov_b32_e32 v0, 0xc7600000
	v_mov_b32_e32 v14, 0x47600000
	v_cndmask_b32_e32 v0, v0, v14, vcc
	v_cmp_eq_u32_e32 vcc, 0, v13
	v_mov_b32_e32 v13, 0x7f800001
	v_cndmask_b32_e32 v0, v13, v0, vcc
; %bb.7372:                             ;   in Loop: Header=BB2_7317 Depth=3
	s_or_b64 exec, exec, s[74:75]
.LBB2_7373:                             ;   in Loop: Header=BB2_7317 Depth=3
	s_or_b64 exec, exec, s[72:73]
.LBB2_7374:                             ;   in Loop: Header=BB2_7317 Depth=3
	s_or_b64 exec, exec, s[70:71]
	v_cmp_ne_u16_e32 vcc, 0, v12
	s_and_saveexec_b64 s[70:71], vcc
	s_cbranch_execz .LBB2_7382
; %bb.7375:                             ;   in Loop: Header=BB2_7317 Depth=3
	v_cmp_ne_u16_e32 vcc, s97, v12
	v_bfrev_b32_e32 v7, 1
	s_and_saveexec_b64 s[72:73], vcc
	s_cbranch_execz .LBB2_7381
; %bb.7376:                             ;   in Loop: Header=BB2_7317 Depth=3
	v_and_b32_e32 v7, 0x7c, v12
	v_and_b32_e32 v14, 3, v12
	v_cmp_ne_u32_e32 vcc, s95, v7
                                        ; implicit-def: $vgpr7
	s_and_saveexec_b64 s[74:75], vcc
	s_xor_b64 s[74:75], exec, s[74:75]
	s_cbranch_execz .LBB2_7378
; %bb.7377:                             ;   in Loop: Header=BB2_7317 Depth=3
	v_ffbh_u32_e32 v15, v14
	v_min_u32_e32 v15, 32, v15
	v_mov_b32_e32 v13, v51
	v_subrev_u32_e32 v24, 29, v15
	v_bfe_u32 v7, v12, 2, 5
	v_lshlrev_b64 v[26:27], v24, v[12:13]
	v_sub_u32_e32 v13, 30, v15
	v_and_b32_e32 v15, 3, v26
	v_cmp_eq_u32_e32 vcc, 0, v7
	v_cndmask_b32_e32 v7, v7, v13, vcc
	v_cndmask_b32_e32 v13, v14, v15, vcc
	v_bfrev_b32_e32 v15, 28
	v_lshlrev_b32_e32 v14, 16, v8
	v_lshl_add_u32 v7, v7, 23, v15
	v_and_or_b32 v7, v14, s96, v7
	v_lshl_or_b32 v7, v13, 21, v7
                                        ; implicit-def: $vgpr14
.LBB2_7378:                             ;   in Loop: Header=BB2_7317 Depth=3
	s_andn2_saveexec_b64 s[74:75], s[74:75]
; %bb.7379:                             ;   in Loop: Header=BB2_7317 Depth=3
	v_cmp_lt_i16_e32 vcc, -1, v8
	v_mov_b32_e32 v7, 0xc7600000
	v_mov_b32_e32 v13, 0x47600000
	v_cndmask_b32_e32 v7, v7, v13, vcc
	v_cmp_eq_u32_e32 vcc, 0, v14
	v_mov_b32_e32 v13, 0x7f800001
	v_cndmask_b32_e32 v7, v13, v7, vcc
; %bb.7380:                             ;   in Loop: Header=BB2_7317 Depth=3
	s_or_b64 exec, exec, s[74:75]
.LBB2_7381:                             ;   in Loop: Header=BB2_7317 Depth=3
	s_or_b64 exec, exec, s[72:73]
.LBB2_7382:                             ;   in Loop: Header=BB2_7317 Depth=3
	s_or_b64 exec, exec, s[70:71]
	v_max_f32_e32 v7, v7, v7
	v_max_f32_e32 v0, v0, v0
	;; [unrolled: 1-line block ×3, first 2 shown]
	s_branch .LBB2_7401
.LBB2_7383:                             ;   in Loop: Header=BB2_7317 Depth=3
                                        ; implicit-def: $vgpr7
	s_cbranch_execz .LBB2_7401
; %bb.7384:                             ;   in Loop: Header=BB2_7317 Depth=3
	v_mov_b32_e32 v7, 0
	v_mov_b32_e32 v0, 0
	s_and_saveexec_b64 s[70:71], s[30:31]
	s_cbranch_execz .LBB2_7392
; %bb.7385:                             ;   in Loop: Header=BB2_7317 Depth=3
	v_cmp_ne_u16_e32 vcc, s97, v50
	v_bfrev_b32_e32 v0, 1
	s_and_saveexec_b64 s[30:31], vcc
	s_cbranch_execz .LBB2_7391
; %bb.7386:                             ;   in Loop: Header=BB2_7317 Depth=3
	v_and_b32_e32 v0, 0x7c, v50
	v_and_b32_e32 v13, 3, v50
	v_cmp_ne_u32_e32 vcc, s95, v0
                                        ; implicit-def: $vgpr0
	s_and_saveexec_b64 s[72:73], vcc
	s_xor_b64 s[72:73], exec, s[72:73]
	s_cbranch_execz .LBB2_7388
; %bb.7387:                             ;   in Loop: Header=BB2_7317 Depth=3
	v_ffbh_u32_e32 v14, v13
	v_min_u32_e32 v24, 32, v14
	v_subrev_u32_e32 v14, 29, v24
	v_bfe_u32 v0, v50, 2, 5
	v_lshlrev_b64 v[14:15], v14, v[50:51]
	v_sub_u32_e32 v15, 30, v24
	v_cmp_eq_u32_e32 vcc, 0, v0
	v_and_b32_e32 v14, 3, v14
	v_cndmask_b32_e32 v0, v0, v15, vcc
	v_bfrev_b32_e32 v15, 28
	v_cndmask_b32_e32 v13, v13, v14, vcc
	v_lshlrev_b32_e32 v14, 16, v20
	v_lshl_add_u32 v0, v0, 23, v15
	v_and_or_b32 v0, v14, s96, v0
	v_lshl_or_b32 v0, v13, 21, v0
                                        ; implicit-def: $vgpr13
.LBB2_7388:                             ;   in Loop: Header=BB2_7317 Depth=3
	s_andn2_saveexec_b64 s[72:73], s[72:73]
; %bb.7389:                             ;   in Loop: Header=BB2_7317 Depth=3
	v_cmp_lt_i16_e32 vcc, -1, v20
	v_mov_b32_e32 v0, 0xc7600000
	v_mov_b32_e32 v14, 0x47600000
	v_cndmask_b32_e32 v0, v0, v14, vcc
	v_cmp_eq_u32_e32 vcc, 0, v13
	v_mov_b32_e32 v13, 0x7f800001
	v_cndmask_b32_e32 v0, v13, v0, vcc
; %bb.7390:                             ;   in Loop: Header=BB2_7317 Depth=3
	s_or_b64 exec, exec, s[72:73]
.LBB2_7391:                             ;   in Loop: Header=BB2_7317 Depth=3
	s_or_b64 exec, exec, s[30:31]
.LBB2_7392:                             ;   in Loop: Header=BB2_7317 Depth=3
	s_or_b64 exec, exec, s[70:71]
	v_cmp_ne_u16_e32 vcc, 0, v12
	s_and_saveexec_b64 s[30:31], vcc
	s_cbranch_execz .LBB2_7400
; %bb.7393:                             ;   in Loop: Header=BB2_7317 Depth=3
	v_cmp_ne_u16_e32 vcc, s97, v12
	v_bfrev_b32_e32 v7, 1
	s_and_saveexec_b64 s[70:71], vcc
	s_cbranch_execz .LBB2_7399
; %bb.7394:                             ;   in Loop: Header=BB2_7317 Depth=3
	v_and_b32_e32 v7, 0x7c, v12
	v_and_b32_e32 v14, 3, v12
	v_cmp_ne_u32_e32 vcc, s95, v7
                                        ; implicit-def: $vgpr7
	s_and_saveexec_b64 s[72:73], vcc
	s_xor_b64 s[72:73], exec, s[72:73]
	s_cbranch_execz .LBB2_7396
; %bb.7395:                             ;   in Loop: Header=BB2_7317 Depth=3
	v_ffbh_u32_e32 v15, v14
	v_min_u32_e32 v15, 32, v15
	v_mov_b32_e32 v13, v51
	v_subrev_u32_e32 v24, 29, v15
	v_bfe_u32 v7, v12, 2, 5
	v_lshlrev_b64 v[12:13], v24, v[12:13]
	v_sub_u32_e32 v13, 30, v15
	v_and_b32_e32 v12, 3, v12
	v_cmp_eq_u32_e32 vcc, 0, v7
	v_cndmask_b32_e32 v7, v7, v13, vcc
	v_cndmask_b32_e32 v12, v14, v12, vcc
	v_bfrev_b32_e32 v14, 28
	v_lshlrev_b32_e32 v13, 16, v8
	v_lshl_add_u32 v7, v7, 23, v14
	v_and_or_b32 v7, v13, s96, v7
	v_lshl_or_b32 v7, v12, 21, v7
                                        ; implicit-def: $vgpr14
.LBB2_7396:                             ;   in Loop: Header=BB2_7317 Depth=3
	s_andn2_saveexec_b64 s[72:73], s[72:73]
; %bb.7397:                             ;   in Loop: Header=BB2_7317 Depth=3
	v_cmp_lt_i16_e32 vcc, -1, v8
	v_mov_b32_e32 v7, 0xc7600000
	v_mov_b32_e32 v12, 0x47600000
	v_cndmask_b32_e32 v7, v7, v12, vcc
	v_cmp_eq_u32_e32 vcc, 0, v14
	v_mov_b32_e32 v12, 0x7f800001
	v_cndmask_b32_e32 v7, v12, v7, vcc
; %bb.7398:                             ;   in Loop: Header=BB2_7317 Depth=3
	s_or_b64 exec, exec, s[72:73]
.LBB2_7399:                             ;   in Loop: Header=BB2_7317 Depth=3
	s_or_b64 exec, exec, s[70:71]
.LBB2_7400:                             ;   in Loop: Header=BB2_7317 Depth=3
	s_or_b64 exec, exec, s[30:31]
	v_max_f32_e32 v7, v7, v7
	v_max_f32_e32 v0, v0, v0
	v_min_f32_e32 v7, v0, v7
.LBB2_7401:                             ;   in Loop: Header=BB2_7317 Depth=3
	v_and_b32_sdwa v0, v7, s97 dst_sel:DWORD dst_unused:UNUSED_PAD src0_sel:BYTE_3 src1_sel:DWORD
	v_and_b32_e32 v12, 0x7f800000, v7
	v_mov_b32_e32 v13, v51
	v_and_b32_e32 v50, 0x7fffff, v7
	v_or_b32_e32 v37, 0x7b, v0
	v_cmp_ne_u64_e32 vcc, s[52:53], v[12:13]
	s_and_saveexec_b64 s[30:31], vcc
	s_xor_b64 s[70:71], exec, s[30:31]
	s_cbranch_execz .LBB2_7411
; %bb.7402:                             ;   in Loop: Header=BB2_7317 Depth=3
	v_and_b32_e32 v12, 0x7fffffff, v7
	v_mov_b32_e32 v13, v51
	v_cmp_gt_u64_e32 vcc, s[54:55], v[12:13]
	s_and_saveexec_b64 s[72:73], vcc
	s_cbranch_execz .LBB2_7410
; %bb.7403:                             ;   in Loop: Header=BB2_7317 Depth=3
	v_cmp_ne_u32_e32 vcc, 0, v7
	v_mov_b32_e32 v37, 0
	s_and_saveexec_b64 s[74:75], vcc
	s_cbranch_execz .LBB2_7409
; %bb.7404:                             ;   in Loop: Header=BB2_7317 Depth=3
	v_bfe_u32 v7, v7, 23, 8
	v_sub_u32_e32 v13, 0x71, v7
	v_cmp_gt_u32_e32 vcc, s38, v7
	v_add_u32_e32 v12, 0xffffff81, v7
	v_cndmask_b32_e32 v13, 0, v13, vcc
	v_cmp_eq_u32_e32 vcc, 0, v7
	v_mov_b32_e32 v7, 0xffffff82
	v_cndmask_b32_e32 v7, v12, v7, vcc
	v_mov_b32_e32 v12, 0x70
	v_or_b32_e32 v14, 0x800000, v50
	v_cndmask_b32_e32 v15, v13, v12, vcc
	v_cndmask_b32_e32 v50, v14, v50, vcc
	v_add_u32_e32 v12, 21, v15
	v_lshlrev_b64 v[12:13], v12, -1
	v_add_u32_e32 v14, 20, v15
	v_lshrrev_b64 v[30:31], v15, v[50:51]
	v_not_b32_e32 v13, v13
	v_not_b32_e32 v12, v12
	v_lshlrev_b64 v[26:27], v14, 1
	v_lshrrev_b32_e32 v14, 23, v30
	v_and_b32_e32 v13, 0, v13
	v_and_b32_e32 v12, v50, v12
	v_add3_u32 v15, v15, v7, v14
	v_bfe_u32 v7, v30, 21, 1
	v_add_u32_e32 v7, -1, v7
	v_cmp_eq_u64_e32 vcc, v[12:13], v[26:27]
	v_cndmask_b32_e32 v7, 0, v7, vcc
	v_add_u32_e32 v7, v7, v30
	v_and_b32_e32 v7, 0x1fffff, v7
	v_add_co_u32_e32 v12, vcc, v7, v30
	v_add_u32_e32 v14, 14, v15
	v_addc_co_u32_e32 v13, vcc, 0, v31, vcc
	v_cmp_ne_u32_e32 vcc, 0, v14
                                        ; implicit-def: $vgpr7
	s_and_saveexec_b64 s[30:31], vcc
	s_xor_b64 s[30:31], exec, s[30:31]
; %bb.7405:                             ;   in Loop: Header=BB2_7317 Depth=3
	v_add_u32_e32 v7, 15, v15
	v_cmp_lt_u64_e32 vcc, s[56:57], v[12:13]
	v_cndmask_b32_e32 v7, v14, v7, vcc
	v_cndmask_b32_e64 v14, 0, 1, vcc
	v_lshrrev_b64 v[12:13], v14, v[12:13]
; %bb.7406:                             ;   in Loop: Header=BB2_7317 Depth=3
	s_andn2_saveexec_b64 vcc, s[30:31]
; %bb.7407:                             ;   in Loop: Header=BB2_7317 Depth=3
	v_bfe_u32 v7, v12, 23, 1
; %bb.7408:                             ;   in Loop: Header=BB2_7317 Depth=3
	s_or_b64 exec, exec, vcc
	v_lshrrev_b64 v[12:13], 21, v[12:13]
	v_cmp_gt_i32_e32 vcc, 32, v7
	v_cndmask_b32_e32 v13, 0, v13, vcc
	v_cndmask_b32_e32 v12, 3, v12, vcc
	v_cmp_eq_u32_e32 vcc, 0, v7
	v_min_i32_e32 v7, 31, v7
	v_cmp_eq_u64_e64 s[30:31], 0, v[12:13]
	v_lshlrev_b32_e32 v7, 2, v7
	v_and_or_b32 v7, v12, 3, v7
	s_and_b64 vcc, vcc, s[30:31]
	v_cndmask_b32_e64 v7, v7, 0, vcc
	v_or_b32_e32 v37, v7, v0
.LBB2_7409:                             ;   in Loop: Header=BB2_7317 Depth=3
	s_or_b64 exec, exec, s[74:75]
.LBB2_7410:                             ;   in Loop: Header=BB2_7317 Depth=3
	s_or_b64 exec, exec, s[72:73]
                                        ; implicit-def: $vgpr7
.LBB2_7411:                             ;   in Loop: Header=BB2_7317 Depth=3
	s_andn2_saveexec_b64 s[30:31], s[70:71]
; %bb.7412:                             ;   in Loop: Header=BB2_7317 Depth=3
	v_or_b32_sdwa v0, v7, s39 dst_sel:DWORD dst_unused:UNUSED_PAD src0_sel:BYTE_3 src1_sel:DWORD
	v_cmp_eq_u64_e32 vcc, 0, v[50:51]
	v_cndmask_b32_e32 v37, v0, v37, vcc
; %bb.7413:                             ;   in Loop: Header=BB2_7317 Depth=3
	s_or_b64 exec, exec, s[30:31]
	v_lshrrev_b32_e32 v14, 16, v20
	v_lshrrev_b32_e32 v12, 16, v8
	v_cmp_ne_u16_sdwa s[30:31], v14, v51 src0_sel:BYTE_0 src1_sel:DWORD
	s_and_b64 vcc, exec, s[68:69]
	s_cbranch_vccz .LBB2_7431
; %bb.7414:                             ;   in Loop: Header=BB2_7317 Depth=3
	v_mov_b32_e32 v7, 0
	v_mov_b32_e32 v0, 0
	s_and_saveexec_b64 s[70:71], s[30:31]
	s_cbranch_execz .LBB2_7422
; %bb.7415:                             ;   in Loop: Header=BB2_7317 Depth=3
	v_cmp_ne_u16_sdwa vcc, v14, s97 src0_sel:BYTE_0 src1_sel:DWORD
	v_bfrev_b32_e32 v0, 1
	s_and_saveexec_b64 s[72:73], vcc
	s_cbranch_execz .LBB2_7421
; %bb.7416:                             ;   in Loop: Header=BB2_7317 Depth=3
	v_and_b32_e32 v0, 0x7c0000, v20
	v_bfe_u32 v13, v20, 16, 2
	v_cmp_ne_u32_e32 vcc, s36, v0
                                        ; implicit-def: $vgpr0
	s_and_saveexec_b64 s[74:75], vcc
	s_xor_b64 s[74:75], exec, s[74:75]
	s_cbranch_execz .LBB2_7418
; %bb.7417:                             ;   in Loop: Header=BB2_7317 Depth=3
	v_ffbh_u32_e32 v15, v13
	v_min_u32_e32 v15, 32, v15
	v_subrev_u32_e32 v24, 29, v15
	v_bfe_u32 v0, v20, 18, 5
	v_lshlrev_b64 v[26:27], v24, v[14:15]
	v_sub_u32_e32 v15, 30, v15
	v_and_b32_e32 v24, 3, v26
	v_cmp_eq_u32_e32 vcc, 0, v0
	v_cndmask_b32_e32 v0, v0, v15, vcc
	v_cndmask_b32_e32 v13, v13, v24, vcc
	v_bfrev_b32_e32 v24, 28
	v_lshlrev_b32_e32 v15, 24, v14
	v_lshl_add_u32 v0, v0, 23, v24
	v_and_or_b32 v0, v15, s96, v0
	v_lshl_or_b32 v0, v13, 21, v0
                                        ; implicit-def: $vgpr13
.LBB2_7418:                             ;   in Loop: Header=BB2_7317 Depth=3
	s_andn2_saveexec_b64 s[74:75], s[74:75]
; %bb.7419:                             ;   in Loop: Header=BB2_7317 Depth=3
	v_mov_b32_e32 v0, -1
	v_cmp_gt_i16_sdwa vcc, sext(v14), v0 src0_sel:BYTE_0 src1_sel:DWORD
	v_mov_b32_e32 v0, 0xc7600000
	v_mov_b32_e32 v15, 0x47600000
	v_cndmask_b32_e32 v0, v0, v15, vcc
	v_cmp_eq_u32_e32 vcc, 0, v13
	v_mov_b32_e32 v13, 0x7f800001
	v_cndmask_b32_e32 v0, v13, v0, vcc
; %bb.7420:                             ;   in Loop: Header=BB2_7317 Depth=3
	s_or_b64 exec, exec, s[74:75]
.LBB2_7421:                             ;   in Loop: Header=BB2_7317 Depth=3
	s_or_b64 exec, exec, s[72:73]
.LBB2_7422:                             ;   in Loop: Header=BB2_7317 Depth=3
	s_or_b64 exec, exec, s[70:71]
	v_cmp_ne_u16_sdwa vcc, v12, v51 src0_sel:BYTE_0 src1_sel:DWORD
	s_and_saveexec_b64 s[70:71], vcc
	s_cbranch_execz .LBB2_7430
; %bb.7423:                             ;   in Loop: Header=BB2_7317 Depth=3
	v_cmp_ne_u16_sdwa vcc, v12, s97 src0_sel:BYTE_0 src1_sel:DWORD
	v_bfrev_b32_e32 v7, 1
	s_and_saveexec_b64 s[72:73], vcc
	s_cbranch_execz .LBB2_7429
; %bb.7424:                             ;   in Loop: Header=BB2_7317 Depth=3
	v_and_b32_e32 v7, 0x7c0000, v8
	v_bfe_u32 v13, v8, 16, 2
	v_cmp_ne_u32_e32 vcc, s36, v7
                                        ; implicit-def: $vgpr7
	s_and_saveexec_b64 s[74:75], vcc
	s_xor_b64 s[74:75], exec, s[74:75]
	s_cbranch_execz .LBB2_7426
; %bb.7425:                             ;   in Loop: Header=BB2_7317 Depth=3
	v_ffbh_u32_e32 v15, v13
	v_min_u32_e32 v15, 32, v15
	v_subrev_u32_e32 v24, 29, v15
	v_bfe_u32 v7, v8, 18, 5
	v_lshlrev_b64 v[26:27], v24, v[12:13]
	v_sub_u32_e32 v15, 30, v15
	v_and_b32_e32 v24, 3, v26
	v_cmp_eq_u32_e32 vcc, 0, v7
	v_cndmask_b32_e32 v7, v7, v15, vcc
	v_cndmask_b32_e32 v13, v13, v24, vcc
	v_bfrev_b32_e32 v24, 28
	v_lshlrev_b32_e32 v15, 24, v12
	v_lshl_add_u32 v7, v7, 23, v24
	v_and_or_b32 v7, v15, s96, v7
	v_lshl_or_b32 v7, v13, 21, v7
                                        ; implicit-def: $vgpr13
.LBB2_7426:                             ;   in Loop: Header=BB2_7317 Depth=3
	s_andn2_saveexec_b64 s[74:75], s[74:75]
; %bb.7427:                             ;   in Loop: Header=BB2_7317 Depth=3
	v_mov_b32_e32 v7, -1
	v_cmp_gt_i16_sdwa vcc, sext(v12), v7 src0_sel:BYTE_0 src1_sel:DWORD
	v_mov_b32_e32 v7, 0xc7600000
	v_mov_b32_e32 v15, 0x47600000
	v_cndmask_b32_e32 v7, v7, v15, vcc
	v_cmp_eq_u32_e32 vcc, 0, v13
	v_mov_b32_e32 v13, 0x7f800001
	v_cndmask_b32_e32 v7, v13, v7, vcc
; %bb.7428:                             ;   in Loop: Header=BB2_7317 Depth=3
	s_or_b64 exec, exec, s[74:75]
.LBB2_7429:                             ;   in Loop: Header=BB2_7317 Depth=3
	s_or_b64 exec, exec, s[72:73]
.LBB2_7430:                             ;   in Loop: Header=BB2_7317 Depth=3
	s_or_b64 exec, exec, s[70:71]
	v_max_f32_e32 v7, v7, v7
	v_max_f32_e32 v0, v0, v0
	;; [unrolled: 1-line block ×3, first 2 shown]
	s_branch .LBB2_7449
.LBB2_7431:                             ;   in Loop: Header=BB2_7317 Depth=3
                                        ; implicit-def: $vgpr7
	s_cbranch_execz .LBB2_7449
; %bb.7432:                             ;   in Loop: Header=BB2_7317 Depth=3
	v_mov_b32_e32 v7, 0
	v_mov_b32_e32 v0, 0
	s_and_saveexec_b64 s[70:71], s[30:31]
	s_cbranch_execz .LBB2_7440
; %bb.7433:                             ;   in Loop: Header=BB2_7317 Depth=3
	v_cmp_ne_u16_sdwa vcc, v14, s97 src0_sel:BYTE_0 src1_sel:DWORD
	v_bfrev_b32_e32 v0, 1
	s_and_saveexec_b64 s[30:31], vcc
	s_cbranch_execz .LBB2_7439
; %bb.7434:                             ;   in Loop: Header=BB2_7317 Depth=3
	v_and_b32_e32 v0, 0x7c0000, v20
	v_bfe_u32 v13, v20, 16, 2
	v_cmp_ne_u32_e32 vcc, s36, v0
                                        ; implicit-def: $vgpr0
	s_and_saveexec_b64 s[72:73], vcc
	s_xor_b64 s[72:73], exec, s[72:73]
	s_cbranch_execz .LBB2_7436
; %bb.7435:                             ;   in Loop: Header=BB2_7317 Depth=3
	v_ffbh_u32_e32 v15, v13
	v_min_u32_e32 v15, 32, v15
	v_bfe_u32 v0, v20, 18, 5
	v_subrev_u32_e32 v24, 29, v15
	v_lshlrev_b64 v[26:27], v24, v[14:15]
	v_sub_u32_e32 v15, 30, v15
	v_cmp_eq_u32_e32 vcc, 0, v0
	v_cndmask_b32_e32 v0, v0, v15, vcc
	v_bfrev_b32_e32 v15, 28
	v_and_b32_e32 v24, 3, v26
	v_lshlrev_b32_e32 v14, 24, v14
	v_lshl_add_u32 v0, v0, 23, v15
	v_cndmask_b32_e32 v13, v13, v24, vcc
	v_and_or_b32 v0, v14, s96, v0
	v_lshl_or_b32 v0, v13, 21, v0
                                        ; implicit-def: $vgpr13
                                        ; implicit-def: $vgpr14
.LBB2_7436:                             ;   in Loop: Header=BB2_7317 Depth=3
	s_andn2_saveexec_b64 s[72:73], s[72:73]
; %bb.7437:                             ;   in Loop: Header=BB2_7317 Depth=3
	v_mov_b32_e32 v0, -1
	v_cmp_gt_i16_sdwa vcc, sext(v14), v0 src0_sel:BYTE_0 src1_sel:DWORD
	v_mov_b32_e32 v0, 0xc7600000
	v_mov_b32_e32 v14, 0x47600000
	v_cndmask_b32_e32 v0, v0, v14, vcc
	v_cmp_eq_u32_e32 vcc, 0, v13
	v_mov_b32_e32 v13, 0x7f800001
	v_cndmask_b32_e32 v0, v13, v0, vcc
; %bb.7438:                             ;   in Loop: Header=BB2_7317 Depth=3
	s_or_b64 exec, exec, s[72:73]
.LBB2_7439:                             ;   in Loop: Header=BB2_7317 Depth=3
	s_or_b64 exec, exec, s[30:31]
.LBB2_7440:                             ;   in Loop: Header=BB2_7317 Depth=3
	s_or_b64 exec, exec, s[70:71]
	v_cmp_ne_u16_sdwa vcc, v12, v51 src0_sel:BYTE_0 src1_sel:DWORD
	s_and_saveexec_b64 s[30:31], vcc
	s_cbranch_execz .LBB2_7448
; %bb.7441:                             ;   in Loop: Header=BB2_7317 Depth=3
	v_cmp_ne_u16_sdwa vcc, v12, s97 src0_sel:BYTE_0 src1_sel:DWORD
	v_bfrev_b32_e32 v7, 1
	s_and_saveexec_b64 s[70:71], vcc
	s_cbranch_execz .LBB2_7447
; %bb.7442:                             ;   in Loop: Header=BB2_7317 Depth=3
	v_and_b32_e32 v7, 0x7c0000, v8
	v_bfe_u32 v13, v8, 16, 2
	v_cmp_ne_u32_e32 vcc, s36, v7
                                        ; implicit-def: $vgpr7
	s_and_saveexec_b64 s[72:73], vcc
	s_xor_b64 s[72:73], exec, s[72:73]
	s_cbranch_execz .LBB2_7444
; %bb.7443:                             ;   in Loop: Header=BB2_7317 Depth=3
	v_ffbh_u32_e32 v14, v13
	v_min_u32_e32 v24, 32, v14
	v_subrev_u32_e32 v14, 29, v24
	v_bfe_u32 v7, v8, 18, 5
	v_lshlrev_b64 v[14:15], v14, v[12:13]
	v_sub_u32_e32 v15, 30, v24
	v_and_b32_e32 v14, 3, v14
	v_cmp_eq_u32_e32 vcc, 0, v7
	v_cndmask_b32_e32 v7, v7, v15, vcc
	v_cndmask_b32_e32 v13, v13, v14, vcc
	v_bfrev_b32_e32 v14, 28
	v_lshlrev_b32_e32 v12, 24, v12
	v_lshl_add_u32 v7, v7, 23, v14
	v_and_or_b32 v7, v12, s96, v7
	v_lshl_or_b32 v7, v13, 21, v7
                                        ; implicit-def: $vgpr13
                                        ; implicit-def: $vgpr12
.LBB2_7444:                             ;   in Loop: Header=BB2_7317 Depth=3
	s_andn2_saveexec_b64 s[72:73], s[72:73]
; %bb.7445:                             ;   in Loop: Header=BB2_7317 Depth=3
	v_mov_b32_e32 v7, -1
	v_cmp_gt_i16_sdwa vcc, sext(v12), v7 src0_sel:BYTE_0 src1_sel:DWORD
	v_mov_b32_e32 v7, 0xc7600000
	v_mov_b32_e32 v12, 0x47600000
	v_cndmask_b32_e32 v7, v7, v12, vcc
	v_cmp_eq_u32_e32 vcc, 0, v13
	v_mov_b32_e32 v12, 0x7f800001
	v_cndmask_b32_e32 v7, v12, v7, vcc
; %bb.7446:                             ;   in Loop: Header=BB2_7317 Depth=3
	s_or_b64 exec, exec, s[72:73]
.LBB2_7447:                             ;   in Loop: Header=BB2_7317 Depth=3
	s_or_b64 exec, exec, s[70:71]
.LBB2_7448:                             ;   in Loop: Header=BB2_7317 Depth=3
	s_or_b64 exec, exec, s[30:31]
	v_max_f32_e32 v7, v7, v7
	v_max_f32_e32 v0, v0, v0
	v_min_f32_e32 v7, v0, v7
.LBB2_7449:                             ;   in Loop: Header=BB2_7317 Depth=3
	v_and_b32_sdwa v0, v7, s97 dst_sel:DWORD dst_unused:UNUSED_PAD src0_sel:BYTE_3 src1_sel:DWORD
	v_and_b32_e32 v12, 0x7f800000, v7
	v_mov_b32_e32 v13, v51
	v_and_b32_e32 v50, 0x7fffff, v7
	v_or_b32_e32 v38, 0x7b, v0
	v_cmp_ne_u64_e32 vcc, s[52:53], v[12:13]
	s_and_saveexec_b64 s[30:31], vcc
	s_xor_b64 s[70:71], exec, s[30:31]
	s_cbranch_execz .LBB2_7459
; %bb.7450:                             ;   in Loop: Header=BB2_7317 Depth=3
	v_and_b32_e32 v12, 0x7fffffff, v7
	v_mov_b32_e32 v13, v51
	v_cmp_gt_u64_e32 vcc, s[54:55], v[12:13]
	s_and_saveexec_b64 s[72:73], vcc
	s_cbranch_execz .LBB2_7458
; %bb.7451:                             ;   in Loop: Header=BB2_7317 Depth=3
	v_cmp_ne_u32_e32 vcc, 0, v7
	v_mov_b32_e32 v38, 0
	s_and_saveexec_b64 s[74:75], vcc
	s_cbranch_execz .LBB2_7457
; %bb.7452:                             ;   in Loop: Header=BB2_7317 Depth=3
	v_bfe_u32 v7, v7, 23, 8
	v_sub_u32_e32 v13, 0x71, v7
	v_cmp_gt_u32_e32 vcc, s38, v7
	v_add_u32_e32 v12, 0xffffff81, v7
	v_cndmask_b32_e32 v13, 0, v13, vcc
	v_cmp_eq_u32_e32 vcc, 0, v7
	v_mov_b32_e32 v7, 0xffffff82
	v_cndmask_b32_e32 v7, v12, v7, vcc
	v_mov_b32_e32 v12, 0x70
	v_or_b32_e32 v14, 0x800000, v50
	v_cndmask_b32_e32 v15, v13, v12, vcc
	v_cndmask_b32_e32 v50, v14, v50, vcc
	v_add_u32_e32 v12, 21, v15
	v_lshlrev_b64 v[12:13], v12, -1
	v_add_u32_e32 v14, 20, v15
	v_lshrrev_b64 v[30:31], v15, v[50:51]
	v_not_b32_e32 v13, v13
	v_not_b32_e32 v12, v12
	v_lshlrev_b64 v[26:27], v14, 1
	v_lshrrev_b32_e32 v14, 23, v30
	v_and_b32_e32 v13, 0, v13
	v_and_b32_e32 v12, v50, v12
	v_add3_u32 v15, v15, v7, v14
	v_bfe_u32 v7, v30, 21, 1
	v_add_u32_e32 v7, -1, v7
	v_cmp_eq_u64_e32 vcc, v[12:13], v[26:27]
	v_cndmask_b32_e32 v7, 0, v7, vcc
	v_add_u32_e32 v7, v7, v30
	v_and_b32_e32 v7, 0x1fffff, v7
	v_add_co_u32_e32 v12, vcc, v7, v30
	v_add_u32_e32 v14, 14, v15
	v_addc_co_u32_e32 v13, vcc, 0, v31, vcc
	v_cmp_ne_u32_e32 vcc, 0, v14
                                        ; implicit-def: $vgpr7
	s_and_saveexec_b64 s[30:31], vcc
	s_xor_b64 s[30:31], exec, s[30:31]
; %bb.7453:                             ;   in Loop: Header=BB2_7317 Depth=3
	v_add_u32_e32 v7, 15, v15
	v_cmp_lt_u64_e32 vcc, s[56:57], v[12:13]
	v_cndmask_b32_e32 v7, v14, v7, vcc
	v_cndmask_b32_e64 v14, 0, 1, vcc
	v_lshrrev_b64 v[12:13], v14, v[12:13]
; %bb.7454:                             ;   in Loop: Header=BB2_7317 Depth=3
	s_andn2_saveexec_b64 vcc, s[30:31]
; %bb.7455:                             ;   in Loop: Header=BB2_7317 Depth=3
	v_bfe_u32 v7, v12, 23, 1
; %bb.7456:                             ;   in Loop: Header=BB2_7317 Depth=3
	s_or_b64 exec, exec, vcc
	v_lshrrev_b64 v[12:13], 21, v[12:13]
	v_cmp_gt_i32_e32 vcc, 32, v7
	v_cndmask_b32_e32 v13, 0, v13, vcc
	v_cndmask_b32_e32 v12, 3, v12, vcc
	v_cmp_eq_u32_e32 vcc, 0, v7
	v_min_i32_e32 v7, 31, v7
	v_cmp_eq_u64_e64 s[30:31], 0, v[12:13]
	v_lshlrev_b32_e32 v7, 2, v7
	v_and_or_b32 v7, v12, 3, v7
	s_and_b64 vcc, vcc, s[30:31]
	v_cndmask_b32_e64 v7, v7, 0, vcc
	v_or_b32_e32 v38, v7, v0
.LBB2_7457:                             ;   in Loop: Header=BB2_7317 Depth=3
	s_or_b64 exec, exec, s[74:75]
.LBB2_7458:                             ;   in Loop: Header=BB2_7317 Depth=3
	s_or_b64 exec, exec, s[72:73]
                                        ; implicit-def: $vgpr7
.LBB2_7459:                             ;   in Loop: Header=BB2_7317 Depth=3
	s_andn2_saveexec_b64 s[30:31], s[70:71]
; %bb.7460:                             ;   in Loop: Header=BB2_7317 Depth=3
	v_or_b32_sdwa v0, v7, s39 dst_sel:DWORD dst_unused:UNUSED_PAD src0_sel:BYTE_3 src1_sel:DWORD
	v_cmp_eq_u64_e32 vcc, 0, v[50:51]
	v_cndmask_b32_e32 v38, v0, v38, vcc
; %bb.7461:                             ;   in Loop: Header=BB2_7317 Depth=3
	s_or_b64 exec, exec, s[30:31]
	v_lshrrev_b32_e32 v14, 24, v20
	v_lshrrev_b32_e32 v12, 24, v8
	v_cmp_lt_u32_e64 s[30:31], s43, v20
	s_and_b64 vcc, exec, s[68:69]
	s_cbranch_vccz .LBB2_7479
; %bb.7462:                             ;   in Loop: Header=BB2_7317 Depth=3
	v_mov_b32_e32 v7, 0
	v_mov_b32_e32 v0, 0
	s_and_saveexec_b64 s[70:71], s[30:31]
	s_cbranch_execz .LBB2_7470
; %bb.7463:                             ;   in Loop: Header=BB2_7317 Depth=3
	v_cmp_ne_u32_e32 vcc, s97, v14
	v_bfrev_b32_e32 v0, 1
	s_and_saveexec_b64 s[72:73], vcc
	s_cbranch_execz .LBB2_7469
; %bb.7464:                             ;   in Loop: Header=BB2_7317 Depth=3
	v_and_b32_e32 v0, 0x7c000000, v20
	v_bfe_u32 v13, v20, 24, 2
	v_cmp_ne_u32_e32 vcc, s37, v0
                                        ; implicit-def: $vgpr0
	s_and_saveexec_b64 s[74:75], vcc
	s_xor_b64 s[74:75], exec, s[74:75]
	s_cbranch_execz .LBB2_7466
; %bb.7465:                             ;   in Loop: Header=BB2_7317 Depth=3
	v_ffbh_u32_e32 v15, v13
	v_min_u32_e32 v15, 32, v15
	v_bfe_u32 v0, v20, 26, 5
	v_subrev_u32_e32 v24, 29, v15
	v_lshlrev_b64 v[26:27], v24, v[14:15]
	v_sub_u32_e32 v15, 30, v15
	v_cmp_eq_u32_e32 vcc, 0, v0
	v_cndmask_b32_e32 v0, v0, v15, vcc
	v_bfrev_b32_e32 v15, 28
	v_and_b32_e32 v24, 3, v26
	v_lshl_add_u32 v0, v0, 23, v15
	v_cndmask_b32_e32 v13, v13, v24, vcc
	v_and_or_b32 v0, v20, s96, v0
	v_lshl_or_b32 v0, v13, 21, v0
                                        ; implicit-def: $vgpr13
.LBB2_7466:                             ;   in Loop: Header=BB2_7317 Depth=3
	s_andn2_saveexec_b64 s[74:75], s[74:75]
; %bb.7467:                             ;   in Loop: Header=BB2_7317 Depth=3
	v_cmp_lt_i32_e32 vcc, -1, v20
	v_mov_b32_e32 v0, 0xc7600000
	v_mov_b32_e32 v15, 0x47600000
	v_cndmask_b32_e32 v0, v0, v15, vcc
	v_cmp_eq_u32_e32 vcc, 0, v13
	v_mov_b32_e32 v13, 0x7f800001
	v_cndmask_b32_e32 v0, v13, v0, vcc
; %bb.7468:                             ;   in Loop: Header=BB2_7317 Depth=3
	s_or_b64 exec, exec, s[74:75]
.LBB2_7469:                             ;   in Loop: Header=BB2_7317 Depth=3
	s_or_b64 exec, exec, s[72:73]
.LBB2_7470:                             ;   in Loop: Header=BB2_7317 Depth=3
	s_or_b64 exec, exec, s[70:71]
	v_cmp_lt_u32_e32 vcc, s43, v8
	s_and_saveexec_b64 s[70:71], vcc
	s_cbranch_execz .LBB2_7478
; %bb.7471:                             ;   in Loop: Header=BB2_7317 Depth=3
	v_cmp_ne_u32_e32 vcc, s97, v12
	v_bfrev_b32_e32 v7, 1
	s_and_saveexec_b64 s[72:73], vcc
	s_cbranch_execz .LBB2_7477
; %bb.7472:                             ;   in Loop: Header=BB2_7317 Depth=3
	v_and_b32_e32 v7, 0x7c000000, v8
	v_bfe_u32 v13, v8, 24, 2
	v_cmp_ne_u32_e32 vcc, s37, v7
                                        ; implicit-def: $vgpr7
	s_and_saveexec_b64 s[74:75], vcc
	s_xor_b64 s[74:75], exec, s[74:75]
	s_cbranch_execz .LBB2_7474
; %bb.7473:                             ;   in Loop: Header=BB2_7317 Depth=3
	v_ffbh_u32_e32 v15, v13
	v_bfe_u32 v7, v8, 26, 5
	v_min_u32_e32 v15, 32, v15
	v_subrev_u32_e32 v24, 29, v15
	v_sub_u32_e32 v15, 30, v15
	v_cmp_eq_u32_e32 vcc, 0, v7
	v_lshlrev_b64 v[26:27], v24, v[12:13]
	v_cndmask_b32_e32 v7, v7, v15, vcc
	v_bfrev_b32_e32 v15, 28
	v_and_b32_e32 v24, 3, v26
	v_lshl_add_u32 v7, v7, 23, v15
	v_cndmask_b32_e32 v13, v13, v24, vcc
	v_and_or_b32 v7, v8, s96, v7
	v_lshl_or_b32 v7, v13, 21, v7
                                        ; implicit-def: $vgpr13
.LBB2_7474:                             ;   in Loop: Header=BB2_7317 Depth=3
	s_andn2_saveexec_b64 s[74:75], s[74:75]
; %bb.7475:                             ;   in Loop: Header=BB2_7317 Depth=3
	v_cmp_lt_i32_e32 vcc, -1, v8
	v_mov_b32_e32 v7, 0xc7600000
	v_mov_b32_e32 v15, 0x47600000
	v_cndmask_b32_e32 v7, v7, v15, vcc
	v_cmp_eq_u32_e32 vcc, 0, v13
	v_mov_b32_e32 v13, 0x7f800001
	v_cndmask_b32_e32 v7, v13, v7, vcc
; %bb.7476:                             ;   in Loop: Header=BB2_7317 Depth=3
	s_or_b64 exec, exec, s[74:75]
.LBB2_7477:                             ;   in Loop: Header=BB2_7317 Depth=3
	s_or_b64 exec, exec, s[72:73]
.LBB2_7478:                             ;   in Loop: Header=BB2_7317 Depth=3
	s_or_b64 exec, exec, s[70:71]
	v_max_f32_e32 v7, v7, v7
	v_max_f32_e32 v0, v0, v0
	;; [unrolled: 1-line block ×3, first 2 shown]
	s_branch .LBB2_7497
.LBB2_7479:                             ;   in Loop: Header=BB2_7317 Depth=3
                                        ; implicit-def: $vgpr7
	s_cbranch_execz .LBB2_7497
; %bb.7480:                             ;   in Loop: Header=BB2_7317 Depth=3
	v_mov_b32_e32 v7, 0
	v_mov_b32_e32 v0, 0
	s_and_saveexec_b64 s[70:71], s[30:31]
	s_cbranch_execz .LBB2_7488
; %bb.7481:                             ;   in Loop: Header=BB2_7317 Depth=3
	v_cmp_ne_u32_e32 vcc, s97, v14
	v_bfrev_b32_e32 v0, 1
	s_and_saveexec_b64 s[30:31], vcc
	s_cbranch_execz .LBB2_7487
; %bb.7482:                             ;   in Loop: Header=BB2_7317 Depth=3
	v_and_b32_e32 v0, 0x7c000000, v20
	v_bfe_u32 v13, v20, 24, 2
	v_cmp_ne_u32_e32 vcc, s37, v0
                                        ; implicit-def: $vgpr0
	s_and_saveexec_b64 s[72:73], vcc
	s_xor_b64 s[72:73], exec, s[72:73]
	s_cbranch_execz .LBB2_7484
; %bb.7483:                             ;   in Loop: Header=BB2_7317 Depth=3
	v_ffbh_u32_e32 v15, v13
	v_min_u32_e32 v24, 32, v15
	v_subrev_u32_e32 v15, 29, v24
	v_bfe_u32 v0, v20, 26, 5
	v_lshlrev_b64 v[14:15], v15, v[14:15]
	v_sub_u32_e32 v15, 30, v24
	v_and_b32_e32 v14, 3, v14
	v_cmp_eq_u32_e32 vcc, 0, v0
	v_cndmask_b32_e32 v0, v0, v15, vcc
	v_cndmask_b32_e32 v13, v13, v14, vcc
	v_bfrev_b32_e32 v14, 28
	v_lshl_add_u32 v0, v0, 23, v14
	v_and_or_b32 v0, v20, s96, v0
	v_lshl_or_b32 v0, v13, 21, v0
                                        ; implicit-def: $vgpr13
.LBB2_7484:                             ;   in Loop: Header=BB2_7317 Depth=3
	s_andn2_saveexec_b64 s[72:73], s[72:73]
; %bb.7485:                             ;   in Loop: Header=BB2_7317 Depth=3
	v_cmp_lt_i32_e32 vcc, -1, v20
	v_mov_b32_e32 v0, 0xc7600000
	v_mov_b32_e32 v14, 0x47600000
	v_cndmask_b32_e32 v0, v0, v14, vcc
	v_cmp_eq_u32_e32 vcc, 0, v13
	v_mov_b32_e32 v13, 0x7f800001
	v_cndmask_b32_e32 v0, v13, v0, vcc
; %bb.7486:                             ;   in Loop: Header=BB2_7317 Depth=3
	s_or_b64 exec, exec, s[72:73]
.LBB2_7487:                             ;   in Loop: Header=BB2_7317 Depth=3
	s_or_b64 exec, exec, s[30:31]
.LBB2_7488:                             ;   in Loop: Header=BB2_7317 Depth=3
	s_or_b64 exec, exec, s[70:71]
	v_cmp_lt_u32_e32 vcc, s43, v8
	s_and_saveexec_b64 s[30:31], vcc
	s_cbranch_execz .LBB2_7496
; %bb.7489:                             ;   in Loop: Header=BB2_7317 Depth=3
	v_cmp_ne_u32_e32 vcc, s97, v12
	v_bfrev_b32_e32 v7, 1
	s_and_saveexec_b64 s[70:71], vcc
	s_cbranch_execz .LBB2_7495
; %bb.7490:                             ;   in Loop: Header=BB2_7317 Depth=3
	v_and_b32_e32 v7, 0x7c000000, v8
	v_bfe_u32 v13, v8, 24, 2
	v_cmp_ne_u32_e32 vcc, s37, v7
                                        ; implicit-def: $vgpr7
	s_and_saveexec_b64 s[72:73], vcc
	s_xor_b64 s[72:73], exec, s[72:73]
	s_cbranch_execz .LBB2_7492
; %bb.7491:                             ;   in Loop: Header=BB2_7317 Depth=3
	v_ffbh_u32_e32 v14, v13
	v_min_u32_e32 v24, 32, v14
	v_subrev_u32_e32 v14, 29, v24
	v_bfe_u32 v7, v8, 26, 5
	v_lshlrev_b64 v[14:15], v14, v[12:13]
	v_sub_u32_e32 v12, 30, v24
	v_and_b32_e32 v14, 3, v14
	v_cmp_eq_u32_e32 vcc, 0, v7
	v_cndmask_b32_e32 v7, v7, v12, vcc
	v_cndmask_b32_e32 v12, v13, v14, vcc
	v_bfrev_b32_e32 v13, 28
	v_lshl_add_u32 v7, v7, 23, v13
	v_and_or_b32 v7, v8, s96, v7
	v_lshl_or_b32 v7, v12, 21, v7
                                        ; implicit-def: $vgpr13
.LBB2_7492:                             ;   in Loop: Header=BB2_7317 Depth=3
	s_andn2_saveexec_b64 s[72:73], s[72:73]
; %bb.7493:                             ;   in Loop: Header=BB2_7317 Depth=3
	v_cmp_lt_i32_e32 vcc, -1, v8
	v_mov_b32_e32 v7, 0xc7600000
	v_mov_b32_e32 v12, 0x47600000
	v_cndmask_b32_e32 v7, v7, v12, vcc
	v_cmp_eq_u32_e32 vcc, 0, v13
	v_mov_b32_e32 v12, 0x7f800001
	v_cndmask_b32_e32 v7, v12, v7, vcc
; %bb.7494:                             ;   in Loop: Header=BB2_7317 Depth=3
	s_or_b64 exec, exec, s[72:73]
.LBB2_7495:                             ;   in Loop: Header=BB2_7317 Depth=3
	s_or_b64 exec, exec, s[70:71]
.LBB2_7496:                             ;   in Loop: Header=BB2_7317 Depth=3
	s_or_b64 exec, exec, s[30:31]
	v_max_f32_e32 v7, v7, v7
	v_max_f32_e32 v0, v0, v0
	v_min_f32_e32 v7, v0, v7
.LBB2_7497:                             ;   in Loop: Header=BB2_7317 Depth=3
	v_and_b32_sdwa v0, v7, s97 dst_sel:DWORD dst_unused:UNUSED_PAD src0_sel:BYTE_3 src1_sel:DWORD
	v_and_b32_e32 v12, 0x7f800000, v7
	v_mov_b32_e32 v13, v51
	v_and_b32_e32 v50, 0x7fffff, v7
	v_or_b32_e32 v39, 0x7b, v0
	v_cmp_ne_u64_e32 vcc, s[52:53], v[12:13]
	s_and_saveexec_b64 s[30:31], vcc
	s_xor_b64 s[70:71], exec, s[30:31]
	s_cbranch_execz .LBB2_7507
; %bb.7498:                             ;   in Loop: Header=BB2_7317 Depth=3
	v_and_b32_e32 v12, 0x7fffffff, v7
	v_mov_b32_e32 v13, v51
	v_cmp_gt_u64_e32 vcc, s[54:55], v[12:13]
	s_and_saveexec_b64 s[72:73], vcc
	s_cbranch_execz .LBB2_7506
; %bb.7499:                             ;   in Loop: Header=BB2_7317 Depth=3
	v_cmp_ne_u32_e32 vcc, 0, v7
	v_mov_b32_e32 v39, 0
	s_and_saveexec_b64 s[74:75], vcc
	s_cbranch_execz .LBB2_7505
; %bb.7500:                             ;   in Loop: Header=BB2_7317 Depth=3
	v_bfe_u32 v7, v7, 23, 8
	v_sub_u32_e32 v13, 0x71, v7
	v_cmp_gt_u32_e32 vcc, s38, v7
	v_add_u32_e32 v12, 0xffffff81, v7
	v_cndmask_b32_e32 v13, 0, v13, vcc
	v_cmp_eq_u32_e32 vcc, 0, v7
	v_mov_b32_e32 v7, 0xffffff82
	v_cndmask_b32_e32 v7, v12, v7, vcc
	v_mov_b32_e32 v12, 0x70
	v_or_b32_e32 v14, 0x800000, v50
	v_cndmask_b32_e32 v15, v13, v12, vcc
	v_cndmask_b32_e32 v50, v14, v50, vcc
	v_add_u32_e32 v12, 21, v15
	v_lshlrev_b64 v[12:13], v12, -1
	v_add_u32_e32 v14, 20, v15
	v_lshrrev_b64 v[30:31], v15, v[50:51]
	v_not_b32_e32 v13, v13
	v_not_b32_e32 v12, v12
	v_lshlrev_b64 v[26:27], v14, 1
	v_lshrrev_b32_e32 v14, 23, v30
	v_and_b32_e32 v13, 0, v13
	v_and_b32_e32 v12, v50, v12
	v_add3_u32 v15, v15, v7, v14
	v_bfe_u32 v7, v30, 21, 1
	v_add_u32_e32 v7, -1, v7
	v_cmp_eq_u64_e32 vcc, v[12:13], v[26:27]
	v_cndmask_b32_e32 v7, 0, v7, vcc
	v_add_u32_e32 v7, v7, v30
	v_and_b32_e32 v7, 0x1fffff, v7
	v_add_co_u32_e32 v12, vcc, v7, v30
	v_add_u32_e32 v14, 14, v15
	v_addc_co_u32_e32 v13, vcc, 0, v31, vcc
	v_cmp_ne_u32_e32 vcc, 0, v14
                                        ; implicit-def: $vgpr7
	s_and_saveexec_b64 s[30:31], vcc
	s_xor_b64 s[30:31], exec, s[30:31]
; %bb.7501:                             ;   in Loop: Header=BB2_7317 Depth=3
	v_add_u32_e32 v7, 15, v15
	v_cmp_lt_u64_e32 vcc, s[56:57], v[12:13]
	v_cndmask_b32_e32 v7, v14, v7, vcc
	v_cndmask_b32_e64 v14, 0, 1, vcc
	v_lshrrev_b64 v[12:13], v14, v[12:13]
; %bb.7502:                             ;   in Loop: Header=BB2_7317 Depth=3
	s_andn2_saveexec_b64 vcc, s[30:31]
; %bb.7503:                             ;   in Loop: Header=BB2_7317 Depth=3
	v_bfe_u32 v7, v12, 23, 1
; %bb.7504:                             ;   in Loop: Header=BB2_7317 Depth=3
	s_or_b64 exec, exec, vcc
	v_lshrrev_b64 v[12:13], 21, v[12:13]
	v_cmp_gt_i32_e32 vcc, 32, v7
	v_cndmask_b32_e32 v13, 0, v13, vcc
	v_cndmask_b32_e32 v12, 3, v12, vcc
	v_cmp_eq_u32_e32 vcc, 0, v7
	v_min_i32_e32 v7, 31, v7
	v_cmp_eq_u64_e64 s[30:31], 0, v[12:13]
	v_lshlrev_b32_e32 v7, 2, v7
	v_and_or_b32 v7, v12, 3, v7
	s_and_b64 vcc, vcc, s[30:31]
	v_cndmask_b32_e64 v7, v7, 0, vcc
	v_or_b32_e32 v39, v7, v0
.LBB2_7505:                             ;   in Loop: Header=BB2_7317 Depth=3
	s_or_b64 exec, exec, s[74:75]
.LBB2_7506:                             ;   in Loop: Header=BB2_7317 Depth=3
	s_or_b64 exec, exec, s[72:73]
                                        ; implicit-def: $vgpr7
.LBB2_7507:                             ;   in Loop: Header=BB2_7317 Depth=3
	s_andn2_saveexec_b64 s[30:31], s[70:71]
; %bb.7508:                             ;   in Loop: Header=BB2_7317 Depth=3
	v_or_b32_sdwa v0, v7, s39 dst_sel:DWORD dst_unused:UNUSED_PAD src0_sel:BYTE_3 src1_sel:DWORD
	v_cmp_eq_u64_e32 vcc, 0, v[50:51]
	v_cndmask_b32_e32 v39, v0, v39, vcc
; %bb.7509:                             ;   in Loop: Header=BB2_7317 Depth=3
	s_or_b64 exec, exec, s[30:31]
	v_mov_b32_e32 v50, v21
	v_mov_b32_e32 v12, v9
	;; [unrolled: 1-line block ×3, first 2 shown]
	v_cmp_ne_u16_sdwa s[30:31], v21, v51 src0_sel:BYTE_0 src1_sel:DWORD
	s_and_b64 vcc, exec, s[68:69]
	s_cbranch_vccz .LBB2_7527
; %bb.7510:                             ;   in Loop: Header=BB2_7317 Depth=3
	v_mov_b32_e32 v7, 0
	v_mov_b32_e32 v0, 0
	s_and_saveexec_b64 s[70:71], s[30:31]
	s_cbranch_execz .LBB2_7518
; %bb.7511:                             ;   in Loop: Header=BB2_7317 Depth=3
	v_cmp_ne_u16_sdwa vcc, v21, s97 src0_sel:BYTE_0 src1_sel:DWORD
	v_bfrev_b32_e32 v0, 1
	s_and_saveexec_b64 s[72:73], vcc
	s_cbranch_execz .LBB2_7517
; %bb.7512:                             ;   in Loop: Header=BB2_7317 Depth=3
	v_and_b32_e32 v0, 0x7c, v21
	v_and_b32_e32 v14, 3, v21
	v_cmp_ne_u32_e32 vcc, s95, v0
                                        ; implicit-def: $vgpr0
	s_and_saveexec_b64 s[74:75], vcc
	s_xor_b64 s[74:75], exec, s[74:75]
	s_cbranch_execz .LBB2_7514
; %bb.7513:                             ;   in Loop: Header=BB2_7317 Depth=3
	v_ffbh_u32_e32 v15, v14
	v_min_u32_e32 v15, 32, v15
	v_subrev_u32_e32 v24, 29, v15
	v_bfe_u32 v0, v21, 2, 5
	v_lshlrev_b64 v[26:27], v24, v[50:51]
	v_sub_u32_e32 v15, 30, v15
	v_and_b32_e32 v24, 3, v26
	v_cmp_eq_u32_e32 vcc, 0, v0
	v_cndmask_b32_e32 v0, v0, v15, vcc
	v_cndmask_b32_e32 v14, v14, v24, vcc
	v_bfrev_b32_e32 v24, 28
	v_lshlrev_b32_e32 v15, 24, v21
	v_lshl_add_u32 v0, v0, 23, v24
	v_and_or_b32 v0, v15, s96, v0
	v_lshl_or_b32 v0, v14, 21, v0
                                        ; implicit-def: $vgpr14
.LBB2_7514:                             ;   in Loop: Header=BB2_7317 Depth=3
	s_andn2_saveexec_b64 s[74:75], s[74:75]
; %bb.7515:                             ;   in Loop: Header=BB2_7317 Depth=3
	v_mov_b32_e32 v0, -1
	v_cmp_gt_i16_sdwa vcc, sext(v21), v0 src0_sel:BYTE_0 src1_sel:DWORD
	v_mov_b32_e32 v0, 0xc7600000
	v_mov_b32_e32 v15, 0x47600000
	v_cndmask_b32_e32 v0, v0, v15, vcc
	v_cmp_eq_u32_e32 vcc, 0, v14
	v_mov_b32_e32 v14, 0x7f800001
	v_cndmask_b32_e32 v0, v14, v0, vcc
; %bb.7516:                             ;   in Loop: Header=BB2_7317 Depth=3
	s_or_b64 exec, exec, s[74:75]
.LBB2_7517:                             ;   in Loop: Header=BB2_7317 Depth=3
	s_or_b64 exec, exec, s[72:73]
.LBB2_7518:                             ;   in Loop: Header=BB2_7317 Depth=3
	s_or_b64 exec, exec, s[70:71]
	v_cmp_ne_u16_sdwa vcc, v9, v51 src0_sel:BYTE_0 src1_sel:DWORD
	s_and_saveexec_b64 s[70:71], vcc
	s_cbranch_execz .LBB2_7526
; %bb.7519:                             ;   in Loop: Header=BB2_7317 Depth=3
	v_cmp_ne_u16_sdwa vcc, v9, s97 src0_sel:BYTE_0 src1_sel:DWORD
	v_bfrev_b32_e32 v7, 1
	s_and_saveexec_b64 s[72:73], vcc
	s_cbranch_execz .LBB2_7525
; %bb.7520:                             ;   in Loop: Header=BB2_7317 Depth=3
	v_and_b32_e32 v7, 0x7c, v9
	v_and_b32_e32 v14, 3, v9
	v_cmp_ne_u32_e32 vcc, s95, v7
                                        ; implicit-def: $vgpr7
	s_and_saveexec_b64 s[74:75], vcc
	s_xor_b64 s[74:75], exec, s[74:75]
	s_cbranch_execz .LBB2_7522
; %bb.7521:                             ;   in Loop: Header=BB2_7317 Depth=3
	v_ffbh_u32_e32 v15, v14
	v_min_u32_e32 v15, 32, v15
	v_subrev_u32_e32 v24, 29, v15
	v_bfe_u32 v7, v9, 2, 5
	v_lshlrev_b64 v[26:27], v24, v[12:13]
	v_sub_u32_e32 v15, 30, v15
	v_and_b32_e32 v24, 3, v26
	v_cmp_eq_u32_e32 vcc, 0, v7
	v_cndmask_b32_e32 v7, v7, v15, vcc
	v_cndmask_b32_e32 v14, v14, v24, vcc
	v_bfrev_b32_e32 v24, 28
	v_lshlrev_b32_e32 v15, 24, v9
	v_lshl_add_u32 v7, v7, 23, v24
	v_and_or_b32 v7, v15, s96, v7
	v_lshl_or_b32 v7, v14, 21, v7
                                        ; implicit-def: $vgpr14
.LBB2_7522:                             ;   in Loop: Header=BB2_7317 Depth=3
	s_andn2_saveexec_b64 s[74:75], s[74:75]
; %bb.7523:                             ;   in Loop: Header=BB2_7317 Depth=3
	v_mov_b32_e32 v7, -1
	v_cmp_gt_i16_sdwa vcc, sext(v9), v7 src0_sel:BYTE_0 src1_sel:DWORD
	v_mov_b32_e32 v7, 0xc7600000
	v_mov_b32_e32 v15, 0x47600000
	v_cndmask_b32_e32 v7, v7, v15, vcc
	v_cmp_eq_u32_e32 vcc, 0, v14
	v_mov_b32_e32 v14, 0x7f800001
	v_cndmask_b32_e32 v7, v14, v7, vcc
; %bb.7524:                             ;   in Loop: Header=BB2_7317 Depth=3
	s_or_b64 exec, exec, s[74:75]
.LBB2_7525:                             ;   in Loop: Header=BB2_7317 Depth=3
	s_or_b64 exec, exec, s[72:73]
.LBB2_7526:                             ;   in Loop: Header=BB2_7317 Depth=3
	s_or_b64 exec, exec, s[70:71]
	v_max_f32_e32 v7, v7, v7
	v_max_f32_e32 v0, v0, v0
	;; [unrolled: 1-line block ×3, first 2 shown]
	s_branch .LBB2_7545
.LBB2_7527:                             ;   in Loop: Header=BB2_7317 Depth=3
                                        ; implicit-def: $vgpr7
	s_cbranch_execz .LBB2_7545
; %bb.7528:                             ;   in Loop: Header=BB2_7317 Depth=3
	v_mov_b32_e32 v7, 0
	v_mov_b32_e32 v0, 0
	s_and_saveexec_b64 s[70:71], s[30:31]
	s_cbranch_execz .LBB2_7536
; %bb.7529:                             ;   in Loop: Header=BB2_7317 Depth=3
	v_cmp_ne_u16_sdwa vcc, v21, s97 src0_sel:BYTE_0 src1_sel:DWORD
	v_bfrev_b32_e32 v0, 1
	s_and_saveexec_b64 s[30:31], vcc
	s_cbranch_execz .LBB2_7535
; %bb.7530:                             ;   in Loop: Header=BB2_7317 Depth=3
	v_and_b32_e32 v0, 0x7c, v21
	v_and_b32_e32 v14, 3, v21
	v_cmp_ne_u32_e32 vcc, s95, v0
                                        ; implicit-def: $vgpr0
	s_and_saveexec_b64 s[72:73], vcc
	s_xor_b64 s[72:73], exec, s[72:73]
	s_cbranch_execz .LBB2_7532
; %bb.7531:                             ;   in Loop: Header=BB2_7317 Depth=3
	v_ffbh_u32_e32 v15, v14
	v_min_u32_e32 v15, 32, v15
	v_subrev_u32_e32 v24, 29, v15
	v_bfe_u32 v0, v21, 2, 5
	v_lshlrev_b64 v[26:27], v24, v[50:51]
	v_sub_u32_e32 v15, 30, v15
	v_and_b32_e32 v24, 3, v26
	v_cmp_eq_u32_e32 vcc, 0, v0
	v_cndmask_b32_e32 v0, v0, v15, vcc
	v_cndmask_b32_e32 v14, v14, v24, vcc
	v_bfrev_b32_e32 v24, 28
	v_lshlrev_b32_e32 v15, 24, v21
	v_lshl_add_u32 v0, v0, 23, v24
	v_and_or_b32 v0, v15, s96, v0
	v_lshl_or_b32 v0, v14, 21, v0
                                        ; implicit-def: $vgpr14
.LBB2_7532:                             ;   in Loop: Header=BB2_7317 Depth=3
	s_andn2_saveexec_b64 s[72:73], s[72:73]
; %bb.7533:                             ;   in Loop: Header=BB2_7317 Depth=3
	v_mov_b32_e32 v0, -1
	v_cmp_gt_i16_sdwa vcc, sext(v21), v0 src0_sel:BYTE_0 src1_sel:DWORD
	v_mov_b32_e32 v0, 0xc7600000
	v_mov_b32_e32 v15, 0x47600000
	v_cndmask_b32_e32 v0, v0, v15, vcc
	v_cmp_eq_u32_e32 vcc, 0, v14
	v_mov_b32_e32 v14, 0x7f800001
	v_cndmask_b32_e32 v0, v14, v0, vcc
; %bb.7534:                             ;   in Loop: Header=BB2_7317 Depth=3
	s_or_b64 exec, exec, s[72:73]
.LBB2_7535:                             ;   in Loop: Header=BB2_7317 Depth=3
	s_or_b64 exec, exec, s[30:31]
.LBB2_7536:                             ;   in Loop: Header=BB2_7317 Depth=3
	s_or_b64 exec, exec, s[70:71]
	v_cmp_ne_u16_sdwa vcc, v9, v51 src0_sel:BYTE_0 src1_sel:DWORD
	s_and_saveexec_b64 s[30:31], vcc
	s_cbranch_execz .LBB2_7544
; %bb.7537:                             ;   in Loop: Header=BB2_7317 Depth=3
	v_cmp_ne_u16_sdwa vcc, v9, s97 src0_sel:BYTE_0 src1_sel:DWORD
	v_bfrev_b32_e32 v7, 1
	s_and_saveexec_b64 s[70:71], vcc
	s_cbranch_execz .LBB2_7543
; %bb.7538:                             ;   in Loop: Header=BB2_7317 Depth=3
	v_and_b32_e32 v7, 0x7c, v9
	v_and_b32_e32 v14, 3, v9
	v_cmp_ne_u32_e32 vcc, s95, v7
                                        ; implicit-def: $vgpr7
	s_and_saveexec_b64 s[72:73], vcc
	s_xor_b64 s[72:73], exec, s[72:73]
	s_cbranch_execz .LBB2_7540
; %bb.7539:                             ;   in Loop: Header=BB2_7317 Depth=3
	v_ffbh_u32_e32 v15, v14
	v_min_u32_e32 v15, 32, v15
	v_subrev_u32_e32 v24, 29, v15
	v_bfe_u32 v7, v9, 2, 5
	v_lshlrev_b64 v[26:27], v24, v[12:13]
	v_sub_u32_e32 v13, 30, v15
	v_and_b32_e32 v15, 3, v26
	v_cmp_eq_u32_e32 vcc, 0, v7
	v_cndmask_b32_e32 v7, v7, v13, vcc
	v_cndmask_b32_e32 v13, v14, v15, vcc
	v_bfrev_b32_e32 v15, 28
	v_lshlrev_b32_e32 v14, 24, v9
	v_lshl_add_u32 v7, v7, 23, v15
	v_and_or_b32 v7, v14, s96, v7
	v_lshl_or_b32 v7, v13, 21, v7
                                        ; implicit-def: $vgpr14
.LBB2_7540:                             ;   in Loop: Header=BB2_7317 Depth=3
	s_andn2_saveexec_b64 s[72:73], s[72:73]
; %bb.7541:                             ;   in Loop: Header=BB2_7317 Depth=3
	v_mov_b32_e32 v7, -1
	v_cmp_gt_i16_sdwa vcc, sext(v9), v7 src0_sel:BYTE_0 src1_sel:DWORD
	v_mov_b32_e32 v7, 0xc7600000
	v_mov_b32_e32 v13, 0x47600000
	v_cndmask_b32_e32 v7, v7, v13, vcc
	v_cmp_eq_u32_e32 vcc, 0, v14
	v_mov_b32_e32 v13, 0x7f800001
	v_cndmask_b32_e32 v7, v13, v7, vcc
; %bb.7542:                             ;   in Loop: Header=BB2_7317 Depth=3
	s_or_b64 exec, exec, s[72:73]
.LBB2_7543:                             ;   in Loop: Header=BB2_7317 Depth=3
	s_or_b64 exec, exec, s[70:71]
.LBB2_7544:                             ;   in Loop: Header=BB2_7317 Depth=3
	s_or_b64 exec, exec, s[30:31]
	v_max_f32_e32 v7, v7, v7
	v_max_f32_e32 v0, v0, v0
	v_min_f32_e32 v7, v0, v7
.LBB2_7545:                             ;   in Loop: Header=BB2_7317 Depth=3
	v_and_b32_sdwa v0, v7, s97 dst_sel:DWORD dst_unused:UNUSED_PAD src0_sel:BYTE_3 src1_sel:DWORD
	v_and_b32_e32 v26, 0x7f800000, v7
	v_mov_b32_e32 v27, v51
	v_and_b32_e32 v14, 0x7fffff, v7
	v_mov_b32_e32 v15, v51
	v_or_b32_e32 v52, 0x7b, v0
	v_cmp_ne_u64_e32 vcc, s[52:53], v[26:27]
	s_and_saveexec_b64 s[30:31], vcc
	s_xor_b64 s[70:71], exec, s[30:31]
	s_cbranch_execz .LBB2_7555
; %bb.7546:                             ;   in Loop: Header=BB2_7317 Depth=3
	v_and_b32_e32 v26, 0x7fffffff, v7
	v_mov_b32_e32 v27, v51
	v_cmp_gt_u64_e32 vcc, s[54:55], v[26:27]
	s_and_saveexec_b64 s[72:73], vcc
	s_cbranch_execz .LBB2_7554
; %bb.7547:                             ;   in Loop: Header=BB2_7317 Depth=3
	v_cmp_ne_u32_e32 vcc, 0, v7
	v_mov_b32_e32 v52, 0
	s_and_saveexec_b64 s[74:75], vcc
	s_cbranch_execz .LBB2_7553
; %bb.7548:                             ;   in Loop: Header=BB2_7317 Depth=3
	v_bfe_u32 v7, v7, 23, 8
	v_sub_u32_e32 v24, 0x71, v7
	v_cmp_gt_u32_e32 vcc, s38, v7
	v_add_u32_e32 v13, 0xffffff81, v7
	v_cndmask_b32_e32 v24, 0, v24, vcc
	v_cmp_eq_u32_e32 vcc, 0, v7
	v_mov_b32_e32 v7, 0xffffff82
	v_cndmask_b32_e32 v7, v13, v7, vcc
	v_mov_b32_e32 v13, 0x70
	v_cndmask_b32_e32 v13, v24, v13, vcc
	v_add_u32_e32 v24, 21, v13
	v_or_b32_e32 v25, 0x800000, v14
	v_lshlrev_b64 v[26:27], v24, -1
	v_cndmask_b32_e32 v14, v25, v14, vcc
	v_not_b32_e32 v24, v27
	v_not_b32_e32 v25, v26
	v_and_b32_e32 v31, 0, v24
	v_and_b32_e32 v30, v14, v25
	v_add_u32_e32 v24, 20, v13
	v_lshrrev_b64 v[14:15], v13, v[14:15]
	v_lshlrev_b64 v[52:53], v24, 1
	v_lshrrev_b32_e32 v24, 23, v14
	v_add3_u32 v26, v13, v7, v24
	v_bfe_u32 v7, v14, 21, 1
	v_add_u32_e32 v7, -1, v7
	v_cmp_eq_u64_e32 vcc, v[30:31], v[52:53]
	v_cndmask_b32_e32 v7, 0, v7, vcc
	v_add_u32_e32 v7, v7, v14
	v_and_b32_e32 v7, 0x1fffff, v7
	v_add_co_u32_e32 v14, vcc, v7, v14
	v_add_u32_e32 v13, 14, v26
	v_addc_co_u32_e32 v15, vcc, 0, v15, vcc
	v_cmp_ne_u32_e32 vcc, 0, v13
                                        ; implicit-def: $vgpr7
	s_and_saveexec_b64 s[30:31], vcc
	s_xor_b64 s[30:31], exec, s[30:31]
; %bb.7549:                             ;   in Loop: Header=BB2_7317 Depth=3
	v_add_u32_e32 v7, 15, v26
	v_cmp_lt_u64_e32 vcc, s[56:57], v[14:15]
	v_cndmask_b32_e32 v7, v13, v7, vcc
	v_cndmask_b32_e64 v13, 0, 1, vcc
	v_lshrrev_b64 v[14:15], v13, v[14:15]
; %bb.7550:                             ;   in Loop: Header=BB2_7317 Depth=3
	s_andn2_saveexec_b64 vcc, s[30:31]
; %bb.7551:                             ;   in Loop: Header=BB2_7317 Depth=3
	v_bfe_u32 v7, v14, 23, 1
; %bb.7552:                             ;   in Loop: Header=BB2_7317 Depth=3
	s_or_b64 exec, exec, vcc
	v_lshrrev_b64 v[14:15], 21, v[14:15]
	v_cmp_gt_i32_e32 vcc, 32, v7
	v_cndmask_b32_e32 v15, 0, v15, vcc
	v_cndmask_b32_e32 v14, 3, v14, vcc
	v_cmp_eq_u32_e32 vcc, 0, v7
	v_min_i32_e32 v7, 31, v7
	v_cmp_eq_u64_e64 s[30:31], 0, v[14:15]
	v_lshlrev_b32_e32 v7, 2, v7
	v_and_or_b32 v7, v14, 3, v7
	s_and_b64 vcc, vcc, s[30:31]
	v_cndmask_b32_e64 v7, v7, 0, vcc
	v_or_b32_e32 v52, v7, v0
.LBB2_7553:                             ;   in Loop: Header=BB2_7317 Depth=3
	s_or_b64 exec, exec, s[74:75]
.LBB2_7554:                             ;   in Loop: Header=BB2_7317 Depth=3
	s_or_b64 exec, exec, s[72:73]
                                        ; implicit-def: $vgpr7
                                        ; implicit-def: $vgpr14_vgpr15
.LBB2_7555:                             ;   in Loop: Header=BB2_7317 Depth=3
	s_andn2_saveexec_b64 s[30:31], s[70:71]
; %bb.7556:                             ;   in Loop: Header=BB2_7317 Depth=3
	v_or_b32_sdwa v0, v7, s39 dst_sel:DWORD dst_unused:UNUSED_PAD src0_sel:BYTE_3 src1_sel:DWORD
	v_cmp_eq_u64_e32 vcc, 0, v[14:15]
	v_cndmask_b32_e32 v52, v0, v52, vcc
; %bb.7557:                             ;   in Loop: Header=BB2_7317 Depth=3
	s_or_b64 exec, exec, s[30:31]
	v_lshrrev_b16_e32 v26, 8, v50
	v_lshrrev_b16_e32 v14, 8, v12
	v_cmp_ne_u16_e64 s[30:31], 0, v26
	s_and_b64 vcc, exec, s[68:69]
	s_cbranch_vccz .LBB2_7575
; %bb.7558:                             ;   in Loop: Header=BB2_7317 Depth=3
	v_mov_b32_e32 v7, 0
	v_mov_b32_e32 v0, 0
	s_and_saveexec_b64 s[70:71], s[30:31]
	s_cbranch_execz .LBB2_7566
; %bb.7559:                             ;   in Loop: Header=BB2_7317 Depth=3
	v_cmp_ne_u16_e32 vcc, s97, v26
	v_bfrev_b32_e32 v0, 1
	s_and_saveexec_b64 s[72:73], vcc
	s_cbranch_execz .LBB2_7565
; %bb.7560:                             ;   in Loop: Header=BB2_7317 Depth=3
	v_and_b32_e32 v0, 0x7c, v26
	v_and_b32_e32 v13, 3, v26
	v_cmp_ne_u32_e32 vcc, s95, v0
                                        ; implicit-def: $vgpr0
	s_and_saveexec_b64 s[74:75], vcc
	s_xor_b64 s[74:75], exec, s[74:75]
	s_cbranch_execz .LBB2_7562
; %bb.7561:                             ;   in Loop: Header=BB2_7317 Depth=3
	v_ffbh_u32_e32 v15, v13
	v_min_u32_e32 v15, 32, v15
	v_mov_b32_e32 v27, v51
	v_subrev_u32_e32 v24, 29, v15
	v_bfe_u32 v0, v26, 2, 5
	v_lshlrev_b64 v[30:31], v24, v[26:27]
	v_sub_u32_e32 v15, 30, v15
	v_and_b32_e32 v24, 3, v30
	v_cmp_eq_u32_e32 vcc, 0, v0
	v_cndmask_b32_e32 v0, v0, v15, vcc
	v_cndmask_b32_e32 v13, v13, v24, vcc
	v_bfrev_b32_e32 v24, 28
	v_lshlrev_b32_e32 v15, 16, v50
	v_lshl_add_u32 v0, v0, 23, v24
	v_and_or_b32 v0, v15, s96, v0
	v_lshl_or_b32 v0, v13, 21, v0
                                        ; implicit-def: $vgpr13
.LBB2_7562:                             ;   in Loop: Header=BB2_7317 Depth=3
	s_andn2_saveexec_b64 s[74:75], s[74:75]
; %bb.7563:                             ;   in Loop: Header=BB2_7317 Depth=3
	v_cmp_lt_i16_e32 vcc, -1, v50
	v_mov_b32_e32 v0, 0xc7600000
	v_mov_b32_e32 v15, 0x47600000
	v_cndmask_b32_e32 v0, v0, v15, vcc
	v_cmp_eq_u32_e32 vcc, 0, v13
	v_mov_b32_e32 v13, 0x7f800001
	v_cndmask_b32_e32 v0, v13, v0, vcc
; %bb.7564:                             ;   in Loop: Header=BB2_7317 Depth=3
	s_or_b64 exec, exec, s[74:75]
.LBB2_7565:                             ;   in Loop: Header=BB2_7317 Depth=3
	s_or_b64 exec, exec, s[72:73]
.LBB2_7566:                             ;   in Loop: Header=BB2_7317 Depth=3
	s_or_b64 exec, exec, s[70:71]
	v_cmp_ne_u16_e32 vcc, 0, v14
	s_and_saveexec_b64 s[70:71], vcc
	s_cbranch_execz .LBB2_7574
; %bb.7567:                             ;   in Loop: Header=BB2_7317 Depth=3
	v_cmp_ne_u16_e32 vcc, s97, v14
	v_bfrev_b32_e32 v7, 1
	s_and_saveexec_b64 s[72:73], vcc
	s_cbranch_execz .LBB2_7573
; %bb.7568:                             ;   in Loop: Header=BB2_7317 Depth=3
	v_and_b32_e32 v7, 0x7c, v14
	v_and_b32_e32 v13, 3, v14
	v_cmp_ne_u32_e32 vcc, s95, v7
                                        ; implicit-def: $vgpr7
	s_and_saveexec_b64 s[74:75], vcc
	s_xor_b64 s[74:75], exec, s[74:75]
	s_cbranch_execz .LBB2_7570
; %bb.7569:                             ;   in Loop: Header=BB2_7317 Depth=3
	v_ffbh_u32_e32 v24, v13
	v_min_u32_e32 v24, 32, v24
	v_mov_b32_e32 v15, v51
	v_subrev_u32_e32 v25, 29, v24
	v_bfe_u32 v7, v14, 2, 5
	v_lshlrev_b64 v[30:31], v25, v[14:15]
	v_sub_u32_e32 v15, 30, v24
	v_and_b32_e32 v24, 3, v30
	v_cmp_eq_u32_e32 vcc, 0, v7
	v_cndmask_b32_e32 v7, v7, v15, vcc
	v_cndmask_b32_e32 v13, v13, v24, vcc
	v_bfrev_b32_e32 v24, 28
	v_lshlrev_b32_e32 v15, 16, v12
	v_lshl_add_u32 v7, v7, 23, v24
	v_and_or_b32 v7, v15, s96, v7
	v_lshl_or_b32 v7, v13, 21, v7
                                        ; implicit-def: $vgpr13
.LBB2_7570:                             ;   in Loop: Header=BB2_7317 Depth=3
	s_andn2_saveexec_b64 s[74:75], s[74:75]
; %bb.7571:                             ;   in Loop: Header=BB2_7317 Depth=3
	v_cmp_lt_i16_e32 vcc, -1, v12
	v_mov_b32_e32 v7, 0xc7600000
	v_mov_b32_e32 v15, 0x47600000
	v_cndmask_b32_e32 v7, v7, v15, vcc
	v_cmp_eq_u32_e32 vcc, 0, v13
	v_mov_b32_e32 v13, 0x7f800001
	v_cndmask_b32_e32 v7, v13, v7, vcc
; %bb.7572:                             ;   in Loop: Header=BB2_7317 Depth=3
	s_or_b64 exec, exec, s[74:75]
.LBB2_7573:                             ;   in Loop: Header=BB2_7317 Depth=3
	s_or_b64 exec, exec, s[72:73]
.LBB2_7574:                             ;   in Loop: Header=BB2_7317 Depth=3
	s_or_b64 exec, exec, s[70:71]
	v_max_f32_e32 v7, v7, v7
	v_max_f32_e32 v0, v0, v0
	;; [unrolled: 1-line block ×3, first 2 shown]
	s_branch .LBB2_7593
.LBB2_7575:                             ;   in Loop: Header=BB2_7317 Depth=3
                                        ; implicit-def: $vgpr7
	s_cbranch_execz .LBB2_7593
; %bb.7576:                             ;   in Loop: Header=BB2_7317 Depth=3
	v_mov_b32_e32 v7, 0
	v_mov_b32_e32 v0, 0
	s_and_saveexec_b64 s[70:71], s[30:31]
	s_cbranch_execz .LBB2_7584
; %bb.7577:                             ;   in Loop: Header=BB2_7317 Depth=3
	v_cmp_ne_u16_e32 vcc, s97, v26
	v_bfrev_b32_e32 v0, 1
	s_and_saveexec_b64 s[30:31], vcc
	s_cbranch_execz .LBB2_7583
; %bb.7578:                             ;   in Loop: Header=BB2_7317 Depth=3
	v_and_b32_e32 v0, 0x7c, v26
	v_and_b32_e32 v13, 3, v26
	v_cmp_ne_u32_e32 vcc, s95, v0
                                        ; implicit-def: $vgpr0
	s_and_saveexec_b64 s[72:73], vcc
	s_xor_b64 s[72:73], exec, s[72:73]
	s_cbranch_execz .LBB2_7580
; %bb.7579:                             ;   in Loop: Header=BB2_7317 Depth=3
	v_ffbh_u32_e32 v15, v13
	v_min_u32_e32 v15, 32, v15
	v_mov_b32_e32 v27, v51
	v_subrev_u32_e32 v24, 29, v15
	v_bfe_u32 v0, v26, 2, 5
	v_lshlrev_b64 v[26:27], v24, v[26:27]
	v_sub_u32_e32 v15, 30, v15
	v_and_b32_e32 v24, 3, v26
	v_cmp_eq_u32_e32 vcc, 0, v0
	v_cndmask_b32_e32 v0, v0, v15, vcc
	v_cndmask_b32_e32 v13, v13, v24, vcc
	v_bfrev_b32_e32 v24, 28
	v_lshlrev_b32_e32 v15, 16, v50
	v_lshl_add_u32 v0, v0, 23, v24
	v_and_or_b32 v0, v15, s96, v0
	v_lshl_or_b32 v0, v13, 21, v0
                                        ; implicit-def: $vgpr13
.LBB2_7580:                             ;   in Loop: Header=BB2_7317 Depth=3
	s_andn2_saveexec_b64 s[72:73], s[72:73]
; %bb.7581:                             ;   in Loop: Header=BB2_7317 Depth=3
	v_cmp_lt_i16_e32 vcc, -1, v50
	v_mov_b32_e32 v0, 0xc7600000
	v_mov_b32_e32 v15, 0x47600000
	v_cndmask_b32_e32 v0, v0, v15, vcc
	v_cmp_eq_u32_e32 vcc, 0, v13
	v_mov_b32_e32 v13, 0x7f800001
	v_cndmask_b32_e32 v0, v13, v0, vcc
; %bb.7582:                             ;   in Loop: Header=BB2_7317 Depth=3
	s_or_b64 exec, exec, s[72:73]
.LBB2_7583:                             ;   in Loop: Header=BB2_7317 Depth=3
	s_or_b64 exec, exec, s[30:31]
.LBB2_7584:                             ;   in Loop: Header=BB2_7317 Depth=3
	s_or_b64 exec, exec, s[70:71]
	v_cmp_ne_u16_e32 vcc, 0, v14
	s_and_saveexec_b64 s[30:31], vcc
	s_cbranch_execz .LBB2_7592
; %bb.7585:                             ;   in Loop: Header=BB2_7317 Depth=3
	v_cmp_ne_u16_e32 vcc, s97, v14
	v_bfrev_b32_e32 v7, 1
	s_and_saveexec_b64 s[70:71], vcc
	s_cbranch_execz .LBB2_7591
; %bb.7586:                             ;   in Loop: Header=BB2_7317 Depth=3
	v_and_b32_e32 v7, 0x7c, v14
	v_and_b32_e32 v24, 3, v14
	v_cmp_ne_u32_e32 vcc, s95, v7
                                        ; implicit-def: $vgpr7
	s_and_saveexec_b64 s[72:73], vcc
	s_xor_b64 s[72:73], exec, s[72:73]
	s_cbranch_execz .LBB2_7588
; %bb.7587:                             ;   in Loop: Header=BB2_7317 Depth=3
	v_ffbh_u32_e32 v13, v24
	v_min_u32_e32 v13, 32, v13
	v_mov_b32_e32 v15, v51
	v_subrev_u32_e32 v25, 29, v13
	v_bfe_u32 v7, v14, 2, 5
	v_lshlrev_b64 v[14:15], v25, v[14:15]
	v_sub_u32_e32 v13, 30, v13
	v_and_b32_e32 v14, 3, v14
	v_cmp_eq_u32_e32 vcc, 0, v7
	v_cndmask_b32_e32 v7, v7, v13, vcc
	v_cndmask_b32_e32 v13, v24, v14, vcc
	v_bfrev_b32_e32 v14, 28
	v_lshlrev_b32_e32 v12, 16, v12
	v_lshl_add_u32 v7, v7, 23, v14
	v_and_or_b32 v7, v12, s96, v7
	v_lshl_or_b32 v7, v13, 21, v7
                                        ; implicit-def: $vgpr24
                                        ; implicit-def: $vgpr12_vgpr13
.LBB2_7588:                             ;   in Loop: Header=BB2_7317 Depth=3
	s_andn2_saveexec_b64 s[72:73], s[72:73]
; %bb.7589:                             ;   in Loop: Header=BB2_7317 Depth=3
	v_cmp_lt_i16_e32 vcc, -1, v12
	v_mov_b32_e32 v7, 0xc7600000
	v_mov_b32_e32 v12, 0x47600000
	v_cndmask_b32_e32 v7, v7, v12, vcc
	v_cmp_eq_u32_e32 vcc, 0, v24
	v_mov_b32_e32 v12, 0x7f800001
	v_cndmask_b32_e32 v7, v12, v7, vcc
; %bb.7590:                             ;   in Loop: Header=BB2_7317 Depth=3
	s_or_b64 exec, exec, s[72:73]
.LBB2_7591:                             ;   in Loop: Header=BB2_7317 Depth=3
	s_or_b64 exec, exec, s[70:71]
.LBB2_7592:                             ;   in Loop: Header=BB2_7317 Depth=3
	s_or_b64 exec, exec, s[30:31]
	v_max_f32_e32 v7, v7, v7
	v_max_f32_e32 v0, v0, v0
	v_min_f32_e32 v7, v0, v7
.LBB2_7593:                             ;   in Loop: Header=BB2_7317 Depth=3
	v_and_b32_sdwa v0, v7, s97 dst_sel:DWORD dst_unused:UNUSED_PAD src0_sel:BYTE_3 src1_sel:DWORD
	v_and_b32_e32 v12, 0x7f800000, v7
	v_mov_b32_e32 v13, v51
	v_and_b32_e32 v50, 0x7fffff, v7
	v_or_b32_e32 v26, 0x7b, v0
	v_cmp_ne_u64_e32 vcc, s[52:53], v[12:13]
	s_and_saveexec_b64 s[30:31], vcc
	s_xor_b64 s[70:71], exec, s[30:31]
	s_cbranch_execz .LBB2_7603
; %bb.7594:                             ;   in Loop: Header=BB2_7317 Depth=3
	v_and_b32_e32 v12, 0x7fffffff, v7
	v_mov_b32_e32 v13, v51
	v_cmp_gt_u64_e32 vcc, s[54:55], v[12:13]
	s_and_saveexec_b64 s[72:73], vcc
	s_cbranch_execz .LBB2_7602
; %bb.7595:                             ;   in Loop: Header=BB2_7317 Depth=3
	v_cmp_ne_u32_e32 vcc, 0, v7
	v_mov_b32_e32 v26, 0
	s_and_saveexec_b64 s[74:75], vcc
	s_cbranch_execz .LBB2_7601
; %bb.7596:                             ;   in Loop: Header=BB2_7317 Depth=3
	v_bfe_u32 v7, v7, 23, 8
	v_sub_u32_e32 v13, 0x71, v7
	v_cmp_gt_u32_e32 vcc, s38, v7
	v_add_u32_e32 v12, 0xffffff81, v7
	v_cndmask_b32_e32 v13, 0, v13, vcc
	v_cmp_eq_u32_e32 vcc, 0, v7
	v_mov_b32_e32 v7, 0xffffff82
	v_cndmask_b32_e32 v7, v12, v7, vcc
	v_mov_b32_e32 v12, 0x70
	v_or_b32_e32 v14, 0x800000, v50
	v_cndmask_b32_e32 v15, v13, v12, vcc
	v_cndmask_b32_e32 v50, v14, v50, vcc
	v_add_u32_e32 v12, 21, v15
	v_lshlrev_b64 v[12:13], v12, -1
	v_add_u32_e32 v14, 20, v15
	v_lshrrev_b64 v[30:31], v15, v[50:51]
	v_not_b32_e32 v13, v13
	v_not_b32_e32 v12, v12
	v_lshlrev_b64 v[26:27], v14, 1
	v_lshrrev_b32_e32 v14, 23, v30
	v_and_b32_e32 v13, 0, v13
	v_and_b32_e32 v12, v50, v12
	v_add3_u32 v15, v15, v7, v14
	v_bfe_u32 v7, v30, 21, 1
	v_add_u32_e32 v7, -1, v7
	v_cmp_eq_u64_e32 vcc, v[12:13], v[26:27]
	v_cndmask_b32_e32 v7, 0, v7, vcc
	v_add_u32_e32 v7, v7, v30
	v_and_b32_e32 v7, 0x1fffff, v7
	v_add_co_u32_e32 v12, vcc, v7, v30
	v_add_u32_e32 v14, 14, v15
	v_addc_co_u32_e32 v13, vcc, 0, v31, vcc
	v_cmp_ne_u32_e32 vcc, 0, v14
                                        ; implicit-def: $vgpr7
	s_and_saveexec_b64 s[30:31], vcc
	s_xor_b64 s[30:31], exec, s[30:31]
; %bb.7597:                             ;   in Loop: Header=BB2_7317 Depth=3
	v_add_u32_e32 v7, 15, v15
	v_cmp_lt_u64_e32 vcc, s[56:57], v[12:13]
	v_cndmask_b32_e32 v7, v14, v7, vcc
	v_cndmask_b32_e64 v14, 0, 1, vcc
	v_lshrrev_b64 v[12:13], v14, v[12:13]
; %bb.7598:                             ;   in Loop: Header=BB2_7317 Depth=3
	s_andn2_saveexec_b64 vcc, s[30:31]
; %bb.7599:                             ;   in Loop: Header=BB2_7317 Depth=3
	v_bfe_u32 v7, v12, 23, 1
; %bb.7600:                             ;   in Loop: Header=BB2_7317 Depth=3
	s_or_b64 exec, exec, vcc
	v_lshrrev_b64 v[12:13], 21, v[12:13]
	v_cmp_gt_i32_e32 vcc, 32, v7
	v_cndmask_b32_e32 v13, 0, v13, vcc
	v_cndmask_b32_e32 v12, 3, v12, vcc
	v_cmp_eq_u32_e32 vcc, 0, v7
	v_min_i32_e32 v7, 31, v7
	v_cmp_eq_u64_e64 s[30:31], 0, v[12:13]
	v_lshlrev_b32_e32 v7, 2, v7
	v_and_or_b32 v7, v12, 3, v7
	s_and_b64 vcc, vcc, s[30:31]
	v_cndmask_b32_e64 v7, v7, 0, vcc
	v_or_b32_e32 v26, v7, v0
.LBB2_7601:                             ;   in Loop: Header=BB2_7317 Depth=3
	s_or_b64 exec, exec, s[74:75]
.LBB2_7602:                             ;   in Loop: Header=BB2_7317 Depth=3
	s_or_b64 exec, exec, s[72:73]
                                        ; implicit-def: $vgpr7
.LBB2_7603:                             ;   in Loop: Header=BB2_7317 Depth=3
	s_andn2_saveexec_b64 s[30:31], s[70:71]
; %bb.7604:                             ;   in Loop: Header=BB2_7317 Depth=3
	v_or_b32_sdwa v0, v7, s39 dst_sel:DWORD dst_unused:UNUSED_PAD src0_sel:BYTE_3 src1_sel:DWORD
	v_cmp_eq_u64_e32 vcc, 0, v[50:51]
	v_cndmask_b32_e32 v26, v0, v26, vcc
; %bb.7605:                             ;   in Loop: Header=BB2_7317 Depth=3
	s_or_b64 exec, exec, s[30:31]
	v_lshrrev_b32_e32 v14, 16, v21
	v_lshrrev_b32_e32 v12, 16, v9
	v_cmp_ne_u16_sdwa s[30:31], v14, v51 src0_sel:BYTE_0 src1_sel:DWORD
	s_and_b64 vcc, exec, s[68:69]
	s_cbranch_vccz .LBB2_7623
; %bb.7606:                             ;   in Loop: Header=BB2_7317 Depth=3
	v_mov_b32_e32 v7, 0
	v_mov_b32_e32 v0, 0
	s_and_saveexec_b64 s[70:71], s[30:31]
	s_cbranch_execz .LBB2_7614
; %bb.7607:                             ;   in Loop: Header=BB2_7317 Depth=3
	v_cmp_ne_u16_sdwa vcc, v14, s97 src0_sel:BYTE_0 src1_sel:DWORD
	v_bfrev_b32_e32 v0, 1
	s_and_saveexec_b64 s[72:73], vcc
	s_cbranch_execz .LBB2_7613
; %bb.7608:                             ;   in Loop: Header=BB2_7317 Depth=3
	v_and_b32_e32 v0, 0x7c0000, v21
	v_bfe_u32 v13, v21, 16, 2
	v_cmp_ne_u32_e32 vcc, s36, v0
                                        ; implicit-def: $vgpr0
	s_and_saveexec_b64 s[74:75], vcc
	s_xor_b64 s[74:75], exec, s[74:75]
	s_cbranch_execz .LBB2_7610
; %bb.7609:                             ;   in Loop: Header=BB2_7317 Depth=3
	v_ffbh_u32_e32 v15, v13
	v_min_u32_e32 v15, 32, v15
	v_subrev_u32_e32 v24, 29, v15
	v_bfe_u32 v0, v21, 18, 5
	v_lshlrev_b64 v[30:31], v24, v[14:15]
	v_sub_u32_e32 v15, 30, v15
	v_and_b32_e32 v24, 3, v30
	v_cmp_eq_u32_e32 vcc, 0, v0
	v_cndmask_b32_e32 v0, v0, v15, vcc
	v_cndmask_b32_e32 v13, v13, v24, vcc
	v_bfrev_b32_e32 v24, 28
	v_lshlrev_b32_e32 v15, 24, v14
	v_lshl_add_u32 v0, v0, 23, v24
	v_and_or_b32 v0, v15, s96, v0
	v_lshl_or_b32 v0, v13, 21, v0
                                        ; implicit-def: $vgpr13
.LBB2_7610:                             ;   in Loop: Header=BB2_7317 Depth=3
	s_andn2_saveexec_b64 s[74:75], s[74:75]
; %bb.7611:                             ;   in Loop: Header=BB2_7317 Depth=3
	v_mov_b32_e32 v0, -1
	v_cmp_gt_i16_sdwa vcc, sext(v14), v0 src0_sel:BYTE_0 src1_sel:DWORD
	v_mov_b32_e32 v0, 0xc7600000
	v_mov_b32_e32 v15, 0x47600000
	v_cndmask_b32_e32 v0, v0, v15, vcc
	v_cmp_eq_u32_e32 vcc, 0, v13
	v_mov_b32_e32 v13, 0x7f800001
	v_cndmask_b32_e32 v0, v13, v0, vcc
; %bb.7612:                             ;   in Loop: Header=BB2_7317 Depth=3
	s_or_b64 exec, exec, s[74:75]
.LBB2_7613:                             ;   in Loop: Header=BB2_7317 Depth=3
	s_or_b64 exec, exec, s[72:73]
.LBB2_7614:                             ;   in Loop: Header=BB2_7317 Depth=3
	s_or_b64 exec, exec, s[70:71]
	v_cmp_ne_u16_sdwa vcc, v12, v51 src0_sel:BYTE_0 src1_sel:DWORD
	s_and_saveexec_b64 s[70:71], vcc
	s_cbranch_execz .LBB2_7622
; %bb.7615:                             ;   in Loop: Header=BB2_7317 Depth=3
	v_cmp_ne_u16_sdwa vcc, v12, s97 src0_sel:BYTE_0 src1_sel:DWORD
	v_bfrev_b32_e32 v7, 1
	s_and_saveexec_b64 s[72:73], vcc
	s_cbranch_execz .LBB2_7621
; %bb.7616:                             ;   in Loop: Header=BB2_7317 Depth=3
	v_and_b32_e32 v7, 0x7c0000, v9
	v_bfe_u32 v13, v9, 16, 2
	v_cmp_ne_u32_e32 vcc, s36, v7
                                        ; implicit-def: $vgpr7
	s_and_saveexec_b64 s[74:75], vcc
	s_xor_b64 s[74:75], exec, s[74:75]
	s_cbranch_execz .LBB2_7618
; %bb.7617:                             ;   in Loop: Header=BB2_7317 Depth=3
	v_ffbh_u32_e32 v15, v13
	v_min_u32_e32 v15, 32, v15
	v_subrev_u32_e32 v24, 29, v15
	v_bfe_u32 v7, v9, 18, 5
	v_lshlrev_b64 v[30:31], v24, v[12:13]
	v_sub_u32_e32 v15, 30, v15
	v_and_b32_e32 v24, 3, v30
	v_cmp_eq_u32_e32 vcc, 0, v7
	v_cndmask_b32_e32 v7, v7, v15, vcc
	v_cndmask_b32_e32 v13, v13, v24, vcc
	v_bfrev_b32_e32 v24, 28
	v_lshlrev_b32_e32 v15, 24, v12
	v_lshl_add_u32 v7, v7, 23, v24
	v_and_or_b32 v7, v15, s96, v7
	v_lshl_or_b32 v7, v13, 21, v7
                                        ; implicit-def: $vgpr13
.LBB2_7618:                             ;   in Loop: Header=BB2_7317 Depth=3
	s_andn2_saveexec_b64 s[74:75], s[74:75]
; %bb.7619:                             ;   in Loop: Header=BB2_7317 Depth=3
	v_mov_b32_e32 v7, -1
	v_cmp_gt_i16_sdwa vcc, sext(v12), v7 src0_sel:BYTE_0 src1_sel:DWORD
	v_mov_b32_e32 v7, 0xc7600000
	v_mov_b32_e32 v15, 0x47600000
	v_cndmask_b32_e32 v7, v7, v15, vcc
	v_cmp_eq_u32_e32 vcc, 0, v13
	v_mov_b32_e32 v13, 0x7f800001
	v_cndmask_b32_e32 v7, v13, v7, vcc
; %bb.7620:                             ;   in Loop: Header=BB2_7317 Depth=3
	s_or_b64 exec, exec, s[74:75]
.LBB2_7621:                             ;   in Loop: Header=BB2_7317 Depth=3
	s_or_b64 exec, exec, s[72:73]
.LBB2_7622:                             ;   in Loop: Header=BB2_7317 Depth=3
	s_or_b64 exec, exec, s[70:71]
	v_max_f32_e32 v7, v7, v7
	v_max_f32_e32 v0, v0, v0
	;; [unrolled: 1-line block ×3, first 2 shown]
	s_branch .LBB2_7641
.LBB2_7623:                             ;   in Loop: Header=BB2_7317 Depth=3
                                        ; implicit-def: $vgpr7
	s_cbranch_execz .LBB2_7641
; %bb.7624:                             ;   in Loop: Header=BB2_7317 Depth=3
	v_mov_b32_e32 v7, 0
	v_mov_b32_e32 v0, 0
	s_and_saveexec_b64 s[70:71], s[30:31]
	s_cbranch_execz .LBB2_7632
; %bb.7625:                             ;   in Loop: Header=BB2_7317 Depth=3
	v_cmp_ne_u16_sdwa vcc, v14, s97 src0_sel:BYTE_0 src1_sel:DWORD
	v_bfrev_b32_e32 v0, 1
	s_and_saveexec_b64 s[30:31], vcc
	s_cbranch_execz .LBB2_7631
; %bb.7626:                             ;   in Loop: Header=BB2_7317 Depth=3
	v_and_b32_e32 v0, 0x7c0000, v21
	v_bfe_u32 v13, v21, 16, 2
	v_cmp_ne_u32_e32 vcc, s36, v0
                                        ; implicit-def: $vgpr0
	s_and_saveexec_b64 s[72:73], vcc
	s_xor_b64 s[72:73], exec, s[72:73]
	s_cbranch_execz .LBB2_7628
; %bb.7627:                             ;   in Loop: Header=BB2_7317 Depth=3
	v_ffbh_u32_e32 v15, v13
	v_min_u32_e32 v15, 32, v15
	v_bfe_u32 v0, v21, 18, 5
	v_subrev_u32_e32 v24, 29, v15
	v_lshlrev_b64 v[30:31], v24, v[14:15]
	v_sub_u32_e32 v15, 30, v15
	v_cmp_eq_u32_e32 vcc, 0, v0
	v_cndmask_b32_e32 v0, v0, v15, vcc
	v_bfrev_b32_e32 v15, 28
	v_and_b32_e32 v24, 3, v30
	v_lshlrev_b32_e32 v14, 24, v14
	v_lshl_add_u32 v0, v0, 23, v15
	v_cndmask_b32_e32 v13, v13, v24, vcc
	v_and_or_b32 v0, v14, s96, v0
	v_lshl_or_b32 v0, v13, 21, v0
                                        ; implicit-def: $vgpr13
                                        ; implicit-def: $vgpr14
.LBB2_7628:                             ;   in Loop: Header=BB2_7317 Depth=3
	s_andn2_saveexec_b64 s[72:73], s[72:73]
; %bb.7629:                             ;   in Loop: Header=BB2_7317 Depth=3
	v_mov_b32_e32 v0, -1
	v_cmp_gt_i16_sdwa vcc, sext(v14), v0 src0_sel:BYTE_0 src1_sel:DWORD
	v_mov_b32_e32 v0, 0xc7600000
	v_mov_b32_e32 v14, 0x47600000
	v_cndmask_b32_e32 v0, v0, v14, vcc
	v_cmp_eq_u32_e32 vcc, 0, v13
	v_mov_b32_e32 v13, 0x7f800001
	v_cndmask_b32_e32 v0, v13, v0, vcc
; %bb.7630:                             ;   in Loop: Header=BB2_7317 Depth=3
	s_or_b64 exec, exec, s[72:73]
.LBB2_7631:                             ;   in Loop: Header=BB2_7317 Depth=3
	s_or_b64 exec, exec, s[30:31]
.LBB2_7632:                             ;   in Loop: Header=BB2_7317 Depth=3
	s_or_b64 exec, exec, s[70:71]
	v_cmp_ne_u16_sdwa vcc, v12, v51 src0_sel:BYTE_0 src1_sel:DWORD
	s_and_saveexec_b64 s[30:31], vcc
	s_cbranch_execz .LBB2_7640
; %bb.7633:                             ;   in Loop: Header=BB2_7317 Depth=3
	v_cmp_ne_u16_sdwa vcc, v12, s97 src0_sel:BYTE_0 src1_sel:DWORD
	v_bfrev_b32_e32 v7, 1
	s_and_saveexec_b64 s[70:71], vcc
	s_cbranch_execz .LBB2_7639
; %bb.7634:                             ;   in Loop: Header=BB2_7317 Depth=3
	v_and_b32_e32 v7, 0x7c0000, v9
	v_bfe_u32 v13, v9, 16, 2
	v_cmp_ne_u32_e32 vcc, s36, v7
                                        ; implicit-def: $vgpr7
	s_and_saveexec_b64 s[72:73], vcc
	s_xor_b64 s[72:73], exec, s[72:73]
	s_cbranch_execz .LBB2_7636
; %bb.7635:                             ;   in Loop: Header=BB2_7317 Depth=3
	v_ffbh_u32_e32 v14, v13
	v_min_u32_e32 v24, 32, v14
	v_subrev_u32_e32 v14, 29, v24
	v_bfe_u32 v7, v9, 18, 5
	v_lshlrev_b64 v[14:15], v14, v[12:13]
	v_sub_u32_e32 v15, 30, v24
	v_and_b32_e32 v14, 3, v14
	v_cmp_eq_u32_e32 vcc, 0, v7
	v_cndmask_b32_e32 v7, v7, v15, vcc
	v_cndmask_b32_e32 v13, v13, v14, vcc
	v_bfrev_b32_e32 v14, 28
	v_lshlrev_b32_e32 v12, 24, v12
	v_lshl_add_u32 v7, v7, 23, v14
	v_and_or_b32 v7, v12, s96, v7
	v_lshl_or_b32 v7, v13, 21, v7
                                        ; implicit-def: $vgpr13
                                        ; implicit-def: $vgpr12
.LBB2_7636:                             ;   in Loop: Header=BB2_7317 Depth=3
	s_andn2_saveexec_b64 s[72:73], s[72:73]
; %bb.7637:                             ;   in Loop: Header=BB2_7317 Depth=3
	v_mov_b32_e32 v7, -1
	v_cmp_gt_i16_sdwa vcc, sext(v12), v7 src0_sel:BYTE_0 src1_sel:DWORD
	v_mov_b32_e32 v7, 0xc7600000
	v_mov_b32_e32 v12, 0x47600000
	v_cndmask_b32_e32 v7, v7, v12, vcc
	v_cmp_eq_u32_e32 vcc, 0, v13
	v_mov_b32_e32 v12, 0x7f800001
	v_cndmask_b32_e32 v7, v12, v7, vcc
; %bb.7638:                             ;   in Loop: Header=BB2_7317 Depth=3
	s_or_b64 exec, exec, s[72:73]
.LBB2_7639:                             ;   in Loop: Header=BB2_7317 Depth=3
	s_or_b64 exec, exec, s[70:71]
.LBB2_7640:                             ;   in Loop: Header=BB2_7317 Depth=3
	s_or_b64 exec, exec, s[30:31]
	v_max_f32_e32 v7, v7, v7
	v_max_f32_e32 v0, v0, v0
	v_min_f32_e32 v7, v0, v7
.LBB2_7641:                             ;   in Loop: Header=BB2_7317 Depth=3
	v_and_b32_sdwa v0, v7, s97 dst_sel:DWORD dst_unused:UNUSED_PAD src0_sel:BYTE_3 src1_sel:DWORD
	v_and_b32_e32 v12, 0x7f800000, v7
	v_mov_b32_e32 v13, v51
	v_and_b32_e32 v50, 0x7fffff, v7
	v_or_b32_e32 v27, 0x7b, v0
	v_cmp_ne_u64_e32 vcc, s[52:53], v[12:13]
	s_and_saveexec_b64 s[30:31], vcc
	s_xor_b64 s[70:71], exec, s[30:31]
	s_cbranch_execz .LBB2_7651
; %bb.7642:                             ;   in Loop: Header=BB2_7317 Depth=3
	v_and_b32_e32 v12, 0x7fffffff, v7
	v_mov_b32_e32 v13, v51
	v_cmp_gt_u64_e32 vcc, s[54:55], v[12:13]
	s_and_saveexec_b64 s[72:73], vcc
	s_cbranch_execz .LBB2_7650
; %bb.7643:                             ;   in Loop: Header=BB2_7317 Depth=3
	v_cmp_ne_u32_e32 vcc, 0, v7
	v_mov_b32_e32 v27, 0
	s_and_saveexec_b64 s[74:75], vcc
	s_cbranch_execz .LBB2_7649
; %bb.7644:                             ;   in Loop: Header=BB2_7317 Depth=3
	v_bfe_u32 v7, v7, 23, 8
	v_sub_u32_e32 v13, 0x71, v7
	v_cmp_gt_u32_e32 vcc, s38, v7
	v_add_u32_e32 v12, 0xffffff81, v7
	v_cndmask_b32_e32 v13, 0, v13, vcc
	v_cmp_eq_u32_e32 vcc, 0, v7
	v_mov_b32_e32 v7, 0xffffff82
	v_cndmask_b32_e32 v7, v12, v7, vcc
	v_mov_b32_e32 v12, 0x70
	v_or_b32_e32 v14, 0x800000, v50
	v_cndmask_b32_e32 v15, v13, v12, vcc
	v_cndmask_b32_e32 v50, v14, v50, vcc
	v_add_u32_e32 v12, 21, v15
	v_lshlrev_b64 v[12:13], v12, -1
	v_add_u32_e32 v14, 20, v15
	v_lshrrev_b64 v[54:55], v15, v[50:51]
	v_not_b32_e32 v13, v13
	v_not_b32_e32 v12, v12
	v_lshlrev_b64 v[30:31], v14, 1
	v_lshrrev_b32_e32 v14, 23, v54
	v_and_b32_e32 v13, 0, v13
	v_and_b32_e32 v12, v50, v12
	v_add3_u32 v15, v15, v7, v14
	v_bfe_u32 v7, v54, 21, 1
	v_add_u32_e32 v7, -1, v7
	v_cmp_eq_u64_e32 vcc, v[12:13], v[30:31]
	v_cndmask_b32_e32 v7, 0, v7, vcc
	v_add_u32_e32 v7, v7, v54
	v_and_b32_e32 v7, 0x1fffff, v7
	v_add_co_u32_e32 v12, vcc, v7, v54
	v_add_u32_e32 v14, 14, v15
	v_addc_co_u32_e32 v13, vcc, 0, v55, vcc
	v_cmp_ne_u32_e32 vcc, 0, v14
                                        ; implicit-def: $vgpr7
	s_and_saveexec_b64 s[30:31], vcc
	s_xor_b64 s[30:31], exec, s[30:31]
; %bb.7645:                             ;   in Loop: Header=BB2_7317 Depth=3
	v_add_u32_e32 v7, 15, v15
	v_cmp_lt_u64_e32 vcc, s[56:57], v[12:13]
	v_cndmask_b32_e32 v7, v14, v7, vcc
	v_cndmask_b32_e64 v14, 0, 1, vcc
	v_lshrrev_b64 v[12:13], v14, v[12:13]
; %bb.7646:                             ;   in Loop: Header=BB2_7317 Depth=3
	s_andn2_saveexec_b64 vcc, s[30:31]
; %bb.7647:                             ;   in Loop: Header=BB2_7317 Depth=3
	v_bfe_u32 v7, v12, 23, 1
; %bb.7648:                             ;   in Loop: Header=BB2_7317 Depth=3
	s_or_b64 exec, exec, vcc
	v_lshrrev_b64 v[12:13], 21, v[12:13]
	v_cmp_gt_i32_e32 vcc, 32, v7
	v_cndmask_b32_e32 v13, 0, v13, vcc
	v_cndmask_b32_e32 v12, 3, v12, vcc
	v_cmp_eq_u32_e32 vcc, 0, v7
	v_min_i32_e32 v7, 31, v7
	v_cmp_eq_u64_e64 s[30:31], 0, v[12:13]
	v_lshlrev_b32_e32 v7, 2, v7
	v_and_or_b32 v7, v12, 3, v7
	s_and_b64 vcc, vcc, s[30:31]
	v_cndmask_b32_e64 v7, v7, 0, vcc
	v_or_b32_e32 v27, v7, v0
.LBB2_7649:                             ;   in Loop: Header=BB2_7317 Depth=3
	s_or_b64 exec, exec, s[74:75]
.LBB2_7650:                             ;   in Loop: Header=BB2_7317 Depth=3
	s_or_b64 exec, exec, s[72:73]
                                        ; implicit-def: $vgpr7
.LBB2_7651:                             ;   in Loop: Header=BB2_7317 Depth=3
	s_andn2_saveexec_b64 s[30:31], s[70:71]
; %bb.7652:                             ;   in Loop: Header=BB2_7317 Depth=3
	v_or_b32_sdwa v0, v7, s39 dst_sel:DWORD dst_unused:UNUSED_PAD src0_sel:BYTE_3 src1_sel:DWORD
	v_cmp_eq_u64_e32 vcc, 0, v[50:51]
	v_cndmask_b32_e32 v27, v0, v27, vcc
; %bb.7653:                             ;   in Loop: Header=BB2_7317 Depth=3
	s_or_b64 exec, exec, s[30:31]
	v_lshrrev_b32_e32 v14, 24, v21
	v_lshrrev_b32_e32 v12, 24, v9
	v_cmp_lt_u64_e64 s[30:31], s[42:43], v[20:21]
	s_and_b64 vcc, exec, s[68:69]
	s_cbranch_vccz .LBB2_7671
; %bb.7654:                             ;   in Loop: Header=BB2_7317 Depth=3
	v_mov_b32_e32 v7, 0
	v_mov_b32_e32 v0, 0
	s_and_saveexec_b64 s[70:71], s[30:31]
	s_cbranch_execz .LBB2_7662
; %bb.7655:                             ;   in Loop: Header=BB2_7317 Depth=3
	v_cmp_ne_u32_e32 vcc, s97, v14
	v_bfrev_b32_e32 v0, 1
	s_and_saveexec_b64 s[72:73], vcc
	s_cbranch_execz .LBB2_7661
; %bb.7656:                             ;   in Loop: Header=BB2_7317 Depth=3
	v_and_b32_e32 v0, 0x7c000000, v21
	v_bfe_u32 v13, v21, 24, 2
	v_cmp_ne_u32_e32 vcc, s37, v0
                                        ; implicit-def: $vgpr0
	s_and_saveexec_b64 s[74:75], vcc
	s_xor_b64 s[74:75], exec, s[74:75]
	s_cbranch_execz .LBB2_7658
; %bb.7657:                             ;   in Loop: Header=BB2_7317 Depth=3
	v_ffbh_u32_e32 v15, v13
	v_min_u32_e32 v15, 32, v15
	v_bfe_u32 v0, v21, 26, 5
	v_subrev_u32_e32 v24, 29, v15
	v_lshlrev_b64 v[30:31], v24, v[14:15]
	v_sub_u32_e32 v15, 30, v15
	v_cmp_eq_u32_e32 vcc, 0, v0
	v_cndmask_b32_e32 v0, v0, v15, vcc
	v_bfrev_b32_e32 v15, 28
	v_and_b32_e32 v24, 3, v30
	v_lshl_add_u32 v0, v0, 23, v15
	v_cndmask_b32_e32 v13, v13, v24, vcc
	v_and_or_b32 v0, v21, s96, v0
	v_lshl_or_b32 v0, v13, 21, v0
                                        ; implicit-def: $vgpr13
.LBB2_7658:                             ;   in Loop: Header=BB2_7317 Depth=3
	s_andn2_saveexec_b64 s[74:75], s[74:75]
; %bb.7659:                             ;   in Loop: Header=BB2_7317 Depth=3
	v_cmp_lt_i64_e32 vcc, -1, v[20:21]
	v_mov_b32_e32 v0, 0xc7600000
	v_mov_b32_e32 v15, 0x47600000
	v_cndmask_b32_e32 v0, v0, v15, vcc
	v_cmp_eq_u32_e32 vcc, 0, v13
	v_mov_b32_e32 v13, 0x7f800001
	v_cndmask_b32_e32 v0, v13, v0, vcc
; %bb.7660:                             ;   in Loop: Header=BB2_7317 Depth=3
	s_or_b64 exec, exec, s[74:75]
.LBB2_7661:                             ;   in Loop: Header=BB2_7317 Depth=3
	s_or_b64 exec, exec, s[72:73]
.LBB2_7662:                             ;   in Loop: Header=BB2_7317 Depth=3
	s_or_b64 exec, exec, s[70:71]
	v_cmp_lt_u64_e32 vcc, s[42:43], v[8:9]
	s_and_saveexec_b64 s[70:71], vcc
	s_cbranch_execz .LBB2_7670
; %bb.7663:                             ;   in Loop: Header=BB2_7317 Depth=3
	v_cmp_ne_u32_e32 vcc, s97, v12
	v_bfrev_b32_e32 v7, 1
	s_and_saveexec_b64 s[72:73], vcc
	s_cbranch_execz .LBB2_7669
; %bb.7664:                             ;   in Loop: Header=BB2_7317 Depth=3
	v_and_b32_e32 v7, 0x7c000000, v9
	v_bfe_u32 v13, v9, 24, 2
	v_cmp_ne_u32_e32 vcc, s37, v7
                                        ; implicit-def: $vgpr7
	s_and_saveexec_b64 s[74:75], vcc
	s_xor_b64 s[74:75], exec, s[74:75]
	s_cbranch_execz .LBB2_7666
; %bb.7665:                             ;   in Loop: Header=BB2_7317 Depth=3
	v_ffbh_u32_e32 v15, v13
	v_bfe_u32 v7, v9, 26, 5
	v_min_u32_e32 v15, 32, v15
	v_subrev_u32_e32 v24, 29, v15
	v_sub_u32_e32 v15, 30, v15
	v_cmp_eq_u32_e32 vcc, 0, v7
	v_lshlrev_b64 v[30:31], v24, v[12:13]
	v_cndmask_b32_e32 v7, v7, v15, vcc
	v_bfrev_b32_e32 v15, 28
	v_and_b32_e32 v24, 3, v30
	v_lshl_add_u32 v7, v7, 23, v15
	v_cndmask_b32_e32 v13, v13, v24, vcc
	v_and_or_b32 v7, v9, s96, v7
	v_lshl_or_b32 v7, v13, 21, v7
                                        ; implicit-def: $vgpr13
.LBB2_7666:                             ;   in Loop: Header=BB2_7317 Depth=3
	s_andn2_saveexec_b64 s[74:75], s[74:75]
; %bb.7667:                             ;   in Loop: Header=BB2_7317 Depth=3
	v_cmp_lt_i64_e32 vcc, -1, v[8:9]
	v_mov_b32_e32 v7, 0xc7600000
	v_mov_b32_e32 v15, 0x47600000
	v_cndmask_b32_e32 v7, v7, v15, vcc
	v_cmp_eq_u32_e32 vcc, 0, v13
	v_mov_b32_e32 v13, 0x7f800001
	v_cndmask_b32_e32 v7, v13, v7, vcc
; %bb.7668:                             ;   in Loop: Header=BB2_7317 Depth=3
	s_or_b64 exec, exec, s[74:75]
.LBB2_7669:                             ;   in Loop: Header=BB2_7317 Depth=3
	s_or_b64 exec, exec, s[72:73]
.LBB2_7670:                             ;   in Loop: Header=BB2_7317 Depth=3
	s_or_b64 exec, exec, s[70:71]
	v_max_f32_e32 v7, v7, v7
	v_max_f32_e32 v0, v0, v0
	;; [unrolled: 1-line block ×3, first 2 shown]
	s_branch .LBB2_7689
.LBB2_7671:                             ;   in Loop: Header=BB2_7317 Depth=3
                                        ; implicit-def: $vgpr7
	s_cbranch_execz .LBB2_7689
; %bb.7672:                             ;   in Loop: Header=BB2_7317 Depth=3
	v_mov_b32_e32 v7, 0
	v_mov_b32_e32 v0, 0
	s_and_saveexec_b64 s[70:71], s[30:31]
	s_cbranch_execz .LBB2_7680
; %bb.7673:                             ;   in Loop: Header=BB2_7317 Depth=3
	v_cmp_ne_u32_e32 vcc, s97, v14
	v_bfrev_b32_e32 v0, 1
	s_and_saveexec_b64 s[30:31], vcc
	s_cbranch_execz .LBB2_7679
; %bb.7674:                             ;   in Loop: Header=BB2_7317 Depth=3
	v_and_b32_e32 v0, 0x7c000000, v21
	v_bfe_u32 v13, v21, 24, 2
	v_cmp_ne_u32_e32 vcc, s37, v0
                                        ; implicit-def: $vgpr0
	s_and_saveexec_b64 s[72:73], vcc
	s_xor_b64 s[72:73], exec, s[72:73]
	s_cbranch_execz .LBB2_7676
; %bb.7675:                             ;   in Loop: Header=BB2_7317 Depth=3
	v_ffbh_u32_e32 v15, v13
	v_min_u32_e32 v20, 32, v15
	v_subrev_u32_e32 v15, 29, v20
	v_bfe_u32 v0, v21, 26, 5
	v_lshlrev_b64 v[14:15], v15, v[14:15]
	v_sub_u32_e32 v15, 30, v20
	v_and_b32_e32 v14, 3, v14
	v_cmp_eq_u32_e32 vcc, 0, v0
	v_cndmask_b32_e32 v0, v0, v15, vcc
	v_cndmask_b32_e32 v13, v13, v14, vcc
	v_bfrev_b32_e32 v14, 28
	v_lshl_add_u32 v0, v0, 23, v14
	v_and_or_b32 v0, v21, s96, v0
	v_lshl_or_b32 v0, v13, 21, v0
                                        ; implicit-def: $vgpr13
.LBB2_7676:                             ;   in Loop: Header=BB2_7317 Depth=3
	s_andn2_saveexec_b64 s[72:73], s[72:73]
; %bb.7677:                             ;   in Loop: Header=BB2_7317 Depth=3
	v_cmp_lt_i64_e32 vcc, -1, v[20:21]
	v_mov_b32_e32 v0, 0xc7600000
	v_mov_b32_e32 v14, 0x47600000
	v_cndmask_b32_e32 v0, v0, v14, vcc
	v_cmp_eq_u32_e32 vcc, 0, v13
	v_mov_b32_e32 v13, 0x7f800001
	v_cndmask_b32_e32 v0, v13, v0, vcc
; %bb.7678:                             ;   in Loop: Header=BB2_7317 Depth=3
	s_or_b64 exec, exec, s[72:73]
.LBB2_7679:                             ;   in Loop: Header=BB2_7317 Depth=3
	s_or_b64 exec, exec, s[30:31]
.LBB2_7680:                             ;   in Loop: Header=BB2_7317 Depth=3
	s_or_b64 exec, exec, s[70:71]
	v_cmp_lt_u64_e32 vcc, s[42:43], v[8:9]
	s_and_saveexec_b64 s[30:31], vcc
	s_cbranch_execz .LBB2_7688
; %bb.7681:                             ;   in Loop: Header=BB2_7317 Depth=3
	v_cmp_ne_u32_e32 vcc, s97, v12
	v_bfrev_b32_e32 v7, 1
	s_and_saveexec_b64 s[70:71], vcc
	s_cbranch_execz .LBB2_7687
; %bb.7682:                             ;   in Loop: Header=BB2_7317 Depth=3
	v_and_b32_e32 v7, 0x7c000000, v9
	v_bfe_u32 v13, v9, 24, 2
	v_cmp_ne_u32_e32 vcc, s37, v7
                                        ; implicit-def: $vgpr7
	s_and_saveexec_b64 s[72:73], vcc
	s_xor_b64 s[72:73], exec, s[72:73]
	s_cbranch_execz .LBB2_7684
; %bb.7683:                             ;   in Loop: Header=BB2_7317 Depth=3
	v_ffbh_u32_e32 v8, v13
	v_min_u32_e32 v8, 32, v8
	v_subrev_u32_e32 v14, 29, v8
	v_bfe_u32 v7, v9, 26, 5
	v_lshlrev_b64 v[14:15], v14, v[12:13]
	v_sub_u32_e32 v8, 30, v8
	v_and_b32_e32 v12, 3, v14
	v_cmp_eq_u32_e32 vcc, 0, v7
	v_cndmask_b32_e32 v7, v7, v8, vcc
	v_cndmask_b32_e32 v8, v13, v12, vcc
	v_bfrev_b32_e32 v12, 28
	v_lshl_add_u32 v7, v7, 23, v12
	v_and_or_b32 v7, v9, s96, v7
	v_lshl_or_b32 v7, v8, 21, v7
                                        ; implicit-def: $vgpr13
.LBB2_7684:                             ;   in Loop: Header=BB2_7317 Depth=3
	s_andn2_saveexec_b64 s[72:73], s[72:73]
; %bb.7685:                             ;   in Loop: Header=BB2_7317 Depth=3
	v_cmp_lt_i64_e32 vcc, -1, v[8:9]
	v_mov_b32_e32 v7, 0xc7600000
	v_mov_b32_e32 v8, 0x47600000
	v_cndmask_b32_e32 v7, v7, v8, vcc
	v_cmp_eq_u32_e32 vcc, 0, v13
	v_mov_b32_e32 v8, 0x7f800001
	v_cndmask_b32_e32 v7, v8, v7, vcc
; %bb.7686:                             ;   in Loop: Header=BB2_7317 Depth=3
	s_or_b64 exec, exec, s[72:73]
.LBB2_7687:                             ;   in Loop: Header=BB2_7317 Depth=3
	s_or_b64 exec, exec, s[70:71]
.LBB2_7688:                             ;   in Loop: Header=BB2_7317 Depth=3
	s_or_b64 exec, exec, s[30:31]
	v_max_f32_e32 v7, v7, v7
	v_max_f32_e32 v0, v0, v0
	v_min_f32_e32 v7, v0, v7
.LBB2_7689:                             ;   in Loop: Header=BB2_7317 Depth=3
	v_and_b32_sdwa v0, v7, s97 dst_sel:DWORD dst_unused:UNUSED_PAD src0_sel:BYTE_3 src1_sel:DWORD
	v_and_b32_e32 v8, 0x7f800000, v7
	v_mov_b32_e32 v9, v51
	v_and_b32_e32 v50, 0x7fffff, v7
	v_or_b32_e32 v20, 0x7b, v0
	v_cmp_ne_u64_e32 vcc, s[52:53], v[8:9]
	s_and_saveexec_b64 s[30:31], vcc
	s_xor_b64 s[70:71], exec, s[30:31]
	s_cbranch_execz .LBB2_7717
; %bb.7690:                             ;   in Loop: Header=BB2_7317 Depth=3
	v_and_b32_e32 v8, 0x7fffffff, v7
	v_mov_b32_e32 v9, v51
	v_cmp_gt_u64_e32 vcc, s[54:55], v[8:9]
	s_and_saveexec_b64 s[72:73], vcc
	s_cbranch_execz .LBB2_7698
; %bb.7691:                             ;   in Loop: Header=BB2_7317 Depth=3
	v_cmp_ne_u32_e32 vcc, 0, v7
	v_mov_b32_e32 v20, 0
	s_and_saveexec_b64 s[74:75], vcc
	s_cbranch_execz .LBB2_7697
; %bb.7692:                             ;   in Loop: Header=BB2_7317 Depth=3
	v_bfe_u32 v7, v7, 23, 8
	v_sub_u32_e32 v9, 0x71, v7
	v_cmp_gt_u32_e32 vcc, s38, v7
	v_add_u32_e32 v8, 0xffffff81, v7
	v_cndmask_b32_e32 v9, 0, v9, vcc
	v_cmp_eq_u32_e32 vcc, 0, v7
	v_mov_b32_e32 v7, 0xffffff82
	v_cndmask_b32_e32 v7, v8, v7, vcc
	v_mov_b32_e32 v8, 0x70
	v_or_b32_e32 v12, 0x800000, v50
	v_cndmask_b32_e32 v13, v9, v8, vcc
	v_cndmask_b32_e32 v50, v12, v50, vcc
	v_add_u32_e32 v8, 21, v13
	v_lshlrev_b64 v[8:9], v8, -1
	v_add_u32_e32 v12, 20, v13
	v_lshrrev_b64 v[20:21], v13, v[50:51]
	v_not_b32_e32 v9, v9
	v_not_b32_e32 v8, v8
	v_lshlrev_b64 v[14:15], v12, 1
	v_lshrrev_b32_e32 v12, 23, v20
	v_and_b32_e32 v9, 0, v9
	v_and_b32_e32 v8, v50, v8
	v_add3_u32 v13, v13, v7, v12
	v_bfe_u32 v7, v20, 21, 1
	v_add_u32_e32 v7, -1, v7
	v_cmp_eq_u64_e32 vcc, v[8:9], v[14:15]
	v_cndmask_b32_e32 v7, 0, v7, vcc
	v_add_u32_e32 v7, v7, v20
	v_and_b32_e32 v7, 0x1fffff, v7
	v_add_co_u32_e32 v8, vcc, v7, v20
	v_add_u32_e32 v12, 14, v13
	v_addc_co_u32_e32 v9, vcc, 0, v21, vcc
	v_cmp_ne_u32_e32 vcc, 0, v12
                                        ; implicit-def: $vgpr7
	s_and_saveexec_b64 s[30:31], vcc
	s_xor_b64 s[30:31], exec, s[30:31]
; %bb.7693:                             ;   in Loop: Header=BB2_7317 Depth=3
	v_add_u32_e32 v7, 15, v13
	v_cmp_lt_u64_e32 vcc, s[56:57], v[8:9]
	v_cndmask_b32_e32 v7, v12, v7, vcc
	v_cndmask_b32_e64 v12, 0, 1, vcc
	v_lshrrev_b64 v[8:9], v12, v[8:9]
; %bb.7694:                             ;   in Loop: Header=BB2_7317 Depth=3
	s_andn2_saveexec_b64 vcc, s[30:31]
; %bb.7695:                             ;   in Loop: Header=BB2_7317 Depth=3
	v_bfe_u32 v7, v8, 23, 1
; %bb.7696:                             ;   in Loop: Header=BB2_7317 Depth=3
	s_or_b64 exec, exec, vcc
	v_lshrrev_b64 v[8:9], 21, v[8:9]
	v_cmp_gt_i32_e32 vcc, 32, v7
	v_cndmask_b32_e32 v9, 0, v9, vcc
	v_cndmask_b32_e32 v8, 3, v8, vcc
	v_cmp_eq_u32_e32 vcc, 0, v7
	v_min_i32_e32 v7, 31, v7
	v_lshlrev_b32_e32 v7, 2, v7
	v_cmp_eq_u64_e64 s[30:31], 0, v[8:9]
	v_and_b32_e32 v7, 0xfc, v7
	v_and_or_b32 v7, v8, 3, v7
	s_and_b64 vcc, vcc, s[30:31]
	v_cndmask_b32_e64 v7, v7, 0, vcc
	v_or_b32_e32 v20, v7, v0
.LBB2_7697:                             ;   in Loop: Header=BB2_7317 Depth=3
	s_or_b64 exec, exec, s[74:75]
.LBB2_7698:                             ;   in Loop: Header=BB2_7317 Depth=3
	s_or_b64 exec, exec, s[72:73]
                                        ; implicit-def: $vgpr7
	s_andn2_saveexec_b64 s[30:31], s[70:71]
	s_cbranch_execnz .LBB2_7718
.LBB2_7699:                             ;   in Loop: Header=BB2_7317 Depth=3
	s_or_b64 exec, exec, s[30:31]
	v_cmp_ne_u16_sdwa s[30:31], v22, v51 src0_sel:BYTE_0 src1_sel:DWORD
	s_and_b64 vcc, exec, s[68:69]
	s_cbranch_vccz .LBB2_7719
.LBB2_7700:                             ;   in Loop: Header=BB2_7317 Depth=3
	v_mov_b32_e32 v7, 0
	v_mov_b32_e32 v0, 0
	s_and_saveexec_b64 s[70:71], s[30:31]
	s_cbranch_execz .LBB2_7708
; %bb.7701:                             ;   in Loop: Header=BB2_7317 Depth=3
	v_cmp_ne_u16_sdwa vcc, sext(v22), s94 src0_sel:BYTE_0 src1_sel:DWORD
	v_bfrev_b32_e32 v0, 1
	s_and_saveexec_b64 s[72:73], vcc
	s_cbranch_execz .LBB2_7707
; %bb.7702:                             ;   in Loop: Header=BB2_7317 Depth=3
	v_and_b32_e32 v0, 0x7c, v22
	v_and_b32_e32 v8, 3, v22
	v_cmp_ne_u32_e32 vcc, s95, v0
                                        ; implicit-def: $vgpr0
	s_and_saveexec_b64 s[74:75], vcc
	s_xor_b64 s[74:75], exec, s[74:75]
	s_cbranch_execz .LBB2_7704
; %bb.7703:                             ;   in Loop: Header=BB2_7317 Depth=3
	v_ffbh_u32_e32 v9, v8
	v_min_u32_e32 v9, 32, v9
	v_subrev_u32_e32 v12, 29, v9
	v_bfe_u32 v0, v22, 2, 5
	v_lshlrev_b64 v[12:13], v12, v[22:23]
	v_sub_u32_e32 v9, 30, v9
	v_and_b32_e32 v12, 3, v12
	v_cmp_eq_u32_e32 vcc, 0, v0
	v_cndmask_b32_e32 v0, v0, v9, vcc
	v_cndmask_b32_e32 v8, v8, v12, vcc
	v_bfrev_b32_e32 v12, 28
	v_lshlrev_b32_e32 v9, 24, v22
	v_lshl_add_u32 v0, v0, 23, v12
	v_and_or_b32 v0, v9, s96, v0
	v_lshl_or_b32 v0, v8, 21, v0
                                        ; implicit-def: $vgpr8
.LBB2_7704:                             ;   in Loop: Header=BB2_7317 Depth=3
	s_andn2_saveexec_b64 s[74:75], s[74:75]
; %bb.7705:                             ;   in Loop: Header=BB2_7317 Depth=3
	v_mov_b32_e32 v0, -1
	v_cmp_gt_i16_sdwa vcc, sext(v22), v0 src0_sel:BYTE_0 src1_sel:DWORD
	v_mov_b32_e32 v0, 0xc7600000
	v_mov_b32_e32 v9, 0x47600000
	v_cndmask_b32_e32 v0, v0, v9, vcc
	v_cmp_eq_u32_e32 vcc, 0, v8
	v_mov_b32_e32 v8, 0x7f800001
	v_cndmask_b32_e32 v0, v8, v0, vcc
; %bb.7706:                             ;   in Loop: Header=BB2_7317 Depth=3
	s_or_b64 exec, exec, s[74:75]
.LBB2_7707:                             ;   in Loop: Header=BB2_7317 Depth=3
	s_or_b64 exec, exec, s[72:73]
.LBB2_7708:                             ;   in Loop: Header=BB2_7317 Depth=3
	s_or_b64 exec, exec, s[70:71]
	v_cmp_ne_u16_sdwa vcc, sext(v10), v51 src0_sel:BYTE_0 src1_sel:DWORD
	s_and_saveexec_b64 s[70:71], vcc
	s_cbranch_execz .LBB2_7716
; %bb.7709:                             ;   in Loop: Header=BB2_7317 Depth=3
	v_cmp_ne_u16_sdwa vcc, sext(v10), s94 src0_sel:BYTE_0 src1_sel:DWORD
	v_bfrev_b32_e32 v7, 1
	s_and_saveexec_b64 s[72:73], vcc
	s_cbranch_execz .LBB2_7715
; %bb.7710:                             ;   in Loop: Header=BB2_7317 Depth=3
	v_and_b32_e32 v7, 0x7c, v10
	v_and_b32_e32 v8, 3, v10
	v_cmp_ne_u32_e32 vcc, s95, v7
                                        ; implicit-def: $vgpr7
	s_and_saveexec_b64 s[74:75], vcc
	s_xor_b64 s[74:75], exec, s[74:75]
	s_cbranch_execz .LBB2_7712
; %bb.7711:                             ;   in Loop: Header=BB2_7317 Depth=3
	v_ffbh_u32_e32 v9, v8
	v_min_u32_e32 v9, 32, v9
	v_subrev_u32_e32 v12, 29, v9
	v_bfe_u32 v7, v10, 2, 5
	v_lshlrev_b64 v[12:13], v12, v[10:11]
	v_sub_u32_e32 v9, 30, v9
	v_and_b32_e32 v12, 3, v12
	v_cmp_eq_u32_e32 vcc, 0, v7
	v_cndmask_b32_e32 v7, v7, v9, vcc
	v_cndmask_b32_e32 v8, v8, v12, vcc
	v_bfrev_b32_e32 v12, 28
	v_lshlrev_b32_e32 v9, 24, v10
	v_lshl_add_u32 v7, v7, 23, v12
	v_and_or_b32 v7, v9, s96, v7
	v_lshl_or_b32 v7, v8, 21, v7
                                        ; implicit-def: $vgpr8
.LBB2_7712:                             ;   in Loop: Header=BB2_7317 Depth=3
	s_andn2_saveexec_b64 s[74:75], s[74:75]
; %bb.7713:                             ;   in Loop: Header=BB2_7317 Depth=3
	v_mov_b32_e32 v7, -1
	v_cmp_gt_i16_sdwa vcc, sext(v10), v7 src0_sel:BYTE_0 src1_sel:DWORD
	v_mov_b32_e32 v7, 0xc7600000
	v_mov_b32_e32 v9, 0x47600000
	v_cndmask_b32_e32 v7, v7, v9, vcc
	v_cmp_eq_u32_e32 vcc, 0, v8
	v_mov_b32_e32 v8, 0x7f800001
	v_cndmask_b32_e32 v7, v8, v7, vcc
; %bb.7714:                             ;   in Loop: Header=BB2_7317 Depth=3
	s_or_b64 exec, exec, s[74:75]
.LBB2_7715:                             ;   in Loop: Header=BB2_7317 Depth=3
	s_or_b64 exec, exec, s[72:73]
.LBB2_7716:                             ;   in Loop: Header=BB2_7317 Depth=3
	s_or_b64 exec, exec, s[70:71]
	v_max_f32_e32 v7, v7, v7
	v_max_f32_e32 v0, v0, v0
	;; [unrolled: 1-line block ×3, first 2 shown]
	s_branch .LBB2_7737
.LBB2_7717:                             ;   in Loop: Header=BB2_7317 Depth=3
	s_andn2_saveexec_b64 s[30:31], s[70:71]
	s_cbranch_execz .LBB2_7699
.LBB2_7718:                             ;   in Loop: Header=BB2_7317 Depth=3
	v_or_b32_sdwa v0, v7, s39 dst_sel:DWORD dst_unused:UNUSED_PAD src0_sel:BYTE_3 src1_sel:DWORD
	v_cmp_eq_u64_e32 vcc, 0, v[50:51]
	v_cndmask_b32_e32 v20, v0, v20, vcc
	s_or_b64 exec, exec, s[30:31]
	v_cmp_ne_u16_sdwa s[30:31], v22, v51 src0_sel:BYTE_0 src1_sel:DWORD
	s_and_b64 vcc, exec, s[68:69]
	s_cbranch_vccnz .LBB2_7700
.LBB2_7719:                             ;   in Loop: Header=BB2_7317 Depth=3
                                        ; implicit-def: $vgpr7
	s_cbranch_execz .LBB2_7737
; %bb.7720:                             ;   in Loop: Header=BB2_7317 Depth=3
	v_mov_b32_e32 v7, 0
	v_mov_b32_e32 v0, 0
	s_and_saveexec_b64 s[70:71], s[30:31]
	s_cbranch_execz .LBB2_7728
; %bb.7721:                             ;   in Loop: Header=BB2_7317 Depth=3
	v_cmp_ne_u16_sdwa vcc, sext(v22), s94 src0_sel:BYTE_0 src1_sel:DWORD
	v_bfrev_b32_e32 v0, 1
	s_and_saveexec_b64 s[30:31], vcc
	s_cbranch_execz .LBB2_7727
; %bb.7722:                             ;   in Loop: Header=BB2_7317 Depth=3
	v_and_b32_e32 v0, 0x7c, v22
	v_and_b32_e32 v8, 3, v22
	v_cmp_ne_u32_e32 vcc, s95, v0
                                        ; implicit-def: $vgpr0
	s_and_saveexec_b64 s[72:73], vcc
	s_xor_b64 s[72:73], exec, s[72:73]
	s_cbranch_execz .LBB2_7724
; %bb.7723:                             ;   in Loop: Header=BB2_7317 Depth=3
	v_ffbh_u32_e32 v9, v8
	v_min_u32_e32 v9, 32, v9
	v_subrev_u32_e32 v12, 29, v9
	v_bfe_u32 v0, v22, 2, 5
	v_lshlrev_b64 v[12:13], v12, v[22:23]
	v_sub_u32_e32 v9, 30, v9
	v_and_b32_e32 v12, 3, v12
	v_cmp_eq_u32_e32 vcc, 0, v0
	v_cndmask_b32_e32 v0, v0, v9, vcc
	v_cndmask_b32_e32 v8, v8, v12, vcc
	v_bfrev_b32_e32 v12, 28
	v_lshlrev_b32_e32 v9, 24, v22
	v_lshl_add_u32 v0, v0, 23, v12
	v_and_or_b32 v0, v9, s96, v0
	v_lshl_or_b32 v0, v8, 21, v0
                                        ; implicit-def: $vgpr8
.LBB2_7724:                             ;   in Loop: Header=BB2_7317 Depth=3
	s_andn2_saveexec_b64 s[72:73], s[72:73]
; %bb.7725:                             ;   in Loop: Header=BB2_7317 Depth=3
	v_mov_b32_e32 v0, -1
	v_cmp_gt_i16_sdwa vcc, sext(v22), v0 src0_sel:BYTE_0 src1_sel:DWORD
	v_mov_b32_e32 v0, 0xc7600000
	v_mov_b32_e32 v9, 0x47600000
	v_cndmask_b32_e32 v0, v0, v9, vcc
	v_cmp_eq_u32_e32 vcc, 0, v8
	v_mov_b32_e32 v8, 0x7f800001
	v_cndmask_b32_e32 v0, v8, v0, vcc
; %bb.7726:                             ;   in Loop: Header=BB2_7317 Depth=3
	s_or_b64 exec, exec, s[72:73]
.LBB2_7727:                             ;   in Loop: Header=BB2_7317 Depth=3
	s_or_b64 exec, exec, s[30:31]
.LBB2_7728:                             ;   in Loop: Header=BB2_7317 Depth=3
	s_or_b64 exec, exec, s[70:71]
	v_cmp_ne_u16_sdwa vcc, sext(v10), v51 src0_sel:BYTE_0 src1_sel:DWORD
	s_and_saveexec_b64 s[30:31], vcc
	s_cbranch_execz .LBB2_7736
; %bb.7729:                             ;   in Loop: Header=BB2_7317 Depth=3
	v_cmp_ne_u16_sdwa vcc, sext(v10), s94 src0_sel:BYTE_0 src1_sel:DWORD
	v_bfrev_b32_e32 v7, 1
	s_and_saveexec_b64 s[70:71], vcc
	s_cbranch_execz .LBB2_7735
; %bb.7730:                             ;   in Loop: Header=BB2_7317 Depth=3
	v_and_b32_e32 v7, 0x7c, v10
	v_and_b32_e32 v8, 3, v10
	v_cmp_ne_u32_e32 vcc, s95, v7
                                        ; implicit-def: $vgpr7
	s_and_saveexec_b64 s[72:73], vcc
	s_xor_b64 s[72:73], exec, s[72:73]
	s_cbranch_execz .LBB2_7732
; %bb.7731:                             ;   in Loop: Header=BB2_7317 Depth=3
	v_ffbh_u32_e32 v9, v8
	v_min_u32_e32 v9, 32, v9
	v_subrev_u32_e32 v12, 29, v9
	v_bfe_u32 v7, v10, 2, 5
	v_lshlrev_b64 v[12:13], v12, v[10:11]
	v_sub_u32_e32 v9, 30, v9
	v_and_b32_e32 v12, 3, v12
	v_cmp_eq_u32_e32 vcc, 0, v7
	v_cndmask_b32_e32 v7, v7, v9, vcc
	v_cndmask_b32_e32 v8, v8, v12, vcc
	v_bfrev_b32_e32 v12, 28
	v_lshlrev_b32_e32 v9, 24, v10
	v_lshl_add_u32 v7, v7, 23, v12
	v_and_or_b32 v7, v9, s96, v7
	v_lshl_or_b32 v7, v8, 21, v7
                                        ; implicit-def: $vgpr8
.LBB2_7732:                             ;   in Loop: Header=BB2_7317 Depth=3
	s_andn2_saveexec_b64 s[72:73], s[72:73]
; %bb.7733:                             ;   in Loop: Header=BB2_7317 Depth=3
	v_mov_b32_e32 v7, -1
	v_cmp_gt_i16_sdwa vcc, sext(v10), v7 src0_sel:BYTE_0 src1_sel:DWORD
	v_mov_b32_e32 v7, 0xc7600000
	v_mov_b32_e32 v9, 0x47600000
	v_cndmask_b32_e32 v7, v7, v9, vcc
	v_cmp_eq_u32_e32 vcc, 0, v8
	v_mov_b32_e32 v8, 0x7f800001
	v_cndmask_b32_e32 v7, v8, v7, vcc
; %bb.7734:                             ;   in Loop: Header=BB2_7317 Depth=3
	s_or_b64 exec, exec, s[72:73]
.LBB2_7735:                             ;   in Loop: Header=BB2_7317 Depth=3
	s_or_b64 exec, exec, s[70:71]
.LBB2_7736:                             ;   in Loop: Header=BB2_7317 Depth=3
	s_or_b64 exec, exec, s[30:31]
	v_max_f32_e32 v7, v7, v7
	v_max_f32_e32 v0, v0, v0
	v_min_f32_e32 v7, v0, v7
.LBB2_7737:                             ;   in Loop: Header=BB2_7317 Depth=3
	v_and_b32_sdwa v0, v7, s97 dst_sel:DWORD dst_unused:UNUSED_PAD src0_sel:BYTE_3 src1_sel:DWORD
	v_and_b32_e32 v8, 0x7f800000, v7
	v_mov_b32_e32 v9, v51
	v_and_b32_e32 v50, 0x7fffff, v7
	v_or_b32_e32 v21, 0x7b, v0
	v_cmp_ne_u64_e32 vcc, s[52:53], v[8:9]
	s_and_saveexec_b64 s[30:31], vcc
	s_xor_b64 s[70:71], exec, s[30:31]
	s_cbranch_execz .LBB2_7747
; %bb.7738:                             ;   in Loop: Header=BB2_7317 Depth=3
	v_and_b32_e32 v8, 0x7fffffff, v7
	v_mov_b32_e32 v9, v51
	v_cmp_gt_u64_e32 vcc, s[54:55], v[8:9]
	s_and_saveexec_b64 s[72:73], vcc
	s_cbranch_execz .LBB2_7746
; %bb.7739:                             ;   in Loop: Header=BB2_7317 Depth=3
	v_cmp_ne_u32_e32 vcc, 0, v7
	v_mov_b32_e32 v21, 0
	s_and_saveexec_b64 s[74:75], vcc
	s_cbranch_execz .LBB2_7745
; %bb.7740:                             ;   in Loop: Header=BB2_7317 Depth=3
	v_bfe_u32 v7, v7, 23, 8
	v_sub_u32_e32 v9, 0x71, v7
	v_cmp_gt_u32_e32 vcc, s38, v7
	v_add_u32_e32 v8, 0xffffff81, v7
	v_cndmask_b32_e32 v9, 0, v9, vcc
	v_cmp_eq_u32_e32 vcc, 0, v7
	v_mov_b32_e32 v7, 0xffffff82
	v_cndmask_b32_e32 v7, v8, v7, vcc
	v_mov_b32_e32 v8, 0x70
	v_or_b32_e32 v12, 0x800000, v50
	v_cndmask_b32_e32 v13, v9, v8, vcc
	v_cndmask_b32_e32 v50, v12, v50, vcc
	v_add_u32_e32 v8, 21, v13
	v_lshlrev_b64 v[8:9], v8, -1
	v_add_u32_e32 v12, 20, v13
	v_lshrrev_b64 v[30:31], v13, v[50:51]
	v_not_b32_e32 v9, v9
	v_not_b32_e32 v8, v8
	v_lshlrev_b64 v[14:15], v12, 1
	v_lshrrev_b32_e32 v12, 23, v30
	v_and_b32_e32 v9, 0, v9
	v_and_b32_e32 v8, v50, v8
	v_add3_u32 v13, v13, v7, v12
	v_bfe_u32 v7, v30, 21, 1
	v_add_u32_e32 v7, -1, v7
	v_cmp_eq_u64_e32 vcc, v[8:9], v[14:15]
	v_cndmask_b32_e32 v7, 0, v7, vcc
	v_add_u32_e32 v7, v7, v30
	v_and_b32_e32 v7, 0x1fffff, v7
	v_add_co_u32_e32 v8, vcc, v7, v30
	v_add_u32_e32 v12, 14, v13
	v_addc_co_u32_e32 v9, vcc, 0, v31, vcc
	v_cmp_ne_u32_e32 vcc, 0, v12
                                        ; implicit-def: $vgpr7
	s_and_saveexec_b64 s[30:31], vcc
	s_xor_b64 s[30:31], exec, s[30:31]
; %bb.7741:                             ;   in Loop: Header=BB2_7317 Depth=3
	v_add_u32_e32 v7, 15, v13
	v_cmp_lt_u64_e32 vcc, s[56:57], v[8:9]
	v_cndmask_b32_e32 v7, v12, v7, vcc
	v_cndmask_b32_e64 v12, 0, 1, vcc
	v_lshrrev_b64 v[8:9], v12, v[8:9]
; %bb.7742:                             ;   in Loop: Header=BB2_7317 Depth=3
	s_andn2_saveexec_b64 vcc, s[30:31]
; %bb.7743:                             ;   in Loop: Header=BB2_7317 Depth=3
	v_bfe_u32 v7, v8, 23, 1
; %bb.7744:                             ;   in Loop: Header=BB2_7317 Depth=3
	s_or_b64 exec, exec, vcc
	v_lshrrev_b64 v[8:9], 21, v[8:9]
	v_cmp_gt_i32_e32 vcc, 32, v7
	v_cndmask_b32_e32 v9, 0, v9, vcc
	v_cndmask_b32_e32 v8, 3, v8, vcc
	v_cmp_eq_u32_e32 vcc, 0, v7
	v_min_i32_e32 v7, 31, v7
	v_cmp_eq_u64_e64 s[30:31], 0, v[8:9]
	v_lshlrev_b32_e32 v7, 2, v7
	v_and_or_b32 v7, v8, 3, v7
	s_and_b64 vcc, vcc, s[30:31]
	v_cndmask_b32_e64 v7, v7, 0, vcc
	v_or_b32_e32 v21, v7, v0
.LBB2_7745:                             ;   in Loop: Header=BB2_7317 Depth=3
	s_or_b64 exec, exec, s[74:75]
.LBB2_7746:                             ;   in Loop: Header=BB2_7317 Depth=3
	s_or_b64 exec, exec, s[72:73]
                                        ; implicit-def: $vgpr7
.LBB2_7747:                             ;   in Loop: Header=BB2_7317 Depth=3
	s_andn2_saveexec_b64 s[30:31], s[70:71]
; %bb.7748:                             ;   in Loop: Header=BB2_7317 Depth=3
	v_or_b32_sdwa v0, v7, s39 dst_sel:DWORD dst_unused:UNUSED_PAD src0_sel:BYTE_3 src1_sel:DWORD
	v_cmp_eq_u64_e32 vcc, 0, v[50:51]
	v_cndmask_b32_e32 v21, v0, v21, vcc
; %bb.7749:                             ;   in Loop: Header=BB2_7317 Depth=3
	s_or_b64 exec, exec, s[30:31]
	v_lshrrev_b16_e32 v50, 8, v22
	v_lshrrev_b16_e32 v8, 8, v10
	v_cmp_ne_u16_e64 s[30:31], 0, v50
	s_and_b64 vcc, exec, s[68:69]
	s_cbranch_vccz .LBB2_7767
; %bb.7750:                             ;   in Loop: Header=BB2_7317 Depth=3
	v_mov_b32_e32 v7, 0
	v_mov_b32_e32 v0, 0
	s_and_saveexec_b64 s[70:71], s[30:31]
	s_cbranch_execz .LBB2_7758
; %bb.7751:                             ;   in Loop: Header=BB2_7317 Depth=3
	v_cmp_ne_u16_e32 vcc, s97, v50
	v_bfrev_b32_e32 v0, 1
	s_and_saveexec_b64 s[72:73], vcc
	s_cbranch_execz .LBB2_7757
; %bb.7752:                             ;   in Loop: Header=BB2_7317 Depth=3
	v_and_b32_e32 v0, 0x7c, v50
	v_and_b32_e32 v9, 3, v50
	v_cmp_ne_u32_e32 vcc, s95, v0
                                        ; implicit-def: $vgpr0
	s_and_saveexec_b64 s[74:75], vcc
	s_xor_b64 s[74:75], exec, s[74:75]
	s_cbranch_execz .LBB2_7754
; %bb.7753:                             ;   in Loop: Header=BB2_7317 Depth=3
	v_ffbh_u32_e32 v12, v9
	v_min_u32_e32 v14, 32, v12
	v_subrev_u32_e32 v12, 29, v14
	v_bfe_u32 v0, v50, 2, 5
	v_lshlrev_b64 v[12:13], v12, v[50:51]
	v_sub_u32_e32 v13, 30, v14
	v_cmp_eq_u32_e32 vcc, 0, v0
	v_and_b32_e32 v12, 3, v12
	v_cndmask_b32_e32 v0, v0, v13, vcc
	v_bfrev_b32_e32 v13, 28
	v_cndmask_b32_e32 v9, v9, v12, vcc
	v_lshlrev_b32_e32 v12, 16, v22
	v_lshl_add_u32 v0, v0, 23, v13
	v_and_or_b32 v0, v12, s96, v0
	v_lshl_or_b32 v0, v9, 21, v0
                                        ; implicit-def: $vgpr9
.LBB2_7754:                             ;   in Loop: Header=BB2_7317 Depth=3
	s_andn2_saveexec_b64 s[74:75], s[74:75]
; %bb.7755:                             ;   in Loop: Header=BB2_7317 Depth=3
	v_cmp_lt_i16_e32 vcc, -1, v22
	v_mov_b32_e32 v0, 0xc7600000
	v_mov_b32_e32 v12, 0x47600000
	v_cndmask_b32_e32 v0, v0, v12, vcc
	v_cmp_eq_u32_e32 vcc, 0, v9
	v_mov_b32_e32 v9, 0x7f800001
	v_cndmask_b32_e32 v0, v9, v0, vcc
; %bb.7756:                             ;   in Loop: Header=BB2_7317 Depth=3
	s_or_b64 exec, exec, s[74:75]
.LBB2_7757:                             ;   in Loop: Header=BB2_7317 Depth=3
	s_or_b64 exec, exec, s[72:73]
.LBB2_7758:                             ;   in Loop: Header=BB2_7317 Depth=3
	s_or_b64 exec, exec, s[70:71]
	v_cmp_ne_u16_e32 vcc, 0, v8
	s_and_saveexec_b64 s[70:71], vcc
	s_cbranch_execz .LBB2_7766
; %bb.7759:                             ;   in Loop: Header=BB2_7317 Depth=3
	v_cmp_ne_u16_e32 vcc, s97, v8
	v_bfrev_b32_e32 v7, 1
	s_and_saveexec_b64 s[72:73], vcc
	s_cbranch_execz .LBB2_7765
; %bb.7760:                             ;   in Loop: Header=BB2_7317 Depth=3
	v_and_b32_e32 v7, 0x7c, v8
	v_and_b32_e32 v12, 3, v8
	v_cmp_ne_u32_e32 vcc, s95, v7
                                        ; implicit-def: $vgpr7
	s_and_saveexec_b64 s[74:75], vcc
	s_xor_b64 s[74:75], exec, s[74:75]
	s_cbranch_execz .LBB2_7762
; %bb.7761:                             ;   in Loop: Header=BB2_7317 Depth=3
	v_ffbh_u32_e32 v13, v12
	v_min_u32_e32 v13, 32, v13
	v_mov_b32_e32 v9, v51
	v_subrev_u32_e32 v14, 29, v13
	v_bfe_u32 v7, v8, 2, 5
	v_lshlrev_b64 v[14:15], v14, v[8:9]
	v_sub_u32_e32 v9, 30, v13
	v_and_b32_e32 v13, 3, v14
	v_cmp_eq_u32_e32 vcc, 0, v7
	v_cndmask_b32_e32 v7, v7, v9, vcc
	v_cndmask_b32_e32 v9, v12, v13, vcc
	v_bfrev_b32_e32 v13, 28
	v_lshlrev_b32_e32 v12, 16, v10
	v_lshl_add_u32 v7, v7, 23, v13
	v_and_or_b32 v7, v12, s96, v7
	v_lshl_or_b32 v7, v9, 21, v7
                                        ; implicit-def: $vgpr12
.LBB2_7762:                             ;   in Loop: Header=BB2_7317 Depth=3
	s_andn2_saveexec_b64 s[74:75], s[74:75]
; %bb.7763:                             ;   in Loop: Header=BB2_7317 Depth=3
	v_cmp_lt_i16_e32 vcc, -1, v10
	v_mov_b32_e32 v7, 0xc7600000
	v_mov_b32_e32 v9, 0x47600000
	v_cndmask_b32_e32 v7, v7, v9, vcc
	v_cmp_eq_u32_e32 vcc, 0, v12
	v_mov_b32_e32 v9, 0x7f800001
	v_cndmask_b32_e32 v7, v9, v7, vcc
; %bb.7764:                             ;   in Loop: Header=BB2_7317 Depth=3
	s_or_b64 exec, exec, s[74:75]
.LBB2_7765:                             ;   in Loop: Header=BB2_7317 Depth=3
	s_or_b64 exec, exec, s[72:73]
.LBB2_7766:                             ;   in Loop: Header=BB2_7317 Depth=3
	s_or_b64 exec, exec, s[70:71]
	v_max_f32_e32 v7, v7, v7
	v_max_f32_e32 v0, v0, v0
	;; [unrolled: 1-line block ×3, first 2 shown]
	s_branch .LBB2_7785
.LBB2_7767:                             ;   in Loop: Header=BB2_7317 Depth=3
                                        ; implicit-def: $vgpr9
	s_cbranch_execz .LBB2_7785
; %bb.7768:                             ;   in Loop: Header=BB2_7317 Depth=3
	v_mov_b32_e32 v7, 0
	v_mov_b32_e32 v0, 0
	s_and_saveexec_b64 s[70:71], s[30:31]
	s_cbranch_execz .LBB2_7776
; %bb.7769:                             ;   in Loop: Header=BB2_7317 Depth=3
	v_cmp_ne_u16_e32 vcc, s97, v50
	v_bfrev_b32_e32 v0, 1
	s_and_saveexec_b64 s[30:31], vcc
	s_cbranch_execz .LBB2_7775
; %bb.7770:                             ;   in Loop: Header=BB2_7317 Depth=3
	v_and_b32_e32 v0, 0x7c, v50
	v_and_b32_e32 v9, 3, v50
	v_cmp_ne_u32_e32 vcc, s95, v0
                                        ; implicit-def: $vgpr0
	s_and_saveexec_b64 s[72:73], vcc
	s_xor_b64 s[72:73], exec, s[72:73]
	s_cbranch_execz .LBB2_7772
; %bb.7771:                             ;   in Loop: Header=BB2_7317 Depth=3
	v_ffbh_u32_e32 v12, v9
	v_min_u32_e32 v14, 32, v12
	v_subrev_u32_e32 v12, 29, v14
	v_bfe_u32 v0, v50, 2, 5
	v_lshlrev_b64 v[12:13], v12, v[50:51]
	v_sub_u32_e32 v13, 30, v14
	v_cmp_eq_u32_e32 vcc, 0, v0
	v_and_b32_e32 v12, 3, v12
	v_cndmask_b32_e32 v0, v0, v13, vcc
	v_bfrev_b32_e32 v13, 28
	v_cndmask_b32_e32 v9, v9, v12, vcc
	v_lshlrev_b32_e32 v12, 16, v22
	v_lshl_add_u32 v0, v0, 23, v13
	v_and_or_b32 v0, v12, s96, v0
	v_lshl_or_b32 v0, v9, 21, v0
                                        ; implicit-def: $vgpr9
.LBB2_7772:                             ;   in Loop: Header=BB2_7317 Depth=3
	s_andn2_saveexec_b64 s[72:73], s[72:73]
; %bb.7773:                             ;   in Loop: Header=BB2_7317 Depth=3
	v_cmp_lt_i16_e32 vcc, -1, v22
	v_mov_b32_e32 v0, 0xc7600000
	v_mov_b32_e32 v12, 0x47600000
	v_cndmask_b32_e32 v0, v0, v12, vcc
	v_cmp_eq_u32_e32 vcc, 0, v9
	v_mov_b32_e32 v9, 0x7f800001
	v_cndmask_b32_e32 v0, v9, v0, vcc
; %bb.7774:                             ;   in Loop: Header=BB2_7317 Depth=3
	s_or_b64 exec, exec, s[72:73]
.LBB2_7775:                             ;   in Loop: Header=BB2_7317 Depth=3
	s_or_b64 exec, exec, s[30:31]
.LBB2_7776:                             ;   in Loop: Header=BB2_7317 Depth=3
	s_or_b64 exec, exec, s[70:71]
	v_cmp_ne_u16_e32 vcc, 0, v8
	s_and_saveexec_b64 s[30:31], vcc
	s_cbranch_execz .LBB2_7784
; %bb.7777:                             ;   in Loop: Header=BB2_7317 Depth=3
	v_cmp_ne_u16_e32 vcc, s97, v8
	v_bfrev_b32_e32 v7, 1
	s_and_saveexec_b64 s[70:71], vcc
	s_cbranch_execz .LBB2_7783
; %bb.7778:                             ;   in Loop: Header=BB2_7317 Depth=3
	v_and_b32_e32 v7, 0x7c, v8
	v_and_b32_e32 v12, 3, v8
	v_cmp_ne_u32_e32 vcc, s95, v7
                                        ; implicit-def: $vgpr7
	s_and_saveexec_b64 s[72:73], vcc
	s_xor_b64 s[72:73], exec, s[72:73]
	s_cbranch_execz .LBB2_7780
; %bb.7779:                             ;   in Loop: Header=BB2_7317 Depth=3
	v_ffbh_u32_e32 v13, v12
	v_min_u32_e32 v13, 32, v13
	v_mov_b32_e32 v9, v51
	v_subrev_u32_e32 v14, 29, v13
	v_bfe_u32 v7, v8, 2, 5
	v_lshlrev_b64 v[8:9], v14, v[8:9]
	v_sub_u32_e32 v9, 30, v13
	v_and_b32_e32 v8, 3, v8
	v_cmp_eq_u32_e32 vcc, 0, v7
	v_cndmask_b32_e32 v7, v7, v9, vcc
	v_cndmask_b32_e32 v8, v12, v8, vcc
	v_bfrev_b32_e32 v12, 28
	v_lshlrev_b32_e32 v9, 16, v10
	v_lshl_add_u32 v7, v7, 23, v12
	v_and_or_b32 v7, v9, s96, v7
	v_lshl_or_b32 v7, v8, 21, v7
                                        ; implicit-def: $vgpr12
.LBB2_7780:                             ;   in Loop: Header=BB2_7317 Depth=3
	s_andn2_saveexec_b64 s[72:73], s[72:73]
; %bb.7781:                             ;   in Loop: Header=BB2_7317 Depth=3
	v_cmp_lt_i16_e32 vcc, -1, v10
	v_mov_b32_e32 v7, 0xc7600000
	v_mov_b32_e32 v8, 0x47600000
	v_cndmask_b32_e32 v7, v7, v8, vcc
	v_cmp_eq_u32_e32 vcc, 0, v12
	v_mov_b32_e32 v8, 0x7f800001
	v_cndmask_b32_e32 v7, v8, v7, vcc
; %bb.7782:                             ;   in Loop: Header=BB2_7317 Depth=3
	s_or_b64 exec, exec, s[72:73]
.LBB2_7783:                             ;   in Loop: Header=BB2_7317 Depth=3
	s_or_b64 exec, exec, s[70:71]
.LBB2_7784:                             ;   in Loop: Header=BB2_7317 Depth=3
	s_or_b64 exec, exec, s[30:31]
	v_max_f32_e32 v7, v7, v7
	v_max_f32_e32 v0, v0, v0
	v_min_f32_e32 v9, v0, v7
.LBB2_7785:                             ;   in Loop: Header=BB2_7317 Depth=3
	v_and_b32_sdwa v0, v9, s97 dst_sel:DWORD dst_unused:UNUSED_PAD src0_sel:BYTE_3 src1_sel:DWORD
	v_and_b32_e32 v12, 0x7f800000, v9
	v_mov_b32_e32 v13, v51
	v_and_b32_e32 v50, 0x7fffff, v9
	v_or_b32_e32 v7, 0x7b, v0
	v_cmp_ne_u64_e32 vcc, s[52:53], v[12:13]
	s_and_saveexec_b64 s[30:31], vcc
	s_xor_b64 s[70:71], exec, s[30:31]
	s_cbranch_execz .LBB2_7795
; %bb.7786:                             ;   in Loop: Header=BB2_7317 Depth=3
	v_and_b32_e32 v12, 0x7fffffff, v9
	v_mov_b32_e32 v13, v51
	v_cmp_gt_u64_e32 vcc, s[54:55], v[12:13]
	s_and_saveexec_b64 s[72:73], vcc
	s_cbranch_execz .LBB2_7794
; %bb.7787:                             ;   in Loop: Header=BB2_7317 Depth=3
	v_cmp_ne_u32_e32 vcc, 0, v9
	v_mov_b32_e32 v7, 0
	s_and_saveexec_b64 s[74:75], vcc
	s_cbranch_execz .LBB2_7793
; %bb.7788:                             ;   in Loop: Header=BB2_7317 Depth=3
	v_bfe_u32 v7, v9, 23, 8
	v_sub_u32_e32 v9, 0x71, v7
	v_cmp_gt_u32_e32 vcc, s38, v7
	v_add_u32_e32 v8, 0xffffff81, v7
	v_cndmask_b32_e32 v9, 0, v9, vcc
	v_cmp_eq_u32_e32 vcc, 0, v7
	v_mov_b32_e32 v7, 0xffffff82
	v_cndmask_b32_e32 v7, v8, v7, vcc
	v_mov_b32_e32 v8, 0x70
	v_or_b32_e32 v12, 0x800000, v50
	v_cndmask_b32_e32 v13, v9, v8, vcc
	v_cndmask_b32_e32 v50, v12, v50, vcc
	v_add_u32_e32 v8, 21, v13
	v_lshlrev_b64 v[8:9], v8, -1
	v_add_u32_e32 v12, 20, v13
	v_lshrrev_b64 v[30:31], v13, v[50:51]
	v_not_b32_e32 v9, v9
	v_not_b32_e32 v8, v8
	v_lshlrev_b64 v[14:15], v12, 1
	v_lshrrev_b32_e32 v12, 23, v30
	v_and_b32_e32 v9, 0, v9
	v_and_b32_e32 v8, v50, v8
	v_add3_u32 v13, v13, v7, v12
	v_bfe_u32 v7, v30, 21, 1
	v_add_u32_e32 v7, -1, v7
	v_cmp_eq_u64_e32 vcc, v[8:9], v[14:15]
	v_cndmask_b32_e32 v7, 0, v7, vcc
	v_add_u32_e32 v7, v7, v30
	v_and_b32_e32 v7, 0x1fffff, v7
	v_add_co_u32_e32 v8, vcc, v7, v30
	v_add_u32_e32 v12, 14, v13
	v_addc_co_u32_e32 v9, vcc, 0, v31, vcc
	v_cmp_ne_u32_e32 vcc, 0, v12
                                        ; implicit-def: $vgpr7
	s_and_saveexec_b64 s[30:31], vcc
	s_xor_b64 s[30:31], exec, s[30:31]
; %bb.7789:                             ;   in Loop: Header=BB2_7317 Depth=3
	v_add_u32_e32 v7, 15, v13
	v_cmp_lt_u64_e32 vcc, s[56:57], v[8:9]
	v_cndmask_b32_e32 v7, v12, v7, vcc
	v_cndmask_b32_e64 v12, 0, 1, vcc
	v_lshrrev_b64 v[8:9], v12, v[8:9]
; %bb.7790:                             ;   in Loop: Header=BB2_7317 Depth=3
	s_andn2_saveexec_b64 vcc, s[30:31]
; %bb.7791:                             ;   in Loop: Header=BB2_7317 Depth=3
	v_bfe_u32 v7, v8, 23, 1
; %bb.7792:                             ;   in Loop: Header=BB2_7317 Depth=3
	s_or_b64 exec, exec, vcc
	v_lshrrev_b64 v[8:9], 21, v[8:9]
	v_cmp_gt_i32_e32 vcc, 32, v7
	v_cndmask_b32_e32 v9, 0, v9, vcc
	v_cndmask_b32_e32 v8, 3, v8, vcc
	v_cmp_eq_u32_e32 vcc, 0, v7
	v_min_i32_e32 v7, 31, v7
	v_cmp_eq_u64_e64 s[30:31], 0, v[8:9]
	v_lshlrev_b32_e32 v7, 2, v7
	v_and_or_b32 v7, v8, 3, v7
	s_and_b64 vcc, vcc, s[30:31]
	v_cndmask_b32_e64 v7, v7, 0, vcc
	v_or_b32_e32 v7, v7, v0
.LBB2_7793:                             ;   in Loop: Header=BB2_7317 Depth=3
	s_or_b64 exec, exec, s[74:75]
.LBB2_7794:                             ;   in Loop: Header=BB2_7317 Depth=3
	s_or_b64 exec, exec, s[72:73]
                                        ; implicit-def: $vgpr9
.LBB2_7795:                             ;   in Loop: Header=BB2_7317 Depth=3
	s_andn2_saveexec_b64 s[30:31], s[70:71]
; %bb.7796:                             ;   in Loop: Header=BB2_7317 Depth=3
	v_or_b32_sdwa v0, v9, s39 dst_sel:DWORD dst_unused:UNUSED_PAD src0_sel:BYTE_3 src1_sel:DWORD
	v_cmp_eq_u64_e32 vcc, 0, v[50:51]
	v_cndmask_b32_e32 v7, v0, v7, vcc
; %bb.7797:                             ;   in Loop: Header=BB2_7317 Depth=3
	s_or_b64 exec, exec, s[30:31]
	v_lshrrev_b32_e32 v12, 16, v22
	v_lshrrev_b32_e32 v8, 16, v10
	v_cmp_ne_u16_sdwa s[30:31], v12, v51 src0_sel:BYTE_0 src1_sel:DWORD
	s_and_b64 vcc, exec, s[68:69]
	s_cbranch_vccz .LBB2_7815
; %bb.7798:                             ;   in Loop: Header=BB2_7317 Depth=3
	v_mov_b32_e32 v9, 0
	v_mov_b32_e32 v0, 0
	s_and_saveexec_b64 s[70:71], s[30:31]
	s_cbranch_execz .LBB2_7806
; %bb.7799:                             ;   in Loop: Header=BB2_7317 Depth=3
	v_cmp_ne_u16_sdwa vcc, v12, s97 src0_sel:BYTE_0 src1_sel:DWORD
	v_bfrev_b32_e32 v0, 1
	s_and_saveexec_b64 s[72:73], vcc
	s_cbranch_execz .LBB2_7805
; %bb.7800:                             ;   in Loop: Header=BB2_7317 Depth=3
	v_and_b32_e32 v0, 0x7c0000, v22
	v_bfe_u32 v13, v22, 16, 2
	v_cmp_ne_u32_e32 vcc, s36, v0
                                        ; implicit-def: $vgpr0
	s_and_saveexec_b64 s[74:75], vcc
	s_xor_b64 s[74:75], exec, s[74:75]
	s_cbranch_execz .LBB2_7802
; %bb.7801:                             ;   in Loop: Header=BB2_7317 Depth=3
	v_ffbh_u32_e32 v14, v13
	v_min_u32_e32 v24, 32, v14
	v_subrev_u32_e32 v14, 29, v24
	v_bfe_u32 v0, v22, 18, 5
	v_lshlrev_b64 v[14:15], v14, v[12:13]
	v_sub_u32_e32 v15, 30, v24
	v_cmp_eq_u32_e32 vcc, 0, v0
	v_and_b32_e32 v14, 3, v14
	v_cndmask_b32_e32 v0, v0, v15, vcc
	v_bfrev_b32_e32 v15, 28
	v_cndmask_b32_e32 v13, v13, v14, vcc
	v_lshlrev_b32_e32 v14, 24, v12
	v_lshl_add_u32 v0, v0, 23, v15
	v_and_or_b32 v0, v14, s96, v0
	v_lshl_or_b32 v0, v13, 21, v0
                                        ; implicit-def: $vgpr13
.LBB2_7802:                             ;   in Loop: Header=BB2_7317 Depth=3
	s_andn2_saveexec_b64 s[74:75], s[74:75]
; %bb.7803:                             ;   in Loop: Header=BB2_7317 Depth=3
	v_mov_b32_e32 v0, -1
	v_cmp_gt_i16_sdwa vcc, sext(v12), v0 src0_sel:BYTE_0 src1_sel:DWORD
	v_mov_b32_e32 v0, 0xc7600000
	v_mov_b32_e32 v14, 0x47600000
	v_cndmask_b32_e32 v0, v0, v14, vcc
	v_cmp_eq_u32_e32 vcc, 0, v13
	v_mov_b32_e32 v13, 0x7f800001
	v_cndmask_b32_e32 v0, v13, v0, vcc
; %bb.7804:                             ;   in Loop: Header=BB2_7317 Depth=3
	s_or_b64 exec, exec, s[74:75]
.LBB2_7805:                             ;   in Loop: Header=BB2_7317 Depth=3
	s_or_b64 exec, exec, s[72:73]
.LBB2_7806:                             ;   in Loop: Header=BB2_7317 Depth=3
	s_or_b64 exec, exec, s[70:71]
	v_cmp_ne_u16_sdwa vcc, v8, v51 src0_sel:BYTE_0 src1_sel:DWORD
	s_and_saveexec_b64 s[70:71], vcc
	s_cbranch_execz .LBB2_7814
; %bb.7807:                             ;   in Loop: Header=BB2_7317 Depth=3
	v_cmp_ne_u16_sdwa vcc, v8, s97 src0_sel:BYTE_0 src1_sel:DWORD
	v_bfrev_b32_e32 v9, 1
	s_and_saveexec_b64 s[72:73], vcc
	s_cbranch_execz .LBB2_7813
; %bb.7808:                             ;   in Loop: Header=BB2_7317 Depth=3
	v_and_b32_e32 v9, 0x7c0000, v10
	v_bfe_u32 v13, v10, 16, 2
	v_cmp_ne_u32_e32 vcc, s36, v9
                                        ; implicit-def: $vgpr9
	s_and_saveexec_b64 s[74:75], vcc
	s_xor_b64 s[74:75], exec, s[74:75]
	s_cbranch_execz .LBB2_7810
; %bb.7809:                             ;   in Loop: Header=BB2_7317 Depth=3
	v_ffbh_u32_e32 v14, v13
	v_min_u32_e32 v24, 32, v14
	v_bfe_u32 v9, v10, 18, 5
	v_subrev_u32_e32 v14, 29, v24
	v_lshlrev_b64 v[14:15], v14, v[8:9]
	v_sub_u32_e32 v15, 30, v24
	v_cmp_eq_u32_e32 vcc, 0, v9
	v_and_b32_e32 v14, 3, v14
	v_cndmask_b32_e32 v9, v9, v15, vcc
	v_bfrev_b32_e32 v15, 28
	v_cndmask_b32_e32 v13, v13, v14, vcc
	v_lshlrev_b32_e32 v14, 24, v8
	v_lshl_add_u32 v9, v9, 23, v15
	v_and_or_b32 v9, v14, s96, v9
	v_lshl_or_b32 v9, v13, 21, v9
                                        ; implicit-def: $vgpr13
.LBB2_7810:                             ;   in Loop: Header=BB2_7317 Depth=3
	s_andn2_saveexec_b64 s[74:75], s[74:75]
; %bb.7811:                             ;   in Loop: Header=BB2_7317 Depth=3
	v_mov_b32_e32 v9, -1
	v_cmp_gt_i16_sdwa vcc, sext(v8), v9 src0_sel:BYTE_0 src1_sel:DWORD
	v_mov_b32_e32 v9, 0xc7600000
	v_mov_b32_e32 v14, 0x47600000
	v_cndmask_b32_e32 v9, v9, v14, vcc
	v_cmp_eq_u32_e32 vcc, 0, v13
	v_mov_b32_e32 v13, 0x7f800001
	v_cndmask_b32_e32 v9, v13, v9, vcc
; %bb.7812:                             ;   in Loop: Header=BB2_7317 Depth=3
	s_or_b64 exec, exec, s[74:75]
.LBB2_7813:                             ;   in Loop: Header=BB2_7317 Depth=3
	s_or_b64 exec, exec, s[72:73]
.LBB2_7814:                             ;   in Loop: Header=BB2_7317 Depth=3
	s_or_b64 exec, exec, s[70:71]
	v_max_f32_e32 v9, v9, v9
	v_max_f32_e32 v0, v0, v0
	;; [unrolled: 1-line block ×3, first 2 shown]
	s_branch .LBB2_7833
.LBB2_7815:                             ;   in Loop: Header=BB2_7317 Depth=3
                                        ; implicit-def: $vgpr9
	s_cbranch_execz .LBB2_7833
; %bb.7816:                             ;   in Loop: Header=BB2_7317 Depth=3
	v_mov_b32_e32 v9, 0
	v_mov_b32_e32 v0, 0
	s_and_saveexec_b64 s[70:71], s[30:31]
	s_cbranch_execz .LBB2_7824
; %bb.7817:                             ;   in Loop: Header=BB2_7317 Depth=3
	v_cmp_ne_u16_sdwa vcc, v12, s97 src0_sel:BYTE_0 src1_sel:DWORD
	v_bfrev_b32_e32 v0, 1
	s_and_saveexec_b64 s[30:31], vcc
	s_cbranch_execz .LBB2_7823
; %bb.7818:                             ;   in Loop: Header=BB2_7317 Depth=3
	v_and_b32_e32 v0, 0x7c0000, v22
	v_bfe_u32 v13, v22, 16, 2
	v_cmp_ne_u32_e32 vcc, s36, v0
                                        ; implicit-def: $vgpr0
	s_and_saveexec_b64 s[72:73], vcc
	s_xor_b64 s[72:73], exec, s[72:73]
	s_cbranch_execz .LBB2_7820
; %bb.7819:                             ;   in Loop: Header=BB2_7317 Depth=3
	v_ffbh_u32_e32 v14, v13
	v_min_u32_e32 v24, 32, v14
	v_subrev_u32_e32 v14, 29, v24
	v_bfe_u32 v0, v22, 18, 5
	v_lshlrev_b64 v[14:15], v14, v[12:13]
	v_sub_u32_e32 v15, 30, v24
	v_and_b32_e32 v14, 3, v14
	v_cmp_eq_u32_e32 vcc, 0, v0
	v_cndmask_b32_e32 v0, v0, v15, vcc
	v_cndmask_b32_e32 v13, v13, v14, vcc
	v_bfrev_b32_e32 v14, 28
	v_lshlrev_b32_e32 v12, 24, v12
	v_lshl_add_u32 v0, v0, 23, v14
	v_and_or_b32 v0, v12, s96, v0
	v_lshl_or_b32 v0, v13, 21, v0
                                        ; implicit-def: $vgpr13
                                        ; implicit-def: $vgpr12
.LBB2_7820:                             ;   in Loop: Header=BB2_7317 Depth=3
	s_andn2_saveexec_b64 s[72:73], s[72:73]
; %bb.7821:                             ;   in Loop: Header=BB2_7317 Depth=3
	v_mov_b32_e32 v0, -1
	v_cmp_gt_i16_sdwa vcc, sext(v12), v0 src0_sel:BYTE_0 src1_sel:DWORD
	v_mov_b32_e32 v0, 0xc7600000
	v_mov_b32_e32 v12, 0x47600000
	v_cndmask_b32_e32 v0, v0, v12, vcc
	v_cmp_eq_u32_e32 vcc, 0, v13
	v_mov_b32_e32 v12, 0x7f800001
	v_cndmask_b32_e32 v0, v12, v0, vcc
; %bb.7822:                             ;   in Loop: Header=BB2_7317 Depth=3
	s_or_b64 exec, exec, s[72:73]
.LBB2_7823:                             ;   in Loop: Header=BB2_7317 Depth=3
	s_or_b64 exec, exec, s[30:31]
.LBB2_7824:                             ;   in Loop: Header=BB2_7317 Depth=3
	s_or_b64 exec, exec, s[70:71]
	v_cmp_ne_u16_sdwa vcc, v8, v51 src0_sel:BYTE_0 src1_sel:DWORD
	s_and_saveexec_b64 s[30:31], vcc
	s_cbranch_execz .LBB2_7832
; %bb.7825:                             ;   in Loop: Header=BB2_7317 Depth=3
	v_cmp_ne_u16_sdwa vcc, v8, s97 src0_sel:BYTE_0 src1_sel:DWORD
	v_bfrev_b32_e32 v9, 1
	s_and_saveexec_b64 s[70:71], vcc
	s_cbranch_execz .LBB2_7831
; %bb.7826:                             ;   in Loop: Header=BB2_7317 Depth=3
	v_and_b32_e32 v9, 0x7c0000, v10
	v_bfe_u32 v12, v10, 16, 2
	v_cmp_ne_u32_e32 vcc, s36, v9
                                        ; implicit-def: $vgpr9
	s_and_saveexec_b64 s[72:73], vcc
	s_xor_b64 s[72:73], exec, s[72:73]
	s_cbranch_execz .LBB2_7828
; %bb.7827:                             ;   in Loop: Header=BB2_7317 Depth=3
	v_ffbh_u32_e32 v13, v12
	v_bfe_u32 v9, v10, 18, 5
	v_min_u32_e32 v13, 32, v13
	v_subrev_u32_e32 v14, 29, v13
	v_sub_u32_e32 v13, 30, v13
	v_cmp_eq_u32_e32 vcc, 0, v9
	v_lshlrev_b64 v[14:15], v14, v[8:9]
	v_cndmask_b32_e32 v9, v9, v13, vcc
	v_bfrev_b32_e32 v13, 28
	v_and_b32_e32 v14, 3, v14
	v_lshlrev_b32_e32 v8, 24, v8
	v_lshl_add_u32 v9, v9, 23, v13
	v_cndmask_b32_e32 v12, v12, v14, vcc
	v_and_or_b32 v8, v8, s96, v9
	v_lshl_or_b32 v9, v12, 21, v8
                                        ; implicit-def: $vgpr12
                                        ; implicit-def: $vgpr8
.LBB2_7828:                             ;   in Loop: Header=BB2_7317 Depth=3
	s_andn2_saveexec_b64 s[72:73], s[72:73]
; %bb.7829:                             ;   in Loop: Header=BB2_7317 Depth=3
	v_mov_b32_e32 v9, -1
	v_cmp_gt_i16_sdwa vcc, sext(v8), v9 src0_sel:BYTE_0 src1_sel:DWORD
	v_mov_b32_e32 v8, 0xc7600000
	v_mov_b32_e32 v9, 0x47600000
	v_cndmask_b32_e32 v8, v8, v9, vcc
	v_cmp_eq_u32_e32 vcc, 0, v12
	v_mov_b32_e32 v9, 0x7f800001
	v_cndmask_b32_e32 v9, v9, v8, vcc
; %bb.7830:                             ;   in Loop: Header=BB2_7317 Depth=3
	s_or_b64 exec, exec, s[72:73]
.LBB2_7831:                             ;   in Loop: Header=BB2_7317 Depth=3
	s_or_b64 exec, exec, s[70:71]
.LBB2_7832:                             ;   in Loop: Header=BB2_7317 Depth=3
	s_or_b64 exec, exec, s[30:31]
	v_max_f32_e32 v8, v9, v9
	v_max_f32_e32 v0, v0, v0
	v_min_f32_e32 v9, v0, v8
.LBB2_7833:                             ;   in Loop: Header=BB2_7317 Depth=3
	v_and_b32_sdwa v0, v9, s97 dst_sel:DWORD dst_unused:UNUSED_PAD src0_sel:BYTE_3 src1_sel:DWORD
	v_and_b32_e32 v12, 0x7f800000, v9
	v_mov_b32_e32 v13, v51
	v_and_b32_e32 v50, 0x7fffff, v9
	v_or_b32_e32 v30, 0x7b, v0
	v_cmp_ne_u64_e32 vcc, s[52:53], v[12:13]
	s_and_saveexec_b64 s[30:31], vcc
	s_xor_b64 s[70:71], exec, s[30:31]
	s_cbranch_execz .LBB2_7843
; %bb.7834:                             ;   in Loop: Header=BB2_7317 Depth=3
	v_and_b32_e32 v12, 0x7fffffff, v9
	v_mov_b32_e32 v13, v51
	v_cmp_gt_u64_e32 vcc, s[54:55], v[12:13]
	s_and_saveexec_b64 s[72:73], vcc
	s_cbranch_execz .LBB2_7842
; %bb.7835:                             ;   in Loop: Header=BB2_7317 Depth=3
	v_cmp_ne_u32_e32 vcc, 0, v9
	v_mov_b32_e32 v30, 0
	s_and_saveexec_b64 s[74:75], vcc
	s_cbranch_execz .LBB2_7841
; %bb.7836:                             ;   in Loop: Header=BB2_7317 Depth=3
	v_bfe_u32 v8, v9, 23, 8
	v_sub_u32_e32 v12, 0x71, v8
	v_cmp_gt_u32_e32 vcc, s38, v8
	v_add_u32_e32 v9, 0xffffff81, v8
	v_cndmask_b32_e32 v12, 0, v12, vcc
	v_cmp_eq_u32_e32 vcc, 0, v8
	v_mov_b32_e32 v8, 0xffffff82
	v_cndmask_b32_e32 v14, v9, v8, vcc
	v_mov_b32_e32 v8, 0x70
	v_or_b32_e32 v13, 0x800000, v50
	v_cndmask_b32_e32 v12, v12, v8, vcc
	v_cndmask_b32_e32 v50, v13, v50, vcc
	v_add_u32_e32 v8, 21, v12
	v_lshlrev_b64 v[8:9], v8, -1
	v_add_u32_e32 v13, 20, v12
	v_lshrrev_b64 v[54:55], v12, v[50:51]
	v_not_b32_e32 v9, v9
	v_not_b32_e32 v8, v8
	v_lshlrev_b64 v[30:31], v13, 1
	v_lshrrev_b32_e32 v13, 23, v54
	v_and_b32_e32 v9, 0, v9
	v_and_b32_e32 v8, v50, v8
	v_add3_u32 v14, v12, v14, v13
	v_bfe_u32 v12, v54, 21, 1
	v_add_u32_e32 v12, -1, v12
	v_cmp_eq_u64_e32 vcc, v[8:9], v[30:31]
	v_cndmask_b32_e32 v8, 0, v12, vcc
	v_add_u32_e32 v8, v8, v54
	v_and_b32_e32 v8, 0x1fffff, v8
	v_add_co_u32_e32 v8, vcc, v8, v54
	v_add_u32_e32 v13, 14, v14
	v_addc_co_u32_e32 v9, vcc, 0, v55, vcc
	v_cmp_ne_u32_e32 vcc, 0, v13
                                        ; implicit-def: $vgpr12
	s_and_saveexec_b64 s[30:31], vcc
	s_xor_b64 s[30:31], exec, s[30:31]
; %bb.7837:                             ;   in Loop: Header=BB2_7317 Depth=3
	v_add_u32_e32 v12, 15, v14
	v_cmp_lt_u64_e32 vcc, s[56:57], v[8:9]
	v_cndmask_b32_e32 v12, v13, v12, vcc
	v_cndmask_b32_e64 v13, 0, 1, vcc
	v_lshrrev_b64 v[8:9], v13, v[8:9]
; %bb.7838:                             ;   in Loop: Header=BB2_7317 Depth=3
	s_andn2_saveexec_b64 vcc, s[30:31]
; %bb.7839:                             ;   in Loop: Header=BB2_7317 Depth=3
	v_bfe_u32 v12, v8, 23, 1
; %bb.7840:                             ;   in Loop: Header=BB2_7317 Depth=3
	s_or_b64 exec, exec, vcc
	v_lshrrev_b64 v[8:9], 21, v[8:9]
	v_cmp_gt_i32_e32 vcc, 32, v12
	v_cndmask_b32_e32 v9, 0, v9, vcc
	v_cndmask_b32_e32 v8, 3, v8, vcc
	v_cmp_eq_u64_e64 s[30:31], 0, v[8:9]
	v_min_i32_e32 v9, 31, v12
	v_cmp_eq_u32_e32 vcc, 0, v12
	v_lshlrev_b32_e32 v9, 2, v9
	v_and_or_b32 v8, v8, 3, v9
	s_and_b64 vcc, vcc, s[30:31]
	v_cndmask_b32_e64 v8, v8, 0, vcc
	v_or_b32_e32 v30, v8, v0
.LBB2_7841:                             ;   in Loop: Header=BB2_7317 Depth=3
	s_or_b64 exec, exec, s[74:75]
.LBB2_7842:                             ;   in Loop: Header=BB2_7317 Depth=3
	s_or_b64 exec, exec, s[72:73]
                                        ; implicit-def: $vgpr9
.LBB2_7843:                             ;   in Loop: Header=BB2_7317 Depth=3
	s_andn2_saveexec_b64 s[30:31], s[70:71]
; %bb.7844:                             ;   in Loop: Header=BB2_7317 Depth=3
	v_or_b32_sdwa v0, v9, s39 dst_sel:DWORD dst_unused:UNUSED_PAD src0_sel:BYTE_3 src1_sel:DWORD
	v_cmp_eq_u64_e32 vcc, 0, v[50:51]
	v_cndmask_b32_e32 v30, v0, v30, vcc
; %bb.7845:                             ;   in Loop: Header=BB2_7317 Depth=3
	s_or_b64 exec, exec, s[30:31]
	v_lshrrev_b32_e32 v12, 24, v22
	v_lshrrev_b32_e32 v8, 24, v10
	v_cmp_lt_u32_e64 s[30:31], s43, v22
	s_and_b64 vcc, exec, s[68:69]
	s_cbranch_vccz .LBB2_7863
; %bb.7846:                             ;   in Loop: Header=BB2_7317 Depth=3
	v_mov_b32_e32 v9, 0
	v_mov_b32_e32 v0, 0
	s_and_saveexec_b64 s[70:71], s[30:31]
	s_cbranch_execz .LBB2_7854
; %bb.7847:                             ;   in Loop: Header=BB2_7317 Depth=3
	v_cmp_ne_u32_e32 vcc, s97, v12
	v_bfrev_b32_e32 v0, 1
	s_and_saveexec_b64 s[72:73], vcc
	s_cbranch_execz .LBB2_7853
; %bb.7848:                             ;   in Loop: Header=BB2_7317 Depth=3
	v_and_b32_e32 v0, 0x7c000000, v22
	v_bfe_u32 v13, v22, 24, 2
	v_cmp_ne_u32_e32 vcc, s37, v0
                                        ; implicit-def: $vgpr0
	s_and_saveexec_b64 s[74:75], vcc
	s_xor_b64 s[74:75], exec, s[74:75]
	s_cbranch_execz .LBB2_7850
; %bb.7849:                             ;   in Loop: Header=BB2_7317 Depth=3
	v_ffbh_u32_e32 v14, v13
	v_min_u32_e32 v24, 32, v14
	v_subrev_u32_e32 v14, 29, v24
	v_bfe_u32 v0, v22, 26, 5
	v_lshlrev_b64 v[14:15], v14, v[12:13]
	v_sub_u32_e32 v15, 30, v24
	v_and_b32_e32 v14, 3, v14
	v_cmp_eq_u32_e32 vcc, 0, v0
	v_cndmask_b32_e32 v0, v0, v15, vcc
	v_cndmask_b32_e32 v13, v13, v14, vcc
	v_bfrev_b32_e32 v14, 28
	v_lshl_add_u32 v0, v0, 23, v14
	v_and_or_b32 v0, v22, s96, v0
	v_lshl_or_b32 v0, v13, 21, v0
                                        ; implicit-def: $vgpr13
.LBB2_7850:                             ;   in Loop: Header=BB2_7317 Depth=3
	s_andn2_saveexec_b64 s[74:75], s[74:75]
; %bb.7851:                             ;   in Loop: Header=BB2_7317 Depth=3
	v_cmp_lt_i32_e32 vcc, -1, v22
	v_mov_b32_e32 v0, 0xc7600000
	v_mov_b32_e32 v14, 0x47600000
	v_cndmask_b32_e32 v0, v0, v14, vcc
	v_cmp_eq_u32_e32 vcc, 0, v13
	v_mov_b32_e32 v13, 0x7f800001
	v_cndmask_b32_e32 v0, v13, v0, vcc
; %bb.7852:                             ;   in Loop: Header=BB2_7317 Depth=3
	s_or_b64 exec, exec, s[74:75]
.LBB2_7853:                             ;   in Loop: Header=BB2_7317 Depth=3
	s_or_b64 exec, exec, s[72:73]
.LBB2_7854:                             ;   in Loop: Header=BB2_7317 Depth=3
	s_or_b64 exec, exec, s[70:71]
	v_cmp_lt_u32_e32 vcc, s43, v10
	s_and_saveexec_b64 s[70:71], vcc
	s_cbranch_execz .LBB2_7862
; %bb.7855:                             ;   in Loop: Header=BB2_7317 Depth=3
	v_cmp_ne_u32_e32 vcc, s97, v8
	v_bfrev_b32_e32 v9, 1
	s_and_saveexec_b64 s[72:73], vcc
	s_cbranch_execz .LBB2_7861
; %bb.7856:                             ;   in Loop: Header=BB2_7317 Depth=3
	v_and_b32_e32 v9, 0x7c000000, v10
	v_bfe_u32 v13, v10, 24, 2
	v_cmp_ne_u32_e32 vcc, s37, v9
                                        ; implicit-def: $vgpr9
	s_and_saveexec_b64 s[74:75], vcc
	s_xor_b64 s[74:75], exec, s[74:75]
	s_cbranch_execz .LBB2_7858
; %bb.7857:                             ;   in Loop: Header=BB2_7317 Depth=3
	v_ffbh_u32_e32 v14, v13
	v_min_u32_e32 v24, 32, v14
	v_bfe_u32 v9, v10, 26, 5
	v_subrev_u32_e32 v14, 29, v24
	v_lshlrev_b64 v[14:15], v14, v[8:9]
	v_sub_u32_e32 v15, 30, v24
	v_and_b32_e32 v14, 3, v14
	v_cmp_eq_u32_e32 vcc, 0, v9
	v_cndmask_b32_e32 v9, v9, v15, vcc
	v_cndmask_b32_e32 v13, v13, v14, vcc
	v_bfrev_b32_e32 v14, 28
	v_lshl_add_u32 v9, v9, 23, v14
	v_and_or_b32 v9, v10, s96, v9
	v_lshl_or_b32 v9, v13, 21, v9
                                        ; implicit-def: $vgpr13
.LBB2_7858:                             ;   in Loop: Header=BB2_7317 Depth=3
	s_andn2_saveexec_b64 s[74:75], s[74:75]
; %bb.7859:                             ;   in Loop: Header=BB2_7317 Depth=3
	v_cmp_lt_i32_e32 vcc, -1, v10
	v_mov_b32_e32 v9, 0xc7600000
	v_mov_b32_e32 v14, 0x47600000
	v_cndmask_b32_e32 v9, v9, v14, vcc
	v_cmp_eq_u32_e32 vcc, 0, v13
	v_mov_b32_e32 v13, 0x7f800001
	v_cndmask_b32_e32 v9, v13, v9, vcc
; %bb.7860:                             ;   in Loop: Header=BB2_7317 Depth=3
	s_or_b64 exec, exec, s[74:75]
.LBB2_7861:                             ;   in Loop: Header=BB2_7317 Depth=3
	s_or_b64 exec, exec, s[72:73]
.LBB2_7862:                             ;   in Loop: Header=BB2_7317 Depth=3
	s_or_b64 exec, exec, s[70:71]
	v_max_f32_e32 v9, v9, v9
	v_max_f32_e32 v0, v0, v0
	;; [unrolled: 1-line block ×3, first 2 shown]
	s_branch .LBB2_7881
.LBB2_7863:                             ;   in Loop: Header=BB2_7317 Depth=3
                                        ; implicit-def: $vgpr9
	s_cbranch_execz .LBB2_7881
; %bb.7864:                             ;   in Loop: Header=BB2_7317 Depth=3
	v_mov_b32_e32 v9, 0
	v_mov_b32_e32 v0, 0
	s_and_saveexec_b64 s[70:71], s[30:31]
	s_cbranch_execz .LBB2_7872
; %bb.7865:                             ;   in Loop: Header=BB2_7317 Depth=3
	v_cmp_ne_u32_e32 vcc, s97, v12
	v_bfrev_b32_e32 v0, 1
	s_and_saveexec_b64 s[30:31], vcc
	s_cbranch_execz .LBB2_7871
; %bb.7866:                             ;   in Loop: Header=BB2_7317 Depth=3
	v_and_b32_e32 v0, 0x7c000000, v22
	v_bfe_u32 v13, v22, 24, 2
	v_cmp_ne_u32_e32 vcc, s37, v0
                                        ; implicit-def: $vgpr0
	s_and_saveexec_b64 s[72:73], vcc
	s_xor_b64 s[72:73], exec, s[72:73]
	s_cbranch_execz .LBB2_7868
; %bb.7867:                             ;   in Loop: Header=BB2_7317 Depth=3
	v_ffbh_u32_e32 v14, v13
	v_min_u32_e32 v24, 32, v14
	v_subrev_u32_e32 v14, 29, v24
	v_bfe_u32 v0, v22, 26, 5
	v_lshlrev_b64 v[14:15], v14, v[12:13]
	v_sub_u32_e32 v12, 30, v24
	v_and_b32_e32 v14, 3, v14
	v_cmp_eq_u32_e32 vcc, 0, v0
	v_cndmask_b32_e32 v0, v0, v12, vcc
	v_cndmask_b32_e32 v12, v13, v14, vcc
	v_bfrev_b32_e32 v13, 28
	v_lshl_add_u32 v0, v0, 23, v13
	v_and_or_b32 v0, v22, s96, v0
	v_lshl_or_b32 v0, v12, 21, v0
                                        ; implicit-def: $vgpr13
.LBB2_7868:                             ;   in Loop: Header=BB2_7317 Depth=3
	s_andn2_saveexec_b64 s[72:73], s[72:73]
; %bb.7869:                             ;   in Loop: Header=BB2_7317 Depth=3
	v_cmp_lt_i32_e32 vcc, -1, v22
	v_mov_b32_e32 v0, 0xc7600000
	v_mov_b32_e32 v12, 0x47600000
	v_cndmask_b32_e32 v0, v0, v12, vcc
	v_cmp_eq_u32_e32 vcc, 0, v13
	v_mov_b32_e32 v12, 0x7f800001
	v_cndmask_b32_e32 v0, v12, v0, vcc
; %bb.7870:                             ;   in Loop: Header=BB2_7317 Depth=3
	s_or_b64 exec, exec, s[72:73]
.LBB2_7871:                             ;   in Loop: Header=BB2_7317 Depth=3
	s_or_b64 exec, exec, s[30:31]
.LBB2_7872:                             ;   in Loop: Header=BB2_7317 Depth=3
	s_or_b64 exec, exec, s[70:71]
	v_cmp_lt_u32_e32 vcc, s43, v10
	s_and_saveexec_b64 s[30:31], vcc
	s_cbranch_execz .LBB2_7880
; %bb.7873:                             ;   in Loop: Header=BB2_7317 Depth=3
	v_cmp_ne_u32_e32 vcc, s97, v8
	v_bfrev_b32_e32 v9, 1
	s_and_saveexec_b64 s[70:71], vcc
	s_cbranch_execz .LBB2_7879
; %bb.7874:                             ;   in Loop: Header=BB2_7317 Depth=3
	v_and_b32_e32 v9, 0x7c000000, v10
	v_bfe_u32 v12, v10, 24, 2
	v_cmp_ne_u32_e32 vcc, s37, v9
                                        ; implicit-def: $vgpr9
	s_and_saveexec_b64 s[72:73], vcc
	s_xor_b64 s[72:73], exec, s[72:73]
	s_cbranch_execz .LBB2_7876
; %bb.7875:                             ;   in Loop: Header=BB2_7317 Depth=3
	v_ffbh_u32_e32 v9, v12
	v_min_u32_e32 v14, 32, v9
	v_subrev_u32_e32 v9, 29, v14
	v_bfe_u32 v13, v10, 26, 5
	v_lshlrev_b64 v[8:9], v9, v[8:9]
	v_sub_u32_e32 v9, 30, v14
	v_and_b32_e32 v8, 3, v8
	v_cmp_eq_u32_e32 vcc, 0, v13
	v_cndmask_b32_e32 v9, v13, v9, vcc
	v_cndmask_b32_e32 v8, v12, v8, vcc
	v_bfrev_b32_e32 v12, 28
	v_lshl_add_u32 v9, v9, 23, v12
	v_and_or_b32 v9, v10, s96, v9
	v_lshl_or_b32 v9, v8, 21, v9
                                        ; implicit-def: $vgpr12
.LBB2_7876:                             ;   in Loop: Header=BB2_7317 Depth=3
	s_andn2_saveexec_b64 s[72:73], s[72:73]
; %bb.7877:                             ;   in Loop: Header=BB2_7317 Depth=3
	v_cmp_lt_i32_e32 vcc, -1, v10
	v_mov_b32_e32 v8, 0xc7600000
	v_mov_b32_e32 v9, 0x47600000
	v_cndmask_b32_e32 v8, v8, v9, vcc
	v_cmp_eq_u32_e32 vcc, 0, v12
	v_mov_b32_e32 v9, 0x7f800001
	v_cndmask_b32_e32 v9, v9, v8, vcc
; %bb.7878:                             ;   in Loop: Header=BB2_7317 Depth=3
	s_or_b64 exec, exec, s[72:73]
.LBB2_7879:                             ;   in Loop: Header=BB2_7317 Depth=3
	s_or_b64 exec, exec, s[70:71]
.LBB2_7880:                             ;   in Loop: Header=BB2_7317 Depth=3
	s_or_b64 exec, exec, s[30:31]
	v_max_f32_e32 v8, v9, v9
	v_max_f32_e32 v0, v0, v0
	v_min_f32_e32 v9, v0, v8
.LBB2_7881:                             ;   in Loop: Header=BB2_7317 Depth=3
	v_and_b32_sdwa v12, v9, s97 dst_sel:DWORD dst_unused:UNUSED_PAD src0_sel:BYTE_3 src1_sel:DWORD
	v_and_b32_e32 v14, 0x7f800000, v9
	v_mov_b32_e32 v15, v51
	v_and_b32_e32 v50, 0x7fffff, v9
	v_or_b32_e32 v0, 0x7b, v12
	v_cmp_ne_u64_e32 vcc, s[52:53], v[14:15]
	s_and_saveexec_b64 s[30:31], vcc
	s_xor_b64 s[70:71], exec, s[30:31]
	s_cbranch_execz .LBB2_7891
; %bb.7882:                             ;   in Loop: Header=BB2_7317 Depth=3
	v_and_b32_e32 v14, 0x7fffffff, v9
	v_mov_b32_e32 v15, v51
	v_cmp_gt_u64_e32 vcc, s[54:55], v[14:15]
	s_and_saveexec_b64 s[72:73], vcc
	s_cbranch_execz .LBB2_7890
; %bb.7883:                             ;   in Loop: Header=BB2_7317 Depth=3
	v_cmp_ne_u32_e32 vcc, 0, v9
	v_mov_b32_e32 v0, 0
	s_and_saveexec_b64 s[74:75], vcc
	s_cbranch_execz .LBB2_7889
; %bb.7884:                             ;   in Loop: Header=BB2_7317 Depth=3
	v_bfe_u32 v0, v9, 23, 8
	v_sub_u32_e32 v9, 0x71, v0
	v_cmp_gt_u32_e32 vcc, s38, v0
	v_add_u32_e32 v8, 0xffffff81, v0
	v_cndmask_b32_e32 v9, 0, v9, vcc
	v_cmp_eq_u32_e32 vcc, 0, v0
	v_mov_b32_e32 v0, 0xffffff82
	v_cndmask_b32_e32 v0, v8, v0, vcc
	v_mov_b32_e32 v8, 0x70
	v_or_b32_e32 v13, 0x800000, v50
	v_cndmask_b32_e32 v14, v9, v8, vcc
	v_cndmask_b32_e32 v50, v13, v50, vcc
	v_add_u32_e32 v8, 21, v14
	v_lshlrev_b64 v[8:9], v8, -1
	v_add_u32_e32 v13, 20, v14
	v_lshrrev_b64 v[40:41], v14, v[50:51]
	v_not_b32_e32 v9, v9
	v_not_b32_e32 v8, v8
	v_lshlrev_b64 v[54:55], v13, 1
	v_lshrrev_b32_e32 v13, 23, v40
	v_and_b32_e32 v9, 0, v9
	v_and_b32_e32 v8, v50, v8
	v_add3_u32 v14, v14, v0, v13
	v_bfe_u32 v0, v40, 21, 1
	v_add_u32_e32 v0, -1, v0
	v_cmp_eq_u64_e32 vcc, v[8:9], v[54:55]
	v_cndmask_b32_e32 v0, 0, v0, vcc
	v_add_u32_e32 v0, v0, v40
	v_and_b32_e32 v0, 0x1fffff, v0
	v_add_co_u32_e32 v8, vcc, v0, v40
	v_add_u32_e32 v13, 14, v14
	v_addc_co_u32_e32 v9, vcc, 0, v41, vcc
	v_cmp_ne_u32_e32 vcc, 0, v13
                                        ; implicit-def: $vgpr0
	s_and_saveexec_b64 s[30:31], vcc
	s_xor_b64 s[30:31], exec, s[30:31]
; %bb.7885:                             ;   in Loop: Header=BB2_7317 Depth=3
	v_add_u32_e32 v0, 15, v14
	v_cmp_lt_u64_e32 vcc, s[56:57], v[8:9]
	v_cndmask_b32_e32 v0, v13, v0, vcc
	v_cndmask_b32_e64 v13, 0, 1, vcc
	v_lshrrev_b64 v[8:9], v13, v[8:9]
; %bb.7886:                             ;   in Loop: Header=BB2_7317 Depth=3
	s_andn2_saveexec_b64 vcc, s[30:31]
; %bb.7887:                             ;   in Loop: Header=BB2_7317 Depth=3
	v_bfe_u32 v0, v8, 23, 1
; %bb.7888:                             ;   in Loop: Header=BB2_7317 Depth=3
	s_or_b64 exec, exec, vcc
	v_lshrrev_b64 v[8:9], 21, v[8:9]
	v_cmp_gt_i32_e32 vcc, 32, v0
	v_cndmask_b32_e32 v9, 0, v9, vcc
	v_cndmask_b32_e32 v8, 3, v8, vcc
	v_cmp_eq_u32_e32 vcc, 0, v0
	v_min_i32_e32 v0, 31, v0
	v_cmp_eq_u64_e64 s[30:31], 0, v[8:9]
	v_lshlrev_b32_e32 v0, 2, v0
	v_and_or_b32 v0, v8, 3, v0
	s_and_b64 vcc, vcc, s[30:31]
	v_cndmask_b32_e64 v0, v0, 0, vcc
	v_or_b32_e32 v0, v0, v12
	v_accvgpr_read_b32 v40, a3
	v_accvgpr_read_b32 v41, a23
.LBB2_7889:                             ;   in Loop: Header=BB2_7317 Depth=3
	s_or_b64 exec, exec, s[74:75]
.LBB2_7890:                             ;   in Loop: Header=BB2_7317 Depth=3
	s_or_b64 exec, exec, s[72:73]
                                        ; implicit-def: $vgpr9
.LBB2_7891:                             ;   in Loop: Header=BB2_7317 Depth=3
	s_andn2_saveexec_b64 s[30:31], s[70:71]
; %bb.7892:                             ;   in Loop: Header=BB2_7317 Depth=3
	v_or_b32_sdwa v8, v9, s39 dst_sel:DWORD dst_unused:UNUSED_PAD src0_sel:BYTE_3 src1_sel:DWORD
	v_cmp_eq_u64_e32 vcc, 0, v[50:51]
	v_cndmask_b32_e32 v0, v8, v0, vcc
; %bb.7893:                             ;   in Loop: Header=BB2_7317 Depth=3
	s_or_b64 exec, exec, s[30:31]
	v_mov_b32_e32 v50, v23
	v_mov_b32_e32 v8, v11
	;; [unrolled: 1-line block ×3, first 2 shown]
	v_cmp_ne_u16_sdwa s[30:31], v23, v51 src0_sel:BYTE_0 src1_sel:DWORD
	s_and_b64 vcc, exec, s[68:69]
	s_cbranch_vccz .LBB2_7911
; %bb.7894:                             ;   in Loop: Header=BB2_7317 Depth=3
	v_mov_b32_e32 v13, 0
	v_mov_b32_e32 v12, 0
	s_and_saveexec_b64 s[70:71], s[30:31]
	s_cbranch_execz .LBB2_7902
; %bb.7895:                             ;   in Loop: Header=BB2_7317 Depth=3
	v_cmp_ne_u16_sdwa vcc, v23, s97 src0_sel:BYTE_0 src1_sel:DWORD
	v_bfrev_b32_e32 v12, 1
	s_and_saveexec_b64 s[72:73], vcc
	s_cbranch_execz .LBB2_7901
; %bb.7896:                             ;   in Loop: Header=BB2_7317 Depth=3
	v_and_b32_e32 v12, 0x7c, v23
	v_and_b32_e32 v14, 3, v23
	v_cmp_ne_u32_e32 vcc, s95, v12
                                        ; implicit-def: $vgpr12
	s_and_saveexec_b64 s[74:75], vcc
	s_xor_b64 s[74:75], exec, s[74:75]
	s_cbranch_execz .LBB2_7898
; %bb.7897:                             ;   in Loop: Header=BB2_7317 Depth=3
	v_ffbh_u32_e32 v15, v14
	v_min_u32_e32 v15, 32, v15
	v_subrev_u32_e32 v24, 29, v15
	v_bfe_u32 v12, v23, 2, 5
	v_lshlrev_b64 v[54:55], v24, v[50:51]
	v_sub_u32_e32 v15, 30, v15
	v_and_b32_e32 v24, 3, v54
	v_cmp_eq_u32_e32 vcc, 0, v12
	v_cndmask_b32_e32 v12, v12, v15, vcc
	v_cndmask_b32_e32 v14, v14, v24, vcc
	v_bfrev_b32_e32 v24, 28
	v_lshlrev_b32_e32 v15, 24, v23
	v_lshl_add_u32 v12, v12, 23, v24
	v_and_or_b32 v12, v15, s96, v12
	v_lshl_or_b32 v12, v14, 21, v12
                                        ; implicit-def: $vgpr14
.LBB2_7898:                             ;   in Loop: Header=BB2_7317 Depth=3
	s_andn2_saveexec_b64 s[74:75], s[74:75]
; %bb.7899:                             ;   in Loop: Header=BB2_7317 Depth=3
	v_mov_b32_e32 v12, -1
	v_cmp_gt_i16_sdwa vcc, sext(v23), v12 src0_sel:BYTE_0 src1_sel:DWORD
	v_mov_b32_e32 v12, 0xc7600000
	v_mov_b32_e32 v15, 0x47600000
	v_cndmask_b32_e32 v12, v12, v15, vcc
	v_cmp_eq_u32_e32 vcc, 0, v14
	v_mov_b32_e32 v14, 0x7f800001
	v_cndmask_b32_e32 v12, v14, v12, vcc
; %bb.7900:                             ;   in Loop: Header=BB2_7317 Depth=3
	s_or_b64 exec, exec, s[74:75]
.LBB2_7901:                             ;   in Loop: Header=BB2_7317 Depth=3
	s_or_b64 exec, exec, s[72:73]
.LBB2_7902:                             ;   in Loop: Header=BB2_7317 Depth=3
	s_or_b64 exec, exec, s[70:71]
	v_cmp_ne_u16_sdwa vcc, v11, v51 src0_sel:BYTE_0 src1_sel:DWORD
	s_and_saveexec_b64 s[70:71], vcc
	s_cbranch_execz .LBB2_7910
; %bb.7903:                             ;   in Loop: Header=BB2_7317 Depth=3
	v_cmp_ne_u16_sdwa vcc, v11, s97 src0_sel:BYTE_0 src1_sel:DWORD
	v_bfrev_b32_e32 v13, 1
	s_and_saveexec_b64 s[72:73], vcc
	s_cbranch_execz .LBB2_7909
; %bb.7904:                             ;   in Loop: Header=BB2_7317 Depth=3
	v_and_b32_e32 v13, 0x7c, v11
	v_and_b32_e32 v14, 3, v11
	v_cmp_ne_u32_e32 vcc, s95, v13
                                        ; implicit-def: $vgpr13
	s_and_saveexec_b64 s[74:75], vcc
	s_xor_b64 s[74:75], exec, s[74:75]
	s_cbranch_execz .LBB2_7906
; %bb.7905:                             ;   in Loop: Header=BB2_7317 Depth=3
	v_ffbh_u32_e32 v15, v14
	v_min_u32_e32 v15, 32, v15
	v_subrev_u32_e32 v24, 29, v15
	v_bfe_u32 v13, v11, 2, 5
	v_lshlrev_b64 v[54:55], v24, v[8:9]
	v_sub_u32_e32 v15, 30, v15
	v_and_b32_e32 v24, 3, v54
	v_cmp_eq_u32_e32 vcc, 0, v13
	v_cndmask_b32_e32 v13, v13, v15, vcc
	v_cndmask_b32_e32 v14, v14, v24, vcc
	v_bfrev_b32_e32 v24, 28
	v_lshlrev_b32_e32 v15, 24, v11
	v_lshl_add_u32 v13, v13, 23, v24
	v_and_or_b32 v13, v15, s96, v13
	v_lshl_or_b32 v13, v14, 21, v13
                                        ; implicit-def: $vgpr14
.LBB2_7906:                             ;   in Loop: Header=BB2_7317 Depth=3
	s_andn2_saveexec_b64 s[74:75], s[74:75]
; %bb.7907:                             ;   in Loop: Header=BB2_7317 Depth=3
	v_mov_b32_e32 v13, -1
	v_cmp_gt_i16_sdwa vcc, sext(v11), v13 src0_sel:BYTE_0 src1_sel:DWORD
	v_mov_b32_e32 v13, 0xc7600000
	v_mov_b32_e32 v15, 0x47600000
	v_cndmask_b32_e32 v13, v13, v15, vcc
	v_cmp_eq_u32_e32 vcc, 0, v14
	v_mov_b32_e32 v14, 0x7f800001
	v_cndmask_b32_e32 v13, v14, v13, vcc
; %bb.7908:                             ;   in Loop: Header=BB2_7317 Depth=3
	s_or_b64 exec, exec, s[74:75]
.LBB2_7909:                             ;   in Loop: Header=BB2_7317 Depth=3
	s_or_b64 exec, exec, s[72:73]
.LBB2_7910:                             ;   in Loop: Header=BB2_7317 Depth=3
	s_or_b64 exec, exec, s[70:71]
	v_max_f32_e32 v13, v13, v13
	v_max_f32_e32 v12, v12, v12
	;; [unrolled: 1-line block ×3, first 2 shown]
	s_branch .LBB2_7929
.LBB2_7911:                             ;   in Loop: Header=BB2_7317 Depth=3
                                        ; implicit-def: $vgpr14
	s_cbranch_execz .LBB2_7929
; %bb.7912:                             ;   in Loop: Header=BB2_7317 Depth=3
	v_mov_b32_e32 v13, 0
	v_mov_b32_e32 v12, 0
	s_and_saveexec_b64 s[70:71], s[30:31]
	s_cbranch_execz .LBB2_7920
; %bb.7913:                             ;   in Loop: Header=BB2_7317 Depth=3
	v_cmp_ne_u16_sdwa vcc, v23, s97 src0_sel:BYTE_0 src1_sel:DWORD
	v_bfrev_b32_e32 v12, 1
	s_and_saveexec_b64 s[30:31], vcc
	s_cbranch_execz .LBB2_7919
; %bb.7914:                             ;   in Loop: Header=BB2_7317 Depth=3
	v_and_b32_e32 v12, 0x7c, v23
	v_and_b32_e32 v14, 3, v23
	v_cmp_ne_u32_e32 vcc, s95, v12
                                        ; implicit-def: $vgpr12
	s_and_saveexec_b64 s[72:73], vcc
	s_xor_b64 s[72:73], exec, s[72:73]
	s_cbranch_execz .LBB2_7916
; %bb.7915:                             ;   in Loop: Header=BB2_7317 Depth=3
	v_ffbh_u32_e32 v15, v14
	v_min_u32_e32 v15, 32, v15
	v_subrev_u32_e32 v24, 29, v15
	v_bfe_u32 v12, v23, 2, 5
	v_lshlrev_b64 v[54:55], v24, v[50:51]
	v_sub_u32_e32 v15, 30, v15
	v_and_b32_e32 v24, 3, v54
	v_cmp_eq_u32_e32 vcc, 0, v12
	v_cndmask_b32_e32 v12, v12, v15, vcc
	v_cndmask_b32_e32 v14, v14, v24, vcc
	v_bfrev_b32_e32 v24, 28
	v_lshlrev_b32_e32 v15, 24, v23
	v_lshl_add_u32 v12, v12, 23, v24
	v_and_or_b32 v12, v15, s96, v12
	v_lshl_or_b32 v12, v14, 21, v12
                                        ; implicit-def: $vgpr14
.LBB2_7916:                             ;   in Loop: Header=BB2_7317 Depth=3
	s_andn2_saveexec_b64 s[72:73], s[72:73]
; %bb.7917:                             ;   in Loop: Header=BB2_7317 Depth=3
	v_mov_b32_e32 v12, -1
	v_cmp_gt_i16_sdwa vcc, sext(v23), v12 src0_sel:BYTE_0 src1_sel:DWORD
	v_mov_b32_e32 v12, 0xc7600000
	v_mov_b32_e32 v15, 0x47600000
	v_cndmask_b32_e32 v12, v12, v15, vcc
	v_cmp_eq_u32_e32 vcc, 0, v14
	v_mov_b32_e32 v14, 0x7f800001
	v_cndmask_b32_e32 v12, v14, v12, vcc
; %bb.7918:                             ;   in Loop: Header=BB2_7317 Depth=3
	s_or_b64 exec, exec, s[72:73]
.LBB2_7919:                             ;   in Loop: Header=BB2_7317 Depth=3
	s_or_b64 exec, exec, s[30:31]
.LBB2_7920:                             ;   in Loop: Header=BB2_7317 Depth=3
	s_or_b64 exec, exec, s[70:71]
	v_cmp_ne_u16_sdwa vcc, v11, v51 src0_sel:BYTE_0 src1_sel:DWORD
	s_and_saveexec_b64 s[30:31], vcc
	s_cbranch_execz .LBB2_7928
; %bb.7921:                             ;   in Loop: Header=BB2_7317 Depth=3
	v_cmp_ne_u16_sdwa vcc, v11, s97 src0_sel:BYTE_0 src1_sel:DWORD
	v_bfrev_b32_e32 v13, 1
	s_and_saveexec_b64 s[70:71], vcc
	s_cbranch_execz .LBB2_7927
; %bb.7922:                             ;   in Loop: Header=BB2_7317 Depth=3
	v_and_b32_e32 v13, 0x7c, v11
	v_and_b32_e32 v14, 3, v11
	v_cmp_ne_u32_e32 vcc, s95, v13
                                        ; implicit-def: $vgpr13
	s_and_saveexec_b64 s[72:73], vcc
	s_xor_b64 s[72:73], exec, s[72:73]
	s_cbranch_execz .LBB2_7924
; %bb.7923:                             ;   in Loop: Header=BB2_7317 Depth=3
	v_ffbh_u32_e32 v15, v14
	v_min_u32_e32 v15, 32, v15
	v_subrev_u32_e32 v24, 29, v15
	v_bfe_u32 v13, v11, 2, 5
	v_lshlrev_b64 v[54:55], v24, v[8:9]
	v_sub_u32_e32 v9, 30, v15
	v_and_b32_e32 v15, 3, v54
	v_cmp_eq_u32_e32 vcc, 0, v13
	v_cndmask_b32_e32 v9, v13, v9, vcc
	v_cndmask_b32_e32 v13, v14, v15, vcc
	v_bfrev_b32_e32 v15, 28
	v_lshlrev_b32_e32 v14, 24, v11
	v_lshl_add_u32 v9, v9, 23, v15
	v_and_or_b32 v9, v14, s96, v9
	v_lshl_or_b32 v13, v13, 21, v9
                                        ; implicit-def: $vgpr14
.LBB2_7924:                             ;   in Loop: Header=BB2_7317 Depth=3
	s_andn2_saveexec_b64 s[72:73], s[72:73]
; %bb.7925:                             ;   in Loop: Header=BB2_7317 Depth=3
	v_mov_b32_e32 v9, -1
	v_cmp_gt_i16_sdwa vcc, sext(v11), v9 src0_sel:BYTE_0 src1_sel:DWORD
	v_mov_b32_e32 v9, 0xc7600000
	v_mov_b32_e32 v13, 0x47600000
	v_cndmask_b32_e32 v9, v9, v13, vcc
	v_cmp_eq_u32_e32 vcc, 0, v14
	v_mov_b32_e32 v13, 0x7f800001
	v_cndmask_b32_e32 v13, v13, v9, vcc
; %bb.7926:                             ;   in Loop: Header=BB2_7317 Depth=3
	s_or_b64 exec, exec, s[72:73]
.LBB2_7927:                             ;   in Loop: Header=BB2_7317 Depth=3
	s_or_b64 exec, exec, s[70:71]
.LBB2_7928:                             ;   in Loop: Header=BB2_7317 Depth=3
	s_or_b64 exec, exec, s[30:31]
	v_max_f32_e32 v9, v13, v13
	v_max_f32_e32 v12, v12, v12
	v_min_f32_e32 v14, v12, v9
.LBB2_7929:                             ;   in Loop: Header=BB2_7317 Depth=3
	v_and_b32_sdwa v9, v14, s97 dst_sel:DWORD dst_unused:UNUSED_PAD src0_sel:BYTE_3 src1_sel:DWORD
	v_and_b32_e32 v54, 0x7f800000, v14
	v_mov_b32_e32 v55, v51
	v_and_b32_e32 v12, 0x7fffff, v14
	v_mov_b32_e32 v13, v51
	v_or_b32_e32 v31, 0x7b, v9
	v_cmp_ne_u64_e32 vcc, s[52:53], v[54:55]
	s_and_saveexec_b64 s[30:31], vcc
	s_xor_b64 s[70:71], exec, s[30:31]
	s_cbranch_execz .LBB2_7939
; %bb.7930:                             ;   in Loop: Header=BB2_7317 Depth=3
	v_and_b32_e32 v54, 0x7fffffff, v14
	v_mov_b32_e32 v55, v51
	v_cmp_gt_u64_e32 vcc, s[54:55], v[54:55]
	s_and_saveexec_b64 s[72:73], vcc
	s_cbranch_execz .LBB2_7938
; %bb.7931:                             ;   in Loop: Header=BB2_7317 Depth=3
	v_cmp_ne_u32_e32 vcc, 0, v14
	v_mov_b32_e32 v31, 0
	s_and_saveexec_b64 s[74:75], vcc
	s_cbranch_execz .LBB2_7937
; %bb.7932:                             ;   in Loop: Header=BB2_7317 Depth=3
	v_bfe_u32 v14, v14, 23, 8
	v_sub_u32_e32 v24, 0x71, v14
	v_cmp_gt_u32_e32 vcc, s38, v14
	v_add_u32_e32 v15, 0xffffff81, v14
	v_cndmask_b32_e32 v24, 0, v24, vcc
	v_cmp_eq_u32_e32 vcc, 0, v14
	v_mov_b32_e32 v14, 0xffffff82
	v_cndmask_b32_e32 v31, v15, v14, vcc
	v_mov_b32_e32 v14, 0x70
	v_cndmask_b32_e32 v24, v24, v14, vcc
	v_add_u32_e32 v14, 21, v24
	v_or_b32_e32 v25, 0x800000, v12
	v_lshlrev_b64 v[14:15], v14, -1
	v_cndmask_b32_e32 v12, v25, v12, vcc
	v_not_b32_e32 v14, v14
	v_and_b32_e32 v54, v12, v14
	v_add_u32_e32 v14, 20, v24
	v_lshrrev_b64 v[12:13], v24, v[12:13]
	v_not_b32_e32 v15, v15
	v_lshlrev_b64 v[40:41], v14, 1
	v_lshrrev_b32_e32 v14, 23, v12
	v_and_b32_e32 v55, 0, v15
	v_add3_u32 v31, v24, v31, v14
	v_bfe_u32 v14, v12, 21, 1
	v_add_u32_e32 v14, -1, v14
	v_cmp_eq_u64_e32 vcc, v[54:55], v[40:41]
	v_cndmask_b32_e32 v14, 0, v14, vcc
	v_add_u32_e32 v14, v14, v12
	v_and_b32_e32 v14, 0x1fffff, v14
	v_add_co_u32_e32 v12, vcc, v14, v12
	v_add_u32_e32 v15, 14, v31
	v_addc_co_u32_e32 v13, vcc, 0, v13, vcc
	v_cmp_ne_u32_e32 vcc, 0, v15
                                        ; implicit-def: $vgpr14
	s_and_saveexec_b64 s[30:31], vcc
	s_xor_b64 s[30:31], exec, s[30:31]
; %bb.7933:                             ;   in Loop: Header=BB2_7317 Depth=3
	v_add_u32_e32 v14, 15, v31
	v_cmp_lt_u64_e32 vcc, s[56:57], v[12:13]
	v_cndmask_b32_e32 v14, v15, v14, vcc
	v_cndmask_b32_e64 v15, 0, 1, vcc
	v_lshrrev_b64 v[12:13], v15, v[12:13]
; %bb.7934:                             ;   in Loop: Header=BB2_7317 Depth=3
	s_andn2_saveexec_b64 vcc, s[30:31]
; %bb.7935:                             ;   in Loop: Header=BB2_7317 Depth=3
	v_bfe_u32 v14, v12, 23, 1
; %bb.7936:                             ;   in Loop: Header=BB2_7317 Depth=3
	s_or_b64 exec, exec, vcc
	v_lshrrev_b64 v[12:13], 21, v[12:13]
	v_cmp_gt_i32_e32 vcc, 32, v14
	v_cndmask_b32_e32 v13, 0, v13, vcc
	v_cndmask_b32_e32 v12, 3, v12, vcc
	v_cmp_eq_u64_e64 s[30:31], 0, v[12:13]
	v_min_i32_e32 v13, 31, v14
	v_cmp_eq_u32_e32 vcc, 0, v14
	v_lshlrev_b32_e32 v13, 2, v13
	v_and_or_b32 v12, v12, 3, v13
	s_and_b64 vcc, vcc, s[30:31]
	v_cndmask_b32_e64 v12, v12, 0, vcc
	v_or_b32_e32 v31, v12, v9
	v_accvgpr_read_b32 v40, a3
	v_accvgpr_read_b32 v41, a23
.LBB2_7937:                             ;   in Loop: Header=BB2_7317 Depth=3
	s_or_b64 exec, exec, s[74:75]
.LBB2_7938:                             ;   in Loop: Header=BB2_7317 Depth=3
	s_or_b64 exec, exec, s[72:73]
                                        ; implicit-def: $vgpr14
                                        ; implicit-def: $vgpr12_vgpr13
.LBB2_7939:                             ;   in Loop: Header=BB2_7317 Depth=3
	s_andn2_saveexec_b64 s[30:31], s[70:71]
; %bb.7940:                             ;   in Loop: Header=BB2_7317 Depth=3
	v_or_b32_sdwa v9, v14, s39 dst_sel:DWORD dst_unused:UNUSED_PAD src0_sel:BYTE_3 src1_sel:DWORD
	v_cmp_eq_u64_e32 vcc, 0, v[12:13]
	v_cndmask_b32_e32 v31, v9, v31, vcc
; %bb.7941:                             ;   in Loop: Header=BB2_7317 Depth=3
	s_or_b64 exec, exec, s[30:31]
	v_lshrrev_b16_e32 v14, 8, v50
	v_lshrrev_b16_e32 v12, 8, v8
	v_cmp_ne_u16_e64 s[30:31], 0, v14
	s_and_b64 vcc, exec, s[68:69]
	s_cbranch_vccz .LBB2_7959
; %bb.7942:                             ;   in Loop: Header=BB2_7317 Depth=3
	v_mov_b32_e32 v13, 0
	v_mov_b32_e32 v9, 0
	s_and_saveexec_b64 s[70:71], s[30:31]
	s_cbranch_execz .LBB2_7950
; %bb.7943:                             ;   in Loop: Header=BB2_7317 Depth=3
	v_cmp_ne_u16_e32 vcc, s97, v14
	v_bfrev_b32_e32 v9, 1
	s_and_saveexec_b64 s[72:73], vcc
	s_cbranch_execz .LBB2_7949
; %bb.7944:                             ;   in Loop: Header=BB2_7317 Depth=3
	v_and_b32_e32 v9, 0x7c, v14
	v_and_b32_e32 v53, 3, v14
	v_cmp_ne_u32_e32 vcc, s95, v9
                                        ; implicit-def: $vgpr9
	s_and_saveexec_b64 s[74:75], vcc
	s_xor_b64 s[74:75], exec, s[74:75]
	s_cbranch_execz .LBB2_7946
; %bb.7945:                             ;   in Loop: Header=BB2_7317 Depth=3
	v_ffbh_u32_e32 v24, v53
	v_min_u32_e32 v24, 32, v24
	v_mov_b32_e32 v15, v51
	v_bfe_u32 v9, v14, 2, 5
	v_subrev_u32_e32 v25, 29, v24
	v_lshlrev_b64 v[54:55], v25, v[14:15]
	v_sub_u32_e32 v15, 30, v24
	v_cmp_eq_u32_e32 vcc, 0, v9
	v_and_b32_e32 v24, 3, v54
	v_cndmask_b32_e32 v9, v9, v15, vcc
	v_bfrev_b32_e32 v25, 28
	v_cndmask_b32_e32 v15, v53, v24, vcc
	v_lshlrev_b32_e32 v24, 16, v50
	v_lshl_add_u32 v9, v9, 23, v25
	v_and_or_b32 v9, v24, s96, v9
	v_lshl_or_b32 v9, v15, 21, v9
                                        ; implicit-def: $vgpr53
.LBB2_7946:                             ;   in Loop: Header=BB2_7317 Depth=3
	s_andn2_saveexec_b64 s[74:75], s[74:75]
; %bb.7947:                             ;   in Loop: Header=BB2_7317 Depth=3
	v_cmp_lt_i16_e32 vcc, -1, v50
	v_mov_b32_e32 v9, 0xc7600000
	v_mov_b32_e32 v15, 0x47600000
	v_cndmask_b32_e32 v9, v9, v15, vcc
	v_cmp_eq_u32_e32 vcc, 0, v53
	v_mov_b32_e32 v15, 0x7f800001
	v_cndmask_b32_e32 v9, v15, v9, vcc
; %bb.7948:                             ;   in Loop: Header=BB2_7317 Depth=3
	s_or_b64 exec, exec, s[74:75]
.LBB2_7949:                             ;   in Loop: Header=BB2_7317 Depth=3
	s_or_b64 exec, exec, s[72:73]
.LBB2_7950:                             ;   in Loop: Header=BB2_7317 Depth=3
	s_or_b64 exec, exec, s[70:71]
	v_cmp_ne_u16_e32 vcc, 0, v12
	s_and_saveexec_b64 s[70:71], vcc
	s_cbranch_execz .LBB2_7958
; %bb.7951:                             ;   in Loop: Header=BB2_7317 Depth=3
	v_cmp_ne_u16_e32 vcc, s97, v12
	v_bfrev_b32_e32 v13, 1
	s_and_saveexec_b64 s[72:73], vcc
	s_cbranch_execz .LBB2_7957
; %bb.7952:                             ;   in Loop: Header=BB2_7317 Depth=3
	v_and_b32_e32 v13, 0x7c, v12
	v_and_b32_e32 v15, 3, v12
	v_cmp_ne_u32_e32 vcc, s95, v13
                                        ; implicit-def: $vgpr13
	s_and_saveexec_b64 s[74:75], vcc
	s_xor_b64 s[74:75], exec, s[74:75]
	s_cbranch_execz .LBB2_7954
; %bb.7953:                             ;   in Loop: Header=BB2_7317 Depth=3
	v_ffbh_u32_e32 v25, v15
	v_min_u32_e32 v25, 32, v25
	v_mov_b32_e32 v13, v51
	v_subrev_u32_e32 v53, 29, v25
	v_bfe_u32 v24, v12, 2, 5
	v_lshlrev_b64 v[54:55], v53, v[12:13]
	v_sub_u32_e32 v13, 30, v25
	v_and_b32_e32 v25, 3, v54
	v_cmp_eq_u32_e32 vcc, 0, v24
	v_cndmask_b32_e32 v13, v24, v13, vcc
	v_cndmask_b32_e32 v15, v15, v25, vcc
	v_bfrev_b32_e32 v25, 28
	v_lshlrev_b32_e32 v24, 16, v8
	v_lshl_add_u32 v13, v13, 23, v25
	v_and_or_b32 v13, v24, s96, v13
	v_lshl_or_b32 v13, v15, 21, v13
                                        ; implicit-def: $vgpr15
.LBB2_7954:                             ;   in Loop: Header=BB2_7317 Depth=3
	s_andn2_saveexec_b64 s[74:75], s[74:75]
; %bb.7955:                             ;   in Loop: Header=BB2_7317 Depth=3
	v_cmp_lt_i16_e32 vcc, -1, v8
	v_mov_b32_e32 v13, 0xc7600000
	v_mov_b32_e32 v24, 0x47600000
	v_cndmask_b32_e32 v13, v13, v24, vcc
	v_cmp_eq_u32_e32 vcc, 0, v15
	v_mov_b32_e32 v15, 0x7f800001
	v_cndmask_b32_e32 v13, v15, v13, vcc
; %bb.7956:                             ;   in Loop: Header=BB2_7317 Depth=3
	s_or_b64 exec, exec, s[74:75]
.LBB2_7957:                             ;   in Loop: Header=BB2_7317 Depth=3
	s_or_b64 exec, exec, s[72:73]
.LBB2_7958:                             ;   in Loop: Header=BB2_7317 Depth=3
	s_or_b64 exec, exec, s[70:71]
	v_max_f32_e32 v13, v13, v13
	v_max_f32_e32 v9, v9, v9
	;; [unrolled: 1-line block ×3, first 2 shown]
	s_branch .LBB2_7977
.LBB2_7959:                             ;   in Loop: Header=BB2_7317 Depth=3
                                        ; implicit-def: $vgpr9
	s_cbranch_execz .LBB2_7977
; %bb.7960:                             ;   in Loop: Header=BB2_7317 Depth=3
	v_mov_b32_e32 v13, 0
	v_mov_b32_e32 v15, 0
	s_and_saveexec_b64 s[70:71], s[30:31]
	s_cbranch_execz .LBB2_7968
; %bb.7961:                             ;   in Loop: Header=BB2_7317 Depth=3
	v_cmp_ne_u16_e32 vcc, s97, v14
	v_bfrev_b32_e32 v15, 1
	s_and_saveexec_b64 s[30:31], vcc
	s_cbranch_execz .LBB2_7967
; %bb.7962:                             ;   in Loop: Header=BB2_7317 Depth=3
	v_and_b32_e32 v15, 0x7c, v14
	v_and_b32_e32 v9, 3, v14
	v_cmp_ne_u32_e32 vcc, s95, v15
                                        ; implicit-def: $vgpr15
	s_and_saveexec_b64 s[72:73], vcc
	s_xor_b64 s[72:73], exec, s[72:73]
	s_cbranch_execz .LBB2_7964
; %bb.7963:                             ;   in Loop: Header=BB2_7317 Depth=3
	v_ffbh_u32_e32 v25, v9
	v_min_u32_e32 v25, 32, v25
	v_mov_b32_e32 v15, v51
	v_subrev_u32_e32 v53, 29, v25
	v_bfe_u32 v24, v14, 2, 5
	v_lshlrev_b64 v[14:15], v53, v[14:15]
	v_sub_u32_e32 v15, 30, v25
	v_cmp_eq_u32_e32 vcc, 0, v24
	v_and_b32_e32 v14, 3, v14
	v_cndmask_b32_e32 v15, v24, v15, vcc
	v_bfrev_b32_e32 v24, 28
	v_cndmask_b32_e32 v9, v9, v14, vcc
	v_lshlrev_b32_e32 v14, 16, v50
	v_lshl_add_u32 v15, v15, 23, v24
	v_and_or_b32 v14, v14, s96, v15
	v_lshl_or_b32 v15, v9, 21, v14
                                        ; implicit-def: $vgpr9
.LBB2_7964:                             ;   in Loop: Header=BB2_7317 Depth=3
	s_andn2_saveexec_b64 s[72:73], s[72:73]
; %bb.7965:                             ;   in Loop: Header=BB2_7317 Depth=3
	v_cmp_lt_i16_e32 vcc, -1, v50
	v_mov_b32_e32 v14, 0xc7600000
	v_mov_b32_e32 v15, 0x47600000
	v_cndmask_b32_e32 v14, v14, v15, vcc
	v_cmp_eq_u32_e32 vcc, 0, v9
	v_mov_b32_e32 v9, 0x7f800001
	v_cndmask_b32_e32 v15, v9, v14, vcc
; %bb.7966:                             ;   in Loop: Header=BB2_7317 Depth=3
	s_or_b64 exec, exec, s[72:73]
.LBB2_7967:                             ;   in Loop: Header=BB2_7317 Depth=3
	s_or_b64 exec, exec, s[30:31]
.LBB2_7968:                             ;   in Loop: Header=BB2_7317 Depth=3
	s_or_b64 exec, exec, s[70:71]
	v_cmp_ne_u16_e32 vcc, 0, v12
	s_and_saveexec_b64 s[30:31], vcc
	s_cbranch_execz .LBB2_7976
; %bb.7969:                             ;   in Loop: Header=BB2_7317 Depth=3
	v_cmp_ne_u16_e32 vcc, s97, v12
	v_bfrev_b32_e32 v13, 1
	s_and_saveexec_b64 s[70:71], vcc
	s_cbranch_execz .LBB2_7975
; %bb.7970:                             ;   in Loop: Header=BB2_7317 Depth=3
	v_and_b32_e32 v9, 0x7c, v12
	v_and_b32_e32 v14, 3, v12
	v_cmp_ne_u32_e32 vcc, s95, v9
                                        ; implicit-def: $vgpr13
	s_and_saveexec_b64 s[72:73], vcc
	s_xor_b64 s[72:73], exec, s[72:73]
	s_cbranch_execz .LBB2_7972
; %bb.7971:                             ;   in Loop: Header=BB2_7317 Depth=3
	v_ffbh_u32_e32 v24, v14
	v_min_u32_e32 v24, 32, v24
	v_mov_b32_e32 v13, v51
	v_subrev_u32_e32 v25, 29, v24
	v_bfe_u32 v9, v12, 2, 5
	v_lshlrev_b64 v[12:13], v25, v[12:13]
	v_sub_u32_e32 v13, 30, v24
	v_cmp_eq_u32_e32 vcc, 0, v9
	v_cndmask_b32_e32 v9, v9, v13, vcc
	v_bfrev_b32_e32 v13, 28
	v_and_b32_e32 v12, 3, v12
	v_lshlrev_b32_e32 v8, 16, v8
	v_lshl_add_u32 v9, v9, 23, v13
	v_cndmask_b32_e32 v12, v14, v12, vcc
	v_and_or_b32 v8, v8, s96, v9
	v_lshl_or_b32 v13, v12, 21, v8
                                        ; implicit-def: $vgpr14
                                        ; implicit-def: $vgpr8_vgpr9
.LBB2_7972:                             ;   in Loop: Header=BB2_7317 Depth=3
	s_andn2_saveexec_b64 s[72:73], s[72:73]
; %bb.7973:                             ;   in Loop: Header=BB2_7317 Depth=3
	v_cmp_lt_i16_e32 vcc, -1, v8
	v_mov_b32_e32 v8, 0xc7600000
	v_mov_b32_e32 v9, 0x47600000
	v_cndmask_b32_e32 v8, v8, v9, vcc
	v_cmp_eq_u32_e32 vcc, 0, v14
	v_mov_b32_e32 v9, 0x7f800001
	v_cndmask_b32_e32 v13, v9, v8, vcc
; %bb.7974:                             ;   in Loop: Header=BB2_7317 Depth=3
	s_or_b64 exec, exec, s[72:73]
.LBB2_7975:                             ;   in Loop: Header=BB2_7317 Depth=3
	s_or_b64 exec, exec, s[70:71]
.LBB2_7976:                             ;   in Loop: Header=BB2_7317 Depth=3
	s_or_b64 exec, exec, s[30:31]
	v_max_f32_e32 v8, v13, v13
	v_max_f32_e32 v9, v15, v15
	v_min_f32_e32 v9, v9, v8
.LBB2_7977:                             ;   in Loop: Header=BB2_7317 Depth=3
	v_and_b32_sdwa v12, v9, s97 dst_sel:DWORD dst_unused:UNUSED_PAD src0_sel:BYTE_3 src1_sel:DWORD
	v_and_b32_e32 v14, 0x7f800000, v9
	v_mov_b32_e32 v15, v51
	v_and_b32_e32 v50, 0x7fffff, v9
	v_or_b32_e32 v13, 0x7b, v12
	v_cmp_ne_u64_e32 vcc, s[52:53], v[14:15]
	s_and_saveexec_b64 s[30:31], vcc
	s_xor_b64 s[70:71], exec, s[30:31]
	s_cbranch_execz .LBB2_7987
; %bb.7978:                             ;   in Loop: Header=BB2_7317 Depth=3
	v_and_b32_e32 v14, 0x7fffffff, v9
	v_mov_b32_e32 v15, v51
	v_cmp_gt_u64_e32 vcc, s[54:55], v[14:15]
	s_and_saveexec_b64 s[72:73], vcc
	s_cbranch_execz .LBB2_7986
; %bb.7979:                             ;   in Loop: Header=BB2_7317 Depth=3
	v_cmp_ne_u32_e32 vcc, 0, v9
	v_mov_b32_e32 v13, 0
	s_and_saveexec_b64 s[74:75], vcc
	s_cbranch_execz .LBB2_7985
; %bb.7980:                             ;   in Loop: Header=BB2_7317 Depth=3
	v_bfe_u32 v8, v9, 23, 8
	v_sub_u32_e32 v13, 0x71, v8
	v_cmp_gt_u32_e32 vcc, s38, v8
	v_add_u32_e32 v9, 0xffffff81, v8
	v_cndmask_b32_e32 v13, 0, v13, vcc
	v_cmp_eq_u32_e32 vcc, 0, v8
	v_mov_b32_e32 v8, 0xffffff82
	v_cndmask_b32_e32 v15, v9, v8, vcc
	v_mov_b32_e32 v8, 0x70
	v_or_b32_e32 v14, 0x800000, v50
	v_cndmask_b32_e32 v13, v13, v8, vcc
	v_cndmask_b32_e32 v50, v14, v50, vcc
	v_add_u32_e32 v8, 21, v13
	v_lshlrev_b64 v[8:9], v8, -1
	v_add_u32_e32 v14, 20, v13
	v_lshrrev_b64 v[40:41], v13, v[50:51]
	v_not_b32_e32 v9, v9
	v_not_b32_e32 v8, v8
	v_lshlrev_b64 v[54:55], v14, 1
	v_lshrrev_b32_e32 v14, 23, v40
	v_and_b32_e32 v9, 0, v9
	v_and_b32_e32 v8, v50, v8
	v_add3_u32 v15, v13, v15, v14
	v_bfe_u32 v13, v40, 21, 1
	v_add_u32_e32 v13, -1, v13
	v_cmp_eq_u64_e32 vcc, v[8:9], v[54:55]
	v_cndmask_b32_e32 v8, 0, v13, vcc
	v_add_u32_e32 v8, v8, v40
	v_and_b32_e32 v8, 0x1fffff, v8
	v_add_co_u32_e32 v8, vcc, v8, v40
	v_add_u32_e32 v14, 14, v15
	v_addc_co_u32_e32 v9, vcc, 0, v41, vcc
	v_cmp_ne_u32_e32 vcc, 0, v14
                                        ; implicit-def: $vgpr13
	s_and_saveexec_b64 s[30:31], vcc
	s_xor_b64 s[30:31], exec, s[30:31]
; %bb.7981:                             ;   in Loop: Header=BB2_7317 Depth=3
	v_add_u32_e32 v13, 15, v15
	v_cmp_lt_u64_e32 vcc, s[56:57], v[8:9]
	v_cndmask_b32_e32 v13, v14, v13, vcc
	v_cndmask_b32_e64 v14, 0, 1, vcc
	v_lshrrev_b64 v[8:9], v14, v[8:9]
; %bb.7982:                             ;   in Loop: Header=BB2_7317 Depth=3
	s_andn2_saveexec_b64 vcc, s[30:31]
; %bb.7983:                             ;   in Loop: Header=BB2_7317 Depth=3
	v_bfe_u32 v13, v8, 23, 1
; %bb.7984:                             ;   in Loop: Header=BB2_7317 Depth=3
	s_or_b64 exec, exec, vcc
	v_lshrrev_b64 v[8:9], 21, v[8:9]
	v_cmp_gt_i32_e32 vcc, 32, v13
	v_cndmask_b32_e32 v9, 0, v9, vcc
	v_cndmask_b32_e32 v8, 3, v8, vcc
	v_cmp_eq_u64_e64 s[30:31], 0, v[8:9]
	v_min_i32_e32 v9, 31, v13
	v_cmp_eq_u32_e32 vcc, 0, v13
	v_lshlrev_b32_e32 v9, 2, v9
	v_and_or_b32 v8, v8, 3, v9
	s_and_b64 vcc, vcc, s[30:31]
	v_cndmask_b32_e64 v8, v8, 0, vcc
	v_or_b32_e32 v13, v8, v12
	v_accvgpr_read_b32 v40, a3
	v_accvgpr_read_b32 v41, a23
.LBB2_7985:                             ;   in Loop: Header=BB2_7317 Depth=3
	s_or_b64 exec, exec, s[74:75]
.LBB2_7986:                             ;   in Loop: Header=BB2_7317 Depth=3
	s_or_b64 exec, exec, s[72:73]
                                        ; implicit-def: $vgpr9
.LBB2_7987:                             ;   in Loop: Header=BB2_7317 Depth=3
	s_andn2_saveexec_b64 s[30:31], s[70:71]
; %bb.7988:                             ;   in Loop: Header=BB2_7317 Depth=3
	v_or_b32_sdwa v8, v9, s39 dst_sel:DWORD dst_unused:UNUSED_PAD src0_sel:BYTE_3 src1_sel:DWORD
	v_cmp_eq_u64_e32 vcc, 0, v[50:51]
	v_cndmask_b32_e32 v13, v8, v13, vcc
; %bb.7989:                             ;   in Loop: Header=BB2_7317 Depth=3
	s_or_b64 exec, exec, s[30:31]
	v_lshrrev_b32_e32 v12, 16, v23
	v_lshrrev_b32_e32 v8, 16, v11
	v_cmp_ne_u16_sdwa s[30:31], v12, v51 src0_sel:BYTE_0 src1_sel:DWORD
	s_and_b64 vcc, exec, s[68:69]
	s_cbranch_vccz .LBB2_8007
; %bb.7990:                             ;   in Loop: Header=BB2_7317 Depth=3
	v_mov_b32_e32 v14, 0
	v_mov_b32_e32 v9, 0
	s_and_saveexec_b64 s[70:71], s[30:31]
	s_cbranch_execz .LBB2_7998
; %bb.7991:                             ;   in Loop: Header=BB2_7317 Depth=3
	v_cmp_ne_u16_sdwa vcc, v12, s97 src0_sel:BYTE_0 src1_sel:DWORD
	v_bfrev_b32_e32 v9, 1
	s_and_saveexec_b64 s[72:73], vcc
	s_cbranch_execz .LBB2_7997
; %bb.7992:                             ;   in Loop: Header=BB2_7317 Depth=3
	v_and_b32_e32 v9, 0x7c0000, v23
	v_bfe_u32 v15, v23, 16, 2
	v_cmp_ne_u32_e32 vcc, s36, v9
                                        ; implicit-def: $vgpr9
	s_and_saveexec_b64 s[74:75], vcc
	s_xor_b64 s[74:75], exec, s[74:75]
	s_cbranch_execz .LBB2_7994
; %bb.7993:                             ;   in Loop: Header=BB2_7317 Depth=3
	v_ffbh_u32_e32 v24, v15
	v_min_u32_e32 v24, 32, v24
	v_subrev_u32_e32 v25, 29, v24
	v_bfe_u32 v9, v23, 18, 5
	v_lshlrev_b64 v[54:55], v25, v[12:13]
	v_sub_u32_e32 v24, 30, v24
	v_and_b32_e32 v25, 3, v54
	v_cmp_eq_u32_e32 vcc, 0, v9
	v_cndmask_b32_e32 v9, v9, v24, vcc
	v_cndmask_b32_e32 v15, v15, v25, vcc
	v_bfrev_b32_e32 v25, 28
	v_lshlrev_b32_e32 v24, 24, v12
	v_lshl_add_u32 v9, v9, 23, v25
	v_and_or_b32 v9, v24, s96, v9
	v_lshl_or_b32 v9, v15, 21, v9
                                        ; implicit-def: $vgpr15
.LBB2_7994:                             ;   in Loop: Header=BB2_7317 Depth=3
	s_andn2_saveexec_b64 s[74:75], s[74:75]
; %bb.7995:                             ;   in Loop: Header=BB2_7317 Depth=3
	v_mov_b32_e32 v9, -1
	v_cmp_gt_i16_sdwa vcc, sext(v12), v9 src0_sel:BYTE_0 src1_sel:DWORD
	v_mov_b32_e32 v9, 0xc7600000
	v_mov_b32_e32 v24, 0x47600000
	v_cndmask_b32_e32 v9, v9, v24, vcc
	v_cmp_eq_u32_e32 vcc, 0, v15
	v_mov_b32_e32 v15, 0x7f800001
	v_cndmask_b32_e32 v9, v15, v9, vcc
; %bb.7996:                             ;   in Loop: Header=BB2_7317 Depth=3
	s_or_b64 exec, exec, s[74:75]
.LBB2_7997:                             ;   in Loop: Header=BB2_7317 Depth=3
	s_or_b64 exec, exec, s[72:73]
.LBB2_7998:                             ;   in Loop: Header=BB2_7317 Depth=3
	s_or_b64 exec, exec, s[70:71]
	v_cmp_ne_u16_sdwa vcc, v8, v51 src0_sel:BYTE_0 src1_sel:DWORD
	s_and_saveexec_b64 s[70:71], vcc
	s_cbranch_execz .LBB2_8006
; %bb.7999:                             ;   in Loop: Header=BB2_7317 Depth=3
	v_cmp_ne_u16_sdwa vcc, v8, s97 src0_sel:BYTE_0 src1_sel:DWORD
	v_bfrev_b32_e32 v14, 1
	s_and_saveexec_b64 s[72:73], vcc
	s_cbranch_execz .LBB2_8005
; %bb.8000:                             ;   in Loop: Header=BB2_7317 Depth=3
	v_and_b32_e32 v14, 0x7c0000, v11
	v_bfe_u32 v15, v11, 16, 2
	v_cmp_ne_u32_e32 vcc, s36, v14
                                        ; implicit-def: $vgpr14
	s_and_saveexec_b64 s[74:75], vcc
	s_xor_b64 s[74:75], exec, s[74:75]
	s_cbranch_execz .LBB2_8002
; %bb.8001:                             ;   in Loop: Header=BB2_7317 Depth=3
	v_ffbh_u32_e32 v24, v15
	v_min_u32_e32 v24, 32, v24
	v_subrev_u32_e32 v25, 29, v24
	v_bfe_u32 v14, v11, 18, 5
	v_lshlrev_b64 v[54:55], v25, v[8:9]
	v_sub_u32_e32 v24, 30, v24
	v_and_b32_e32 v25, 3, v54
	v_cmp_eq_u32_e32 vcc, 0, v14
	v_cndmask_b32_e32 v14, v14, v24, vcc
	v_cndmask_b32_e32 v15, v15, v25, vcc
	v_bfrev_b32_e32 v25, 28
	v_lshlrev_b32_e32 v24, 24, v8
	v_lshl_add_u32 v14, v14, 23, v25
	v_and_or_b32 v14, v24, s96, v14
	v_lshl_or_b32 v14, v15, 21, v14
                                        ; implicit-def: $vgpr15
.LBB2_8002:                             ;   in Loop: Header=BB2_7317 Depth=3
	s_andn2_saveexec_b64 s[74:75], s[74:75]
; %bb.8003:                             ;   in Loop: Header=BB2_7317 Depth=3
	v_mov_b32_e32 v14, -1
	v_cmp_gt_i16_sdwa vcc, sext(v8), v14 src0_sel:BYTE_0 src1_sel:DWORD
	v_mov_b32_e32 v14, 0xc7600000
	v_mov_b32_e32 v24, 0x47600000
	v_cndmask_b32_e32 v14, v14, v24, vcc
	v_cmp_eq_u32_e32 vcc, 0, v15
	v_mov_b32_e32 v15, 0x7f800001
	v_cndmask_b32_e32 v14, v15, v14, vcc
; %bb.8004:                             ;   in Loop: Header=BB2_7317 Depth=3
	s_or_b64 exec, exec, s[74:75]
.LBB2_8005:                             ;   in Loop: Header=BB2_7317 Depth=3
	s_or_b64 exec, exec, s[72:73]
.LBB2_8006:                             ;   in Loop: Header=BB2_7317 Depth=3
	s_or_b64 exec, exec, s[70:71]
	v_max_f32_e32 v14, v14, v14
	v_max_f32_e32 v9, v9, v9
	v_max_f32_e32 v9, v9, v14
	s_branch .LBB2_8025
.LBB2_8007:                             ;   in Loop: Header=BB2_7317 Depth=3
                                        ; implicit-def: $vgpr9
	s_cbranch_execz .LBB2_8025
; %bb.8008:                             ;   in Loop: Header=BB2_7317 Depth=3
	v_mov_b32_e32 v14, 0
	v_mov_b32_e32 v9, 0
	s_and_saveexec_b64 s[70:71], s[30:31]
	s_cbranch_execz .LBB2_8016
; %bb.8009:                             ;   in Loop: Header=BB2_7317 Depth=3
	v_cmp_ne_u16_sdwa vcc, v12, s97 src0_sel:BYTE_0 src1_sel:DWORD
	v_bfrev_b32_e32 v9, 1
	s_and_saveexec_b64 s[30:31], vcc
	s_cbranch_execz .LBB2_8015
; %bb.8010:                             ;   in Loop: Header=BB2_7317 Depth=3
	v_and_b32_e32 v9, 0x7c0000, v23
	v_bfe_u32 v15, v23, 16, 2
	v_cmp_ne_u32_e32 vcc, s36, v9
                                        ; implicit-def: $vgpr9
	s_and_saveexec_b64 s[72:73], vcc
	s_xor_b64 s[72:73], exec, s[72:73]
	s_cbranch_execz .LBB2_8012
; %bb.8011:                             ;   in Loop: Header=BB2_7317 Depth=3
	v_ffbh_u32_e32 v24, v15
	v_bfe_u32 v9, v23, 18, 5
	v_min_u32_e32 v24, 32, v24
	v_subrev_u32_e32 v25, 29, v24
	v_sub_u32_e32 v24, 30, v24
	v_cmp_eq_u32_e32 vcc, 0, v9
	v_lshlrev_b64 v[54:55], v25, v[12:13]
	v_cndmask_b32_e32 v9, v9, v24, vcc
	v_bfrev_b32_e32 v24, 28
	v_and_b32_e32 v25, 3, v54
	v_lshlrev_b32_e32 v12, 24, v12
	v_lshl_add_u32 v9, v9, 23, v24
	v_cndmask_b32_e32 v15, v15, v25, vcc
	v_and_or_b32 v9, v12, s96, v9
	v_lshl_or_b32 v9, v15, 21, v9
                                        ; implicit-def: $vgpr15
                                        ; implicit-def: $vgpr12
.LBB2_8012:                             ;   in Loop: Header=BB2_7317 Depth=3
	s_andn2_saveexec_b64 s[72:73], s[72:73]
; %bb.8013:                             ;   in Loop: Header=BB2_7317 Depth=3
	v_mov_b32_e32 v9, -1
	v_cmp_gt_i16_sdwa vcc, sext(v12), v9 src0_sel:BYTE_0 src1_sel:DWORD
	v_mov_b32_e32 v9, 0xc7600000
	v_mov_b32_e32 v12, 0x47600000
	v_cndmask_b32_e32 v9, v9, v12, vcc
	v_cmp_eq_u32_e32 vcc, 0, v15
	v_mov_b32_e32 v12, 0x7f800001
	v_cndmask_b32_e32 v9, v12, v9, vcc
; %bb.8014:                             ;   in Loop: Header=BB2_7317 Depth=3
	s_or_b64 exec, exec, s[72:73]
.LBB2_8015:                             ;   in Loop: Header=BB2_7317 Depth=3
	s_or_b64 exec, exec, s[30:31]
.LBB2_8016:                             ;   in Loop: Header=BB2_7317 Depth=3
	s_or_b64 exec, exec, s[70:71]
	v_cmp_ne_u16_sdwa vcc, v8, v51 src0_sel:BYTE_0 src1_sel:DWORD
	s_and_saveexec_b64 s[30:31], vcc
	s_cbranch_execz .LBB2_8024
; %bb.8017:                             ;   in Loop: Header=BB2_7317 Depth=3
	v_cmp_ne_u16_sdwa vcc, v8, s97 src0_sel:BYTE_0 src1_sel:DWORD
	v_bfrev_b32_e32 v14, 1
	s_and_saveexec_b64 s[70:71], vcc
	s_cbranch_execz .LBB2_8023
; %bb.8018:                             ;   in Loop: Header=BB2_7317 Depth=3
	v_and_b32_e32 v14, 0x7c0000, v11
	v_bfe_u32 v12, v11, 16, 2
	v_cmp_ne_u32_e32 vcc, s36, v14
                                        ; implicit-def: $vgpr14
	s_and_saveexec_b64 s[72:73], vcc
	s_xor_b64 s[72:73], exec, s[72:73]
	s_cbranch_execz .LBB2_8020
; %bb.8019:                             ;   in Loop: Header=BB2_7317 Depth=3
	v_ffbh_u32_e32 v14, v12
	v_min_u32_e32 v25, 32, v14
	v_subrev_u32_e32 v14, 29, v25
	v_bfe_u32 v24, v11, 18, 5
	v_lshlrev_b64 v[14:15], v14, v[8:9]
	v_sub_u32_e32 v15, 30, v25
	v_and_b32_e32 v14, 3, v14
	v_cmp_eq_u32_e32 vcc, 0, v24
	v_cndmask_b32_e32 v15, v24, v15, vcc
	v_cndmask_b32_e32 v12, v12, v14, vcc
	v_bfrev_b32_e32 v14, 28
	v_lshlrev_b32_e32 v8, 24, v8
	v_lshl_add_u32 v14, v15, 23, v14
	v_and_or_b32 v8, v8, s96, v14
	v_lshl_or_b32 v14, v12, 21, v8
                                        ; implicit-def: $vgpr12
                                        ; implicit-def: $vgpr8
.LBB2_8020:                             ;   in Loop: Header=BB2_7317 Depth=3
	s_andn2_saveexec_b64 s[72:73], s[72:73]
; %bb.8021:                             ;   in Loop: Header=BB2_7317 Depth=3
	v_mov_b32_e32 v14, -1
	v_cmp_gt_i16_sdwa vcc, sext(v8), v14 src0_sel:BYTE_0 src1_sel:DWORD
	v_mov_b32_e32 v8, 0xc7600000
	v_mov_b32_e32 v14, 0x47600000
	v_cndmask_b32_e32 v8, v8, v14, vcc
	v_cmp_eq_u32_e32 vcc, 0, v12
	v_mov_b32_e32 v12, 0x7f800001
	v_cndmask_b32_e32 v14, v12, v8, vcc
; %bb.8022:                             ;   in Loop: Header=BB2_7317 Depth=3
	s_or_b64 exec, exec, s[72:73]
.LBB2_8023:                             ;   in Loop: Header=BB2_7317 Depth=3
	s_or_b64 exec, exec, s[70:71]
.LBB2_8024:                             ;   in Loop: Header=BB2_7317 Depth=3
	s_or_b64 exec, exec, s[30:31]
	v_max_f32_e32 v8, v14, v14
	v_max_f32_e32 v9, v9, v9
	v_min_f32_e32 v9, v9, v8
.LBB2_8025:                             ;   in Loop: Header=BB2_7317 Depth=3
	v_and_b32_sdwa v12, v9, s97 dst_sel:DWORD dst_unused:UNUSED_PAD src0_sel:BYTE_3 src1_sel:DWORD
	v_and_b32_e32 v54, 0x7f800000, v9
	v_mov_b32_e32 v55, v51
	v_and_b32_e32 v50, 0x7fffff, v9
	v_or_b32_e32 v14, 0x7b, v12
	v_cmp_ne_u64_e32 vcc, s[52:53], v[54:55]
	s_and_saveexec_b64 s[30:31], vcc
	s_xor_b64 s[70:71], exec, s[30:31]
	s_cbranch_execz .LBB2_8035
; %bb.8026:                             ;   in Loop: Header=BB2_7317 Depth=3
	v_and_b32_e32 v54, 0x7fffffff, v9
	v_mov_b32_e32 v55, v51
	v_cmp_gt_u64_e32 vcc, s[54:55], v[54:55]
	s_and_saveexec_b64 s[72:73], vcc
	s_cbranch_execz .LBB2_8034
; %bb.8027:                             ;   in Loop: Header=BB2_7317 Depth=3
	v_cmp_ne_u32_e32 vcc, 0, v9
	v_mov_b32_e32 v14, 0
	s_and_saveexec_b64 s[74:75], vcc
	s_cbranch_execz .LBB2_8033
; %bb.8028:                             ;   in Loop: Header=BB2_7317 Depth=3
	v_bfe_u32 v8, v9, 23, 8
	v_sub_u32_e32 v14, 0x71, v8
	v_cmp_gt_u32_e32 vcc, s38, v8
	v_add_u32_e32 v9, 0xffffff81, v8
	v_cndmask_b32_e32 v14, 0, v14, vcc
	v_cmp_eq_u32_e32 vcc, 0, v8
	v_mov_b32_e32 v8, 0xffffff82
	v_cndmask_b32_e32 v24, v9, v8, vcc
	v_mov_b32_e32 v8, 0x70
	v_or_b32_e32 v15, 0x800000, v50
	v_cndmask_b32_e32 v14, v14, v8, vcc
	v_cndmask_b32_e32 v50, v15, v50, vcc
	v_add_u32_e32 v8, 21, v14
	v_lshlrev_b64 v[8:9], v8, -1
	v_add_u32_e32 v15, 20, v14
	v_lshrrev_b64 v[40:41], v14, v[50:51]
	v_not_b32_e32 v9, v9
	v_not_b32_e32 v8, v8
	v_lshlrev_b64 v[54:55], v15, 1
	v_lshrrev_b32_e32 v15, 23, v40
	v_and_b32_e32 v9, 0, v9
	v_and_b32_e32 v8, v50, v8
	v_add3_u32 v24, v14, v24, v15
	v_bfe_u32 v14, v40, 21, 1
	v_add_u32_e32 v14, -1, v14
	v_cmp_eq_u64_e32 vcc, v[8:9], v[54:55]
	v_cndmask_b32_e32 v8, 0, v14, vcc
	v_add_u32_e32 v8, v8, v40
	v_and_b32_e32 v8, 0x1fffff, v8
	v_add_co_u32_e32 v8, vcc, v8, v40
	v_add_u32_e32 v15, 14, v24
	v_addc_co_u32_e32 v9, vcc, 0, v41, vcc
	v_cmp_ne_u32_e32 vcc, 0, v15
                                        ; implicit-def: $vgpr14
	s_and_saveexec_b64 s[30:31], vcc
	s_xor_b64 s[30:31], exec, s[30:31]
; %bb.8029:                             ;   in Loop: Header=BB2_7317 Depth=3
	v_add_u32_e32 v14, 15, v24
	v_cmp_lt_u64_e32 vcc, s[56:57], v[8:9]
	v_cndmask_b32_e32 v14, v15, v14, vcc
	v_cndmask_b32_e64 v15, 0, 1, vcc
	v_lshrrev_b64 v[8:9], v15, v[8:9]
; %bb.8030:                             ;   in Loop: Header=BB2_7317 Depth=3
	s_andn2_saveexec_b64 vcc, s[30:31]
; %bb.8031:                             ;   in Loop: Header=BB2_7317 Depth=3
	v_bfe_u32 v14, v8, 23, 1
; %bb.8032:                             ;   in Loop: Header=BB2_7317 Depth=3
	s_or_b64 exec, exec, vcc
	v_lshrrev_b64 v[8:9], 21, v[8:9]
	v_cmp_gt_i32_e32 vcc, 32, v14
	v_cndmask_b32_e32 v9, 0, v9, vcc
	v_cndmask_b32_e32 v8, 3, v8, vcc
	v_cmp_eq_u64_e64 s[30:31], 0, v[8:9]
	v_min_i32_e32 v9, 31, v14
	v_cmp_eq_u32_e32 vcc, 0, v14
	v_lshlrev_b32_e32 v9, 2, v9
	v_and_or_b32 v8, v8, 3, v9
	s_and_b64 vcc, vcc, s[30:31]
	v_cndmask_b32_e64 v8, v8, 0, vcc
	v_or_b32_e32 v14, v8, v12
	v_accvgpr_read_b32 v40, a3
	v_accvgpr_read_b32 v41, a23
.LBB2_8033:                             ;   in Loop: Header=BB2_7317 Depth=3
	s_or_b64 exec, exec, s[74:75]
.LBB2_8034:                             ;   in Loop: Header=BB2_7317 Depth=3
	s_or_b64 exec, exec, s[72:73]
                                        ; implicit-def: $vgpr9
.LBB2_8035:                             ;   in Loop: Header=BB2_7317 Depth=3
	s_andn2_saveexec_b64 s[30:31], s[70:71]
; %bb.8036:                             ;   in Loop: Header=BB2_7317 Depth=3
	v_or_b32_sdwa v8, v9, s39 dst_sel:DWORD dst_unused:UNUSED_PAD src0_sel:BYTE_3 src1_sel:DWORD
	v_cmp_eq_u64_e32 vcc, 0, v[50:51]
	v_cndmask_b32_e32 v14, v8, v14, vcc
; %bb.8037:                             ;   in Loop: Header=BB2_7317 Depth=3
	s_or_b64 exec, exec, s[30:31]
	v_lshrrev_b32_e32 v12, 24, v23
	v_lshrrev_b32_e32 v8, 24, v11
	v_cmp_lt_u64_e64 s[30:31], s[42:43], v[22:23]
	s_and_b64 vcc, exec, s[68:69]
	s_cbranch_vccz .LBB2_8055
; %bb.8038:                             ;   in Loop: Header=BB2_7317 Depth=3
	v_mov_b32_e32 v15, 0
	v_mov_b32_e32 v9, 0
	s_and_saveexec_b64 s[70:71], s[30:31]
	s_cbranch_execz .LBB2_8046
; %bb.8039:                             ;   in Loop: Header=BB2_7317 Depth=3
	v_cmp_ne_u32_e32 vcc, s97, v12
	v_bfrev_b32_e32 v9, 1
	s_and_saveexec_b64 s[72:73], vcc
	s_cbranch_execz .LBB2_8045
; %bb.8040:                             ;   in Loop: Header=BB2_7317 Depth=3
	v_and_b32_e32 v9, 0x7c000000, v23
	v_bfe_u32 v24, v23, 24, 2
	v_cmp_ne_u32_e32 vcc, s37, v9
                                        ; implicit-def: $vgpr9
	s_and_saveexec_b64 s[74:75], vcc
	s_xor_b64 s[74:75], exec, s[74:75]
	s_cbranch_execz .LBB2_8042
; %bb.8041:                             ;   in Loop: Header=BB2_7317 Depth=3
	v_ffbh_u32_e32 v25, v24
	v_bfe_u32 v9, v23, 26, 5
	v_min_u32_e32 v25, 32, v25
	v_subrev_u32_e32 v50, 29, v25
	v_sub_u32_e32 v25, 30, v25
	v_cmp_eq_u32_e32 vcc, 0, v9
	v_lshlrev_b64 v[54:55], v50, v[12:13]
	v_cndmask_b32_e32 v9, v9, v25, vcc
	v_bfrev_b32_e32 v25, 28
	v_and_b32_e32 v50, 3, v54
	v_lshl_add_u32 v9, v9, 23, v25
	v_cndmask_b32_e32 v24, v24, v50, vcc
	v_and_or_b32 v9, v23, s96, v9
	v_lshl_or_b32 v9, v24, 21, v9
                                        ; implicit-def: $vgpr24
.LBB2_8042:                             ;   in Loop: Header=BB2_7317 Depth=3
	s_andn2_saveexec_b64 s[74:75], s[74:75]
; %bb.8043:                             ;   in Loop: Header=BB2_7317 Depth=3
	v_cmp_lt_i64_e32 vcc, -1, v[22:23]
	v_mov_b32_e32 v9, 0xc7600000
	v_mov_b32_e32 v25, 0x47600000
	v_cndmask_b32_e32 v9, v9, v25, vcc
	v_cmp_eq_u32_e32 vcc, 0, v24
	v_mov_b32_e32 v24, 0x7f800001
	v_cndmask_b32_e32 v9, v24, v9, vcc
; %bb.8044:                             ;   in Loop: Header=BB2_7317 Depth=3
	s_or_b64 exec, exec, s[74:75]
.LBB2_8045:                             ;   in Loop: Header=BB2_7317 Depth=3
	s_or_b64 exec, exec, s[72:73]
.LBB2_8046:                             ;   in Loop: Header=BB2_7317 Depth=3
	s_or_b64 exec, exec, s[70:71]
	v_cmp_lt_u64_e32 vcc, s[42:43], v[10:11]
	s_and_saveexec_b64 s[70:71], vcc
	s_cbranch_execz .LBB2_8054
; %bb.8047:                             ;   in Loop: Header=BB2_7317 Depth=3
	v_cmp_ne_u32_e32 vcc, s97, v8
	v_bfrev_b32_e32 v15, 1
	s_and_saveexec_b64 s[72:73], vcc
	s_cbranch_execz .LBB2_8053
; %bb.8048:                             ;   in Loop: Header=BB2_7317 Depth=3
	v_and_b32_e32 v15, 0x7c000000, v11
	v_bfe_u32 v24, v11, 24, 2
	v_cmp_ne_u32_e32 vcc, s37, v15
                                        ; implicit-def: $vgpr15
	s_and_saveexec_b64 s[74:75], vcc
	s_xor_b64 s[74:75], exec, s[74:75]
	s_cbranch_execz .LBB2_8050
; %bb.8049:                             ;   in Loop: Header=BB2_7317 Depth=3
	v_ffbh_u32_e32 v25, v24
	v_bfe_u32 v15, v11, 26, 5
	v_min_u32_e32 v25, 32, v25
	v_subrev_u32_e32 v50, 29, v25
	v_sub_u32_e32 v25, 30, v25
	v_cmp_eq_u32_e32 vcc, 0, v15
	v_lshlrev_b64 v[54:55], v50, v[8:9]
	v_cndmask_b32_e32 v15, v15, v25, vcc
	v_bfrev_b32_e32 v25, 28
	v_and_b32_e32 v50, 3, v54
	v_lshl_add_u32 v15, v15, 23, v25
	v_cndmask_b32_e32 v24, v24, v50, vcc
	v_and_or_b32 v15, v11, s96, v15
	v_lshl_or_b32 v15, v24, 21, v15
                                        ; implicit-def: $vgpr24
.LBB2_8050:                             ;   in Loop: Header=BB2_7317 Depth=3
	s_andn2_saveexec_b64 s[74:75], s[74:75]
; %bb.8051:                             ;   in Loop: Header=BB2_7317 Depth=3
	v_cmp_lt_i64_e32 vcc, -1, v[10:11]
	v_mov_b32_e32 v15, 0xc7600000
	v_mov_b32_e32 v25, 0x47600000
	v_cndmask_b32_e32 v15, v15, v25, vcc
	v_cmp_eq_u32_e32 vcc, 0, v24
	v_mov_b32_e32 v24, 0x7f800001
	v_cndmask_b32_e32 v15, v24, v15, vcc
; %bb.8052:                             ;   in Loop: Header=BB2_7317 Depth=3
	s_or_b64 exec, exec, s[74:75]
.LBB2_8053:                             ;   in Loop: Header=BB2_7317 Depth=3
	s_or_b64 exec, exec, s[72:73]
.LBB2_8054:                             ;   in Loop: Header=BB2_7317 Depth=3
	s_or_b64 exec, exec, s[70:71]
	v_max_f32_e32 v15, v15, v15
	v_max_f32_e32 v9, v9, v9
	v_max_f32_e32 v9, v9, v15
	s_branch .LBB2_8073
.LBB2_8055:                             ;   in Loop: Header=BB2_7317 Depth=3
                                        ; implicit-def: $vgpr9
	s_cbranch_execz .LBB2_8073
; %bb.8056:                             ;   in Loop: Header=BB2_7317 Depth=3
	v_mov_b32_e32 v15, 0
	v_mov_b32_e32 v9, 0
	s_and_saveexec_b64 s[70:71], s[30:31]
	s_cbranch_execz .LBB2_8064
; %bb.8057:                             ;   in Loop: Header=BB2_7317 Depth=3
	v_cmp_ne_u32_e32 vcc, s97, v12
	v_bfrev_b32_e32 v9, 1
	s_and_saveexec_b64 s[30:31], vcc
	s_cbranch_execz .LBB2_8063
; %bb.8058:                             ;   in Loop: Header=BB2_7317 Depth=3
	v_and_b32_e32 v9, 0x7c000000, v23
	v_bfe_u32 v24, v23, 24, 2
	v_cmp_ne_u32_e32 vcc, s37, v9
                                        ; implicit-def: $vgpr9
	s_and_saveexec_b64 s[72:73], vcc
	s_xor_b64 s[72:73], exec, s[72:73]
	s_cbranch_execz .LBB2_8060
; %bb.8059:                             ;   in Loop: Header=BB2_7317 Depth=3
	v_ffbh_u32_e32 v22, v24
	v_min_u32_e32 v22, 32, v22
	v_subrev_u32_e32 v25, 29, v22
	v_bfe_u32 v9, v23, 26, 5
	v_lshlrev_b64 v[54:55], v25, v[12:13]
	v_sub_u32_e32 v12, 30, v22
	v_and_b32_e32 v22, 3, v54
	v_cmp_eq_u32_e32 vcc, 0, v9
	v_cndmask_b32_e32 v9, v9, v12, vcc
	v_cndmask_b32_e32 v12, v24, v22, vcc
	v_bfrev_b32_e32 v22, 28
	v_lshl_add_u32 v9, v9, 23, v22
	v_and_or_b32 v9, v23, s96, v9
	v_lshl_or_b32 v9, v12, 21, v9
                                        ; implicit-def: $vgpr24
                                        ; implicit-def: $vgpr22_vgpr23
.LBB2_8060:                             ;   in Loop: Header=BB2_7317 Depth=3
	s_andn2_saveexec_b64 s[72:73], s[72:73]
; %bb.8061:                             ;   in Loop: Header=BB2_7317 Depth=3
	v_cmp_lt_i64_e32 vcc, -1, v[22:23]
	v_mov_b32_e32 v9, 0xc7600000
	v_mov_b32_e32 v12, 0x47600000
	v_cndmask_b32_e32 v9, v9, v12, vcc
	v_cmp_eq_u32_e32 vcc, 0, v24
	v_mov_b32_e32 v12, 0x7f800001
	v_cndmask_b32_e32 v9, v12, v9, vcc
; %bb.8062:                             ;   in Loop: Header=BB2_7317 Depth=3
	s_or_b64 exec, exec, s[72:73]
.LBB2_8063:                             ;   in Loop: Header=BB2_7317 Depth=3
	s_or_b64 exec, exec, s[30:31]
.LBB2_8064:                             ;   in Loop: Header=BB2_7317 Depth=3
	s_or_b64 exec, exec, s[70:71]
	v_cmp_lt_u64_e32 vcc, s[42:43], v[10:11]
	s_and_saveexec_b64 s[30:31], vcc
	s_cbranch_execz .LBB2_8072
; %bb.8065:                             ;   in Loop: Header=BB2_7317 Depth=3
	v_cmp_ne_u32_e32 vcc, s97, v8
	v_bfrev_b32_e32 v15, 1
	s_and_saveexec_b64 s[70:71], vcc
	s_cbranch_execz .LBB2_8071
; %bb.8066:                             ;   in Loop: Header=BB2_7317 Depth=3
	v_and_b32_e32 v15, 0x7c000000, v11
	v_bfe_u32 v12, v11, 24, 2
	v_cmp_ne_u32_e32 vcc, s37, v15
                                        ; implicit-def: $vgpr15
	s_and_saveexec_b64 s[72:73], vcc
	s_xor_b64 s[72:73], exec, s[72:73]
	s_cbranch_execz .LBB2_8068
; %bb.8067:                             ;   in Loop: Header=BB2_7317 Depth=3
	v_ffbh_u32_e32 v15, v12
	v_min_u32_e32 v15, 32, v15
	v_subrev_u32_e32 v22, 29, v15
	v_bfe_u32 v10, v11, 26, 5
	v_lshlrev_b64 v[22:23], v22, v[8:9]
	v_sub_u32_e32 v8, 30, v15
	v_and_b32_e32 v15, 3, v22
	v_cmp_eq_u32_e32 vcc, 0, v10
	v_cndmask_b32_e32 v8, v10, v8, vcc
	v_cndmask_b32_e32 v10, v12, v15, vcc
	v_bfrev_b32_e32 v12, 28
	v_lshl_add_u32 v8, v8, 23, v12
	v_and_or_b32 v8, v11, s96, v8
	v_lshl_or_b32 v15, v10, 21, v8
                                        ; implicit-def: $vgpr12
                                        ; implicit-def: $vgpr10_vgpr11
.LBB2_8068:                             ;   in Loop: Header=BB2_7317 Depth=3
	s_andn2_saveexec_b64 s[72:73], s[72:73]
; %bb.8069:                             ;   in Loop: Header=BB2_7317 Depth=3
	v_cmp_lt_i64_e32 vcc, -1, v[10:11]
	v_mov_b32_e32 v8, 0xc7600000
	v_mov_b32_e32 v10, 0x47600000
	v_cndmask_b32_e32 v8, v8, v10, vcc
	v_cmp_eq_u32_e32 vcc, 0, v12
	v_mov_b32_e32 v10, 0x7f800001
	v_cndmask_b32_e32 v15, v10, v8, vcc
; %bb.8070:                             ;   in Loop: Header=BB2_7317 Depth=3
	s_or_b64 exec, exec, s[72:73]
.LBB2_8071:                             ;   in Loop: Header=BB2_7317 Depth=3
	s_or_b64 exec, exec, s[70:71]
.LBB2_8072:                             ;   in Loop: Header=BB2_7317 Depth=3
	s_or_b64 exec, exec, s[30:31]
	v_max_f32_e32 v8, v15, v15
	v_max_f32_e32 v9, v9, v9
	v_min_f32_e32 v9, v9, v8
.LBB2_8073:                             ;   in Loop: Header=BB2_7317 Depth=3
	v_and_b32_sdwa v10, v9, s97 dst_sel:DWORD dst_unused:UNUSED_PAD src0_sel:BYTE_3 src1_sel:DWORD
	v_and_b32_e32 v22, 0x7f800000, v9
	v_mov_b32_e32 v23, v51
	v_and_b32_e32 v50, 0x7fffff, v9
	v_or_b32_e32 v8, 0x7b, v10
	v_cmp_ne_u64_e32 vcc, s[52:53], v[22:23]
	s_and_saveexec_b64 s[30:31], vcc
	s_xor_b64 s[70:71], exec, s[30:31]
	s_cbranch_execz .LBB2_8083
; %bb.8074:                             ;   in Loop: Header=BB2_7317 Depth=3
	v_and_b32_e32 v22, 0x7fffffff, v9
	v_mov_b32_e32 v23, v51
	v_cmp_gt_u64_e32 vcc, s[54:55], v[22:23]
	s_and_saveexec_b64 s[72:73], vcc
	s_cbranch_execz .LBB2_8082
; %bb.8075:                             ;   in Loop: Header=BB2_7317 Depth=3
	v_cmp_ne_u32_e32 vcc, 0, v9
	v_mov_b32_e32 v8, 0
	s_and_saveexec_b64 s[74:75], vcc
	s_cbranch_execz .LBB2_8081
; %bb.8076:                             ;   in Loop: Header=BB2_7317 Depth=3
	v_bfe_u32 v8, v9, 23, 8
	v_sub_u32_e32 v11, 0x71, v8
	v_cmp_gt_u32_e32 vcc, s38, v8
	v_add_u32_e32 v9, 0xffffff81, v8
	v_cndmask_b32_e32 v11, 0, v11, vcc
	v_cmp_eq_u32_e32 vcc, 0, v8
	v_mov_b32_e32 v8, 0xffffff82
	v_cndmask_b32_e32 v15, v9, v8, vcc
	v_mov_b32_e32 v8, 0x70
	v_or_b32_e32 v12, 0x800000, v50
	v_cndmask_b32_e32 v11, v11, v8, vcc
	v_cndmask_b32_e32 v50, v12, v50, vcc
	v_add_u32_e32 v8, 21, v11
	v_lshlrev_b64 v[8:9], v8, -1
	v_add_u32_e32 v12, 20, v11
	v_lshrrev_b64 v[54:55], v11, v[50:51]
	v_not_b32_e32 v9, v9
	v_not_b32_e32 v8, v8
	v_lshlrev_b64 v[22:23], v12, 1
	v_lshrrev_b32_e32 v12, 23, v54
	v_and_b32_e32 v9, 0, v9
	v_and_b32_e32 v8, v50, v8
	v_add3_u32 v15, v11, v15, v12
	v_bfe_u32 v11, v54, 21, 1
	v_add_u32_e32 v11, -1, v11
	v_cmp_eq_u64_e32 vcc, v[8:9], v[22:23]
	v_cndmask_b32_e32 v8, 0, v11, vcc
	v_add_u32_e32 v8, v8, v54
	v_and_b32_e32 v8, 0x1fffff, v8
	v_add_co_u32_e32 v8, vcc, v8, v54
	v_add_u32_e32 v12, 14, v15
	v_addc_co_u32_e32 v9, vcc, 0, v55, vcc
	v_cmp_ne_u32_e32 vcc, 0, v12
                                        ; implicit-def: $vgpr11
	s_and_saveexec_b64 s[30:31], vcc
	s_xor_b64 s[30:31], exec, s[30:31]
; %bb.8077:                             ;   in Loop: Header=BB2_7317 Depth=3
	v_add_u32_e32 v11, 15, v15
	v_cmp_lt_u64_e32 vcc, s[56:57], v[8:9]
	v_cndmask_b32_e32 v11, v12, v11, vcc
	v_cndmask_b32_e64 v12, 0, 1, vcc
	v_lshrrev_b64 v[8:9], v12, v[8:9]
; %bb.8078:                             ;   in Loop: Header=BB2_7317 Depth=3
	s_andn2_saveexec_b64 vcc, s[30:31]
; %bb.8079:                             ;   in Loop: Header=BB2_7317 Depth=3
	v_bfe_u32 v11, v8, 23, 1
; %bb.8080:                             ;   in Loop: Header=BB2_7317 Depth=3
	s_or_b64 exec, exec, vcc
	v_lshrrev_b64 v[8:9], 21, v[8:9]
	v_cmp_gt_i32_e32 vcc, 32, v11
	v_cndmask_b32_e32 v9, 0, v9, vcc
	v_cndmask_b32_e32 v8, 3, v8, vcc
	v_cmp_eq_u64_e64 s[30:31], 0, v[8:9]
	v_min_i32_e32 v9, 31, v11
	v_lshlrev_b32_e32 v9, 2, v9
	v_cmp_eq_u32_e32 vcc, 0, v11
	v_and_b32_e32 v9, 0xfc, v9
	v_and_or_b32 v8, v8, 3, v9
	s_and_b64 vcc, vcc, s[30:31]
	v_cndmask_b32_e64 v8, v8, 0, vcc
	v_or_b32_e32 v8, v8, v10
.LBB2_8081:                             ;   in Loop: Header=BB2_7317 Depth=3
	s_or_b64 exec, exec, s[74:75]
.LBB2_8082:                             ;   in Loop: Header=BB2_7317 Depth=3
	s_or_b64 exec, exec, s[72:73]
                                        ; implicit-def: $vgpr9
.LBB2_8083:                             ;   in Loop: Header=BB2_7317 Depth=3
	s_andn2_saveexec_b64 s[30:31], s[70:71]
	s_cbranch_execz .LBB2_7316
; %bb.8084:                             ;   in Loop: Header=BB2_7317 Depth=3
	v_or_b32_sdwa v9, v9, s39 dst_sel:DWORD dst_unused:UNUSED_PAD src0_sel:BYTE_3 src1_sel:DWORD
	v_cmp_eq_u64_e32 vcc, 0, v[50:51]
	v_cndmask_b32_e32 v8, v9, v8, vcc
	s_branch .LBB2_7316
.LBB2_8085:                             ;   in Loop: Header=BB2_3056 Depth=2
	s_or_b64 exec, exec, s[66:67]
.LBB2_8086:                             ;   in Loop: Header=BB2_3056 Depth=2
	s_or_b64 exec, exec, s[64:65]
	buffer_load_dword v0, off, s[0:3], s33 offset:172 ; 4-byte Folded Reload
	s_mov_b64 s[30:31], 0
	v_mov_b32_e32 v7, 0
                                        ; implicit-def: $vgpr30
	s_waitcnt vmcnt(0)
	v_and_b32_e32 v4, 15, v0
	v_cndmask_b32_e64 v29, v28, v4, s[28:29]
	v_cmp_ne_u32_e32 vcc, 0, v29
                                        ; implicit-def: $vgpr0
	s_and_saveexec_b64 s[64:65], vcc
	s_cbranch_execz .LBB2_8088
; %bb.8087:                             ;   in Loop: Header=BB2_3056 Depth=2
	v_sub_u32_e32 v0, v28, v4
	v_cndmask_b32_e64 v0, 0, v0, s[28:29]
	v_cmp_lt_i32_e32 vcc, 0, v6
	v_add3_u32 v7, v3, v1, v0
	v_cndmask_b32_e32 v0, 0, v44, vcc
	v_sub_u32_e32 v0, v0, v6
	v_lshl_add_u32 v30, v0, 6, v2
	v_ashrrev_i32_e32 v0, 31, v30
	v_lshrrev_b32_e32 v0, 26, v0
	v_add_u32_e32 v0, v30, v0
	s_mov_b64 s[30:31], exec
	v_ashrrev_i32_e32 v0, 6, v0
.LBB2_8088:                             ;   in Loop: Header=BB2_3056 Depth=2
	s_or_b64 exec, exec, s[64:65]
	s_and_b64 s[28:29], s[30:31], exec
.LBB2_8089:                             ;   in Loop: Header=BB2_3056 Depth=2
	s_or_b64 exec, exec, s[34:35]
	s_and_saveexec_b64 s[64:65], s[28:29]
	s_cbranch_execz .LBB2_5772
.LBB2_8090:                             ;   in Loop: Header=BB2_3056 Depth=2
	v_ashrrev_i32_e32 v1, 31, v29
	v_add_u32_sdwa v1, v29, v1 dst_sel:DWORD dst_unused:UNUSED_PAD src0_sel:DWORD src1_sel:BYTE_3
	v_ashrrev_i32_e32 v3, 8, v1
	v_sub_u32_e32 v1, v3, v0
	v_ashrrev_i32_e32 v2, 31, v30
	v_cmp_lt_i32_e32 vcc, 0, v1
	v_lshrrev_b32_e32 v2, 26, v2
	s_and_saveexec_b64 s[34:35], vcc
	s_cbranch_execz .LBB2_8302
; %bb.8091:                             ;   in Loop: Header=BB2_3056 Depth=2
	v_lshlrev_b32_e32 v0, 8, v0
	s_trap 2
	v_add_u32_e32 v4, v30, v2
	ds_read_b128 v[8:11], v0
	v_and_b32_e32 v4, 0xffffffc0, v4
	v_sub_u32_e32 v4, v30, v4
	v_add3_u32 v0, v7, v4, v0
	ds_read_b64 v[12:13], v0
	v_ashrrev_i32_e32 v6, 31, v0
	s_waitcnt lgkmcnt(0)
	v_add_co_u32_e32 v4, vcc, v8, v0
	v_addc_co_u32_e32 v5, vcc, v9, v6, vcc
	v_add_co_u32_e32 v8, vcc, v10, v0
	v_addc_co_u32_e32 v9, vcc, v11, v6, vcc
	v_add_co_u32_e32 v10, vcc, v12, v0
	s_bitcmp1_b32 s82, 0
	v_addc_co_u32_e32 v11, vcc, v13, v6, vcc
	s_mov_b64 s[66:67], 0
	s_cselect_b64 s[68:69], -1, 0
	s_branch .LBB2_8093
.LBB2_8092:                             ;   in Loop: Header=BB2_8093 Depth=3
	s_or_b64 exec, exec, s[28:29]
	flat_store_byte v[10:11], v0 glc slc
	flat_store_byte v[10:11], v6 offset:64 glc slc
	flat_store_byte v[10:11], v15 offset:128 glc slc
	;; [unrolled: 1-line block ×3, first 2 shown]
	v_accvgpr_read_b32 v0, a46
	v_add_co_u32_e32 v4, vcc, v4, v0
	v_accvgpr_read_b32 v6, a47
	v_addc_co_u32_e32 v5, vcc, v5, v6, vcc
	v_add_co_u32_e32 v8, vcc, v8, v0
	v_addc_co_u32_e32 v9, vcc, v9, v6, vcc
	v_sub_u32_e32 v1, v1, v44
	v_cmp_gt_i32_e32 vcc, 1, v1
	s_or_b64 s[66:67], vcc, s[66:67]
	v_add_co_u32_e32 v10, vcc, v10, v0
	v_addc_co_u32_e32 v11, vcc, v11, v6, vcc
	s_andn2_b64 exec, exec, s[66:67]
	s_cbranch_execz .LBB2_8301
.LBB2_8093:                             ;   Parent Loop BB2_47 Depth=1
                                        ;     Parent Loop BB2_3056 Depth=2
                                        ; =>    This Inner Loop Header: Depth=3
	flat_load_ubyte v6, v[4:5] glc slc
	flat_load_sbyte v14, v[4:5] offset:64 glc slc
	flat_load_sbyte v18, v[4:5] offset:128 glc slc
	flat_load_sbyte v22, v[4:5] offset:192 glc slc
	flat_load_sbyte v26, v[8:9] glc slc
	flat_load_sbyte v20, v[8:9] offset:64 glc slc
	flat_load_sbyte v16, v[8:9] offset:128 glc slc
	;; [unrolled: 1-line block ×3, first 2 shown]
	s_and_b64 vcc, exec, s[68:69]
	s_waitcnt vmcnt(0) lgkmcnt(0)
	v_bfe_i32 v50, v6, 0, 8
	v_and_b32_e32 v0, 0xffff, v6
	v_cmp_ne_u16_e64 s[28:29], 0, v6
	s_cbranch_vccz .LBB2_8111
; %bb.8094:                             ;   in Loop: Header=BB2_8093 Depth=3
	v_mov_b32_e32 v13, 0
	v_mov_b32_e32 v6, 0
	s_and_saveexec_b64 s[30:31], s[28:29]
	s_cbranch_execz .LBB2_8102
; %bb.8095:                             ;   in Loop: Header=BB2_8093 Depth=3
	v_cmp_ne_u16_e32 vcc, s94, v50
	v_bfrev_b32_e32 v6, 1
	s_and_saveexec_b64 s[70:71], vcc
	s_cbranch_execz .LBB2_8101
; %bb.8096:                             ;   in Loop: Header=BB2_8093 Depth=3
	v_and_b32_e32 v6, 0x7c, v0
	v_and_b32_e32 v15, 3, v0
	v_cmp_ne_u32_e32 vcc, s95, v6
                                        ; implicit-def: $vgpr6
	s_and_saveexec_b64 s[72:73], vcc
	s_xor_b64 s[72:73], exec, s[72:73]
	s_cbranch_execz .LBB2_8098
; %bb.8097:                             ;   in Loop: Header=BB2_8093 Depth=3
	v_ffbh_u32_e32 v19, v15
	v_bfe_u32 v6, v0, 2, 5
	v_min_u32_e32 v19, 32, v19
	v_subrev_u32_e32 v21, 29, v19
	v_sub_u32_e32 v19, 30, v19
	v_cmp_eq_u32_e32 vcc, 0, v6
	v_lshlrev_b64 v[36:37], v21, v[50:51]
	v_cndmask_b32_e32 v6, v6, v19, vcc
	v_bfrev_b32_e32 v19, 28
	v_bfe_i32 v17, v50, 0, 16
	v_and_b32_e32 v21, 3, v36
	v_lshl_add_u32 v6, v6, 23, v19
	v_cndmask_b32_e32 v15, v15, v21, vcc
	v_and_or_b32 v6, v17, s96, v6
	v_lshl_or_b32 v6, v15, 21, v6
                                        ; implicit-def: $vgpr15
.LBB2_8098:                             ;   in Loop: Header=BB2_8093 Depth=3
	s_andn2_saveexec_b64 s[72:73], s[72:73]
; %bb.8099:                             ;   in Loop: Header=BB2_8093 Depth=3
	v_cmp_lt_i16_e32 vcc, -1, v50
	v_mov_b32_e32 v6, 0xc7600000
	v_mov_b32_e32 v17, 0x47600000
	v_cndmask_b32_e32 v6, v6, v17, vcc
	v_cmp_eq_u32_e32 vcc, 0, v15
	v_mov_b32_e32 v15, 0x7f800001
	v_cndmask_b32_e32 v6, v15, v6, vcc
; %bb.8100:                             ;   in Loop: Header=BB2_8093 Depth=3
	s_or_b64 exec, exec, s[72:73]
.LBB2_8101:                             ;   in Loop: Header=BB2_8093 Depth=3
	s_or_b64 exec, exec, s[70:71]
.LBB2_8102:                             ;   in Loop: Header=BB2_8093 Depth=3
	s_or_b64 exec, exec, s[30:31]
	v_cmp_ne_u16_e32 vcc, 0, v26
	s_and_saveexec_b64 s[30:31], vcc
	s_cbranch_execz .LBB2_8110
; %bb.8103:                             ;   in Loop: Header=BB2_8093 Depth=3
	v_cmp_ne_u16_e32 vcc, s94, v26
	v_bfrev_b32_e32 v13, 1
	s_and_saveexec_b64 s[70:71], vcc
	s_cbranch_execz .LBB2_8109
; %bb.8104:                             ;   in Loop: Header=BB2_8093 Depth=3
	v_and_b32_e32 v13, 0x7c, v26
	v_and_b32_e32 v15, 3, v26
	v_cmp_ne_u32_e32 vcc, s95, v13
                                        ; implicit-def: $vgpr13
	s_and_saveexec_b64 s[72:73], vcc
	s_xor_b64 s[72:73], exec, s[72:73]
	s_cbranch_execz .LBB2_8106
; %bb.8105:                             ;   in Loop: Header=BB2_8093 Depth=3
	v_and_b32_e32 v13, 0xff, v26
	v_ffbh_u32_e32 v19, v15
	v_bfe_u32 v13, v13, 2, 5
	v_min_u32_e32 v19, 32, v19
	v_mov_b32_e32 v27, v51
	v_subrev_u32_e32 v21, 29, v19
	v_sub_u32_e32 v19, 30, v19
	v_cmp_eq_u32_e32 vcc, 0, v13
	v_lshlrev_b64 v[36:37], v21, v[26:27]
	v_cndmask_b32_e32 v13, v13, v19, vcc
	v_bfrev_b32_e32 v19, 28
	v_bfe_i32 v17, v26, 0, 16
	v_and_b32_e32 v21, 3, v36
	v_lshl_add_u32 v13, v13, 23, v19
	v_cndmask_b32_e32 v15, v15, v21, vcc
	v_and_or_b32 v13, v17, s96, v13
	v_lshl_or_b32 v13, v15, 21, v13
                                        ; implicit-def: $vgpr15
.LBB2_8106:                             ;   in Loop: Header=BB2_8093 Depth=3
	s_andn2_saveexec_b64 s[72:73], s[72:73]
; %bb.8107:                             ;   in Loop: Header=BB2_8093 Depth=3
	v_cmp_lt_i16_e32 vcc, -1, v26
	v_mov_b32_e32 v13, 0xc7600000
	v_mov_b32_e32 v17, 0x47600000
	v_cndmask_b32_e32 v13, v13, v17, vcc
	v_cmp_eq_u32_e32 vcc, 0, v15
	v_mov_b32_e32 v15, 0x7f800001
	v_cndmask_b32_e32 v13, v15, v13, vcc
; %bb.8108:                             ;   in Loop: Header=BB2_8093 Depth=3
	s_or_b64 exec, exec, s[72:73]
.LBB2_8109:                             ;   in Loop: Header=BB2_8093 Depth=3
	s_or_b64 exec, exec, s[70:71]
.LBB2_8110:                             ;   in Loop: Header=BB2_8093 Depth=3
	s_or_b64 exec, exec, s[30:31]
	v_max_f32_e32 v13, v13, v13
	v_max_f32_e32 v6, v6, v6
	;; [unrolled: 1-line block ×3, first 2 shown]
	s_branch .LBB2_8129
.LBB2_8111:                             ;   in Loop: Header=BB2_8093 Depth=3
                                        ; implicit-def: $vgpr13
	s_cbranch_execz .LBB2_8129
; %bb.8112:                             ;   in Loop: Header=BB2_8093 Depth=3
	v_mov_b32_e32 v13, 0
	v_mov_b32_e32 v6, 0
	s_and_saveexec_b64 s[30:31], s[28:29]
	s_cbranch_execz .LBB2_8120
; %bb.8113:                             ;   in Loop: Header=BB2_8093 Depth=3
	v_cmp_ne_u16_e32 vcc, s94, v50
	v_bfrev_b32_e32 v6, 1
	s_and_saveexec_b64 s[28:29], vcc
	s_cbranch_execz .LBB2_8119
; %bb.8114:                             ;   in Loop: Header=BB2_8093 Depth=3
	v_and_b32_e32 v6, 0x7c, v0
	v_and_b32_e32 v15, 3, v0
	v_cmp_ne_u32_e32 vcc, s95, v6
                                        ; implicit-def: $vgpr6
	s_and_saveexec_b64 s[70:71], vcc
	s_xor_b64 s[70:71], exec, s[70:71]
	s_cbranch_execz .LBB2_8116
; %bb.8115:                             ;   in Loop: Header=BB2_8093 Depth=3
	v_ffbh_u32_e32 v17, v15
	v_bfe_u32 v0, v0, 2, 5
	v_min_u32_e32 v17, 32, v17
	v_subrev_u32_e32 v19, 29, v17
	v_sub_u32_e32 v17, 30, v17
	v_cmp_eq_u32_e32 vcc, 0, v0
	v_lshlrev_b64 v[36:37], v19, v[50:51]
	v_cndmask_b32_e32 v0, v0, v17, vcc
	v_bfrev_b32_e32 v17, 28
	v_bfe_i32 v6, v50, 0, 16
	v_and_b32_e32 v19, 3, v36
	v_lshl_add_u32 v0, v0, 23, v17
	v_cndmask_b32_e32 v15, v15, v19, vcc
	v_and_or_b32 v0, v6, s96, v0
	v_lshl_or_b32 v6, v15, 21, v0
                                        ; implicit-def: $vgpr15
.LBB2_8116:                             ;   in Loop: Header=BB2_8093 Depth=3
	s_andn2_saveexec_b64 s[70:71], s[70:71]
; %bb.8117:                             ;   in Loop: Header=BB2_8093 Depth=3
	v_cmp_lt_i16_e32 vcc, -1, v50
	v_mov_b32_e32 v0, 0xc7600000
	v_mov_b32_e32 v6, 0x47600000
	v_cndmask_b32_e32 v0, v0, v6, vcc
	v_cmp_eq_u32_e32 vcc, 0, v15
	v_mov_b32_e32 v6, 0x7f800001
	v_cndmask_b32_e32 v6, v6, v0, vcc
; %bb.8118:                             ;   in Loop: Header=BB2_8093 Depth=3
	s_or_b64 exec, exec, s[70:71]
.LBB2_8119:                             ;   in Loop: Header=BB2_8093 Depth=3
	s_or_b64 exec, exec, s[28:29]
.LBB2_8120:                             ;   in Loop: Header=BB2_8093 Depth=3
	s_or_b64 exec, exec, s[30:31]
	v_cmp_ne_u16_e32 vcc, 0, v26
	s_and_saveexec_b64 s[28:29], vcc
	s_cbranch_execz .LBB2_8128
; %bb.8121:                             ;   in Loop: Header=BB2_8093 Depth=3
	v_cmp_ne_u16_e32 vcc, s94, v26
	v_bfrev_b32_e32 v13, 1
	s_and_saveexec_b64 s[30:31], vcc
	s_cbranch_execz .LBB2_8127
; %bb.8122:                             ;   in Loop: Header=BB2_8093 Depth=3
	v_and_b32_e32 v13, 0x7c, v26
	v_and_b32_e32 v0, 3, v26
	v_cmp_ne_u32_e32 vcc, s95, v13
                                        ; implicit-def: $vgpr13
	s_and_saveexec_b64 s[70:71], vcc
	s_xor_b64 s[70:71], exec, s[70:71]
	s_cbranch_execz .LBB2_8124
; %bb.8123:                             ;   in Loop: Header=BB2_8093 Depth=3
	v_and_b32_e32 v13, 0xff, v26
	v_ffbh_u32_e32 v17, v0
	v_bfe_u32 v13, v13, 2, 5
	v_min_u32_e32 v17, 32, v17
	v_mov_b32_e32 v27, v51
	v_subrev_u32_e32 v19, 29, v17
	v_sub_u32_e32 v17, 30, v17
	v_cmp_eq_u32_e32 vcc, 0, v13
	v_bfe_i32 v15, v26, 0, 16
	v_lshlrev_b64 v[26:27], v19, v[26:27]
	v_cndmask_b32_e32 v13, v13, v17, vcc
	v_bfrev_b32_e32 v17, 28
	v_and_b32_e32 v19, 3, v26
	v_lshl_add_u32 v13, v13, 23, v17
	v_cndmask_b32_e32 v0, v0, v19, vcc
	v_and_or_b32 v13, v15, s96, v13
	v_lshl_or_b32 v13, v0, 21, v13
                                        ; implicit-def: $vgpr0
                                        ; implicit-def: $vgpr26
.LBB2_8124:                             ;   in Loop: Header=BB2_8093 Depth=3
	s_andn2_saveexec_b64 s[70:71], s[70:71]
; %bb.8125:                             ;   in Loop: Header=BB2_8093 Depth=3
	v_cmp_lt_i16_e32 vcc, -1, v26
	v_mov_b32_e32 v13, 0xc7600000
	v_mov_b32_e32 v15, 0x47600000
	v_cndmask_b32_e32 v13, v13, v15, vcc
	v_cmp_eq_u32_e32 vcc, 0, v0
	v_mov_b32_e32 v0, 0x7f800001
	v_cndmask_b32_e32 v13, v0, v13, vcc
; %bb.8126:                             ;   in Loop: Header=BB2_8093 Depth=3
	s_or_b64 exec, exec, s[70:71]
.LBB2_8127:                             ;   in Loop: Header=BB2_8093 Depth=3
	s_or_b64 exec, exec, s[30:31]
.LBB2_8128:                             ;   in Loop: Header=BB2_8093 Depth=3
	s_or_b64 exec, exec, s[28:29]
	v_max_f32_e32 v0, v13, v13
	v_max_f32_e32 v6, v6, v6
	v_min_f32_e32 v13, v6, v0
.LBB2_8129:                             ;   in Loop: Header=BB2_8093 Depth=3
	v_and_b32_sdwa v6, v13, s97 dst_sel:DWORD dst_unused:UNUSED_PAD src0_sel:BYTE_3 src1_sel:DWORD
	v_and_b32_e32 v26, 0x7f800000, v13
	v_mov_b32_e32 v27, v51
	v_and_b32_e32 v50, 0x7fffff, v13
	v_or_b32_e32 v0, 0x7b, v6
	v_cmp_ne_u64_e32 vcc, s[52:53], v[26:27]
	s_and_saveexec_b64 s[28:29], vcc
	s_xor_b64 s[30:31], exec, s[28:29]
	s_cbranch_execz .LBB2_8143
; %bb.8130:                             ;   in Loop: Header=BB2_8093 Depth=3
	v_and_b32_e32 v26, 0x7fffffff, v13
	v_mov_b32_e32 v27, v51
	v_cmp_gt_u64_e32 vcc, s[54:55], v[26:27]
	s_and_saveexec_b64 s[28:29], vcc
	s_xor_b64 s[70:71], exec, s[28:29]
	s_cbranch_execz .LBB2_8142
; %bb.8131:                             ;   in Loop: Header=BB2_8093 Depth=3
	v_cmp_ne_u32_e32 vcc, 0, v13
	v_mov_b32_e32 v0, 0
	s_and_saveexec_b64 s[72:73], vcc
	s_cbranch_execz .LBB2_8141
; %bb.8132:                             ;   in Loop: Header=BB2_8093 Depth=3
	v_bfe_u32 v0, v13, 23, 8
	v_sub_u32_e32 v15, 0x71, v0
	v_cmp_gt_u32_e32 vcc, s38, v0
	v_add_u32_e32 v13, 0xffffff81, v0
	v_cndmask_b32_e32 v15, 0, v15, vcc
	v_cmp_eq_u32_e32 vcc, 0, v0
	v_mov_b32_e32 v0, 0xffffff82
	v_cndmask_b32_e32 v0, v13, v0, vcc
	v_mov_b32_e32 v13, 0x70
	v_cndmask_b32_e32 v13, v15, v13, vcc
	v_add_u32_e32 v15, 21, v13
	v_or_b32_e32 v17, 0x800000, v50
	v_lshlrev_b64 v[26:27], v15, -1
	v_cndmask_b32_e32 v50, v17, v50, vcc
	v_not_b32_e32 v15, v27
	v_and_b32_e32 v27, 0, v15
	v_add_u32_e32 v15, 20, v13
	v_lshrrev_b64 v[38:39], v13, v[50:51]
	v_not_b32_e32 v17, v26
	v_lshlrev_b64 v[36:37], v15, 1
	v_lshrrev_b32_e32 v15, 23, v38
	v_and_b32_e32 v26, v50, v17
	v_add3_u32 v15, v13, v0, v15
	v_bfe_u32 v13, v38, 21, 1
	v_add_u32_e32 v13, -1, v13
	v_cmp_eq_u64_e32 vcc, v[26:27], v[36:37]
	v_cndmask_b32_e32 v13, 0, v13, vcc
	v_add_u32_e32 v13, v13, v38
	v_and_b32_e32 v13, 0x1fffff, v13
	v_add_co_u32_e32 v26, vcc, v13, v38
	v_add_u32_e32 v0, 14, v15
	v_addc_co_u32_e32 v27, vcc, 0, v39, vcc
	v_cmp_ne_u32_e32 vcc, 0, v0
                                        ; implicit-def: $vgpr13
	s_and_saveexec_b64 s[28:29], vcc
	s_xor_b64 s[28:29], exec, s[28:29]
; %bb.8133:                             ;   in Loop: Header=BB2_8093 Depth=3
	v_add_u32_e32 v13, 15, v15
	v_cmp_lt_u64_e32 vcc, s[56:57], v[26:27]
	v_cndmask_b32_e32 v13, v0, v13, vcc
	v_cndmask_b32_e64 v0, 0, 1, vcc
	v_lshrrev_b64 v[26:27], v0, v[26:27]
; %bb.8134:                             ;   in Loop: Header=BB2_8093 Depth=3
	s_andn2_saveexec_b64 s[28:29], s[28:29]
; %bb.8135:                             ;   in Loop: Header=BB2_8093 Depth=3
	v_bfe_u32 v13, v26, 23, 1
; %bb.8136:                             ;   in Loop: Header=BB2_8093 Depth=3
	s_or_b64 exec, exec, s[28:29]
	v_lshrrev_b64 v[26:27], 21, v[26:27]
	v_cmp_gt_i32_e32 vcc, 32, v13
	v_cndmask_b32_e32 v27, 0, v27, vcc
	v_cndmask_b32_e32 v26, 3, v26, vcc
	v_cmp_ne_u32_e32 vcc, 0, v13
	v_cmp_ne_u64_e64 s[28:29], 0, v[26:27]
	s_or_b64 s[28:29], vcc, s[28:29]
                                        ; implicit-def: $vgpr0
	s_and_saveexec_b64 vcc, s[28:29]
	s_xor_b64 s[28:29], exec, vcc
; %bb.8137:                             ;   in Loop: Header=BB2_8093 Depth=3
	v_min_i32_e32 v0, 31, v13
	v_lshl_or_b32 v0, v0, 2, v6
	v_and_or_b32 v0, v26, 3, v0
                                        ; implicit-def: $vgpr6
; %bb.8138:                             ;   in Loop: Header=BB2_8093 Depth=3
	s_andn2_saveexec_b64 s[28:29], s[28:29]
; %bb.8139:                             ;   in Loop: Header=BB2_8093 Depth=3
	v_mov_b32_e32 v0, v6
; %bb.8140:                             ;   in Loop: Header=BB2_8093 Depth=3
	s_or_b64 exec, exec, s[28:29]
.LBB2_8141:                             ;   in Loop: Header=BB2_8093 Depth=3
	s_or_b64 exec, exec, s[72:73]
.LBB2_8142:                             ;   in Loop: Header=BB2_8093 Depth=3
	s_andn2_saveexec_b64 s[28:29], s[70:71]
	s_or_b64 exec, exec, s[28:29]
                                        ; implicit-def: $vgpr13
.LBB2_8143:                             ;   in Loop: Header=BB2_8093 Depth=3
	s_andn2_saveexec_b64 s[28:29], s[30:31]
; %bb.8144:                             ;   in Loop: Header=BB2_8093 Depth=3
	v_or_b32_sdwa v6, v13, s39 dst_sel:DWORD dst_unused:UNUSED_PAD src0_sel:BYTE_3 src1_sel:DWORD
	v_cmp_eq_u64_e32 vcc, 0, v[50:51]
	v_cndmask_b32_e32 v0, v6, v0, vcc
; %bb.8145:                             ;   in Loop: Header=BB2_8093 Depth=3
	s_or_b64 exec, exec, s[28:29]
	v_cndmask_b32_e64 v13, 0, 1, s[68:69]
	v_and_b32_e32 v6, 0xff, v14
	v_cmp_ne_u32_e64 s[28:29], 1, v13
	s_andn2_b64 vcc, exec, s[68:69]
	v_cmp_ne_u16_e64 s[30:31], 0, v14
	s_cbranch_vccnz .LBB2_8163
; %bb.8146:                             ;   in Loop: Header=BB2_8093 Depth=3
	v_mov_b32_e32 v17, 0
	v_mov_b32_e32 v13, 0
	s_and_saveexec_b64 s[70:71], s[30:31]
	s_cbranch_execz .LBB2_8154
; %bb.8147:                             ;   in Loop: Header=BB2_8093 Depth=3
	v_cmp_ne_u16_e32 vcc, s94, v14
	v_bfrev_b32_e32 v13, 1
	s_and_saveexec_b64 s[72:73], vcc
	s_cbranch_execz .LBB2_8153
; %bb.8148:                             ;   in Loop: Header=BB2_8093 Depth=3
	v_and_b32_e32 v13, 0x7c, v6
	v_and_b32_e32 v19, 3, v6
	v_cmp_ne_u32_e32 vcc, s95, v13
                                        ; implicit-def: $vgpr13
	s_and_saveexec_b64 s[74:75], vcc
	s_xor_b64 s[74:75], exec, s[74:75]
	s_cbranch_execz .LBB2_8150
; %bb.8149:                             ;   in Loop: Header=BB2_8093 Depth=3
	v_ffbh_u32_e32 v23, v19
	v_min_u32_e32 v23, 32, v23
	v_mov_b32_e32 v15, v51
	v_subrev_u32_e32 v24, 29, v23
	v_bfe_u32 v13, v6, 2, 5
	v_lshlrev_b64 v[26:27], v24, v[14:15]
	v_sub_u32_e32 v15, 30, v23
	v_and_b32_e32 v23, 3, v26
	v_cmp_eq_u32_e32 vcc, 0, v13
	v_cndmask_b32_e32 v13, v13, v15, vcc
	v_cndmask_b32_e32 v15, v19, v23, vcc
	v_bfrev_b32_e32 v19, 28
	v_bfe_i32 v21, v14, 0, 16
	v_lshl_add_u32 v13, v13, 23, v19
	v_and_or_b32 v13, v21, s96, v13
	v_lshl_or_b32 v13, v15, 21, v13
                                        ; implicit-def: $vgpr19
.LBB2_8150:                             ;   in Loop: Header=BB2_8093 Depth=3
	s_andn2_saveexec_b64 s[74:75], s[74:75]
; %bb.8151:                             ;   in Loop: Header=BB2_8093 Depth=3
	v_cmp_lt_i16_e32 vcc, -1, v14
	v_mov_b32_e32 v13, 0xc7600000
	v_mov_b32_e32 v15, 0x47600000
	v_cndmask_b32_e32 v13, v13, v15, vcc
	v_cmp_eq_u32_e32 vcc, 0, v19
	v_mov_b32_e32 v15, 0x7f800001
	v_cndmask_b32_e32 v13, v15, v13, vcc
; %bb.8152:                             ;   in Loop: Header=BB2_8093 Depth=3
	s_or_b64 exec, exec, s[74:75]
.LBB2_8153:                             ;   in Loop: Header=BB2_8093 Depth=3
	s_or_b64 exec, exec, s[72:73]
.LBB2_8154:                             ;   in Loop: Header=BB2_8093 Depth=3
	s_or_b64 exec, exec, s[70:71]
	v_cmp_ne_u16_e32 vcc, 0, v20
	s_and_saveexec_b64 s[70:71], vcc
	s_cbranch_execz .LBB2_8162
; %bb.8155:                             ;   in Loop: Header=BB2_8093 Depth=3
	v_cmp_ne_u16_e32 vcc, s94, v20
	v_bfrev_b32_e32 v17, 1
	s_and_saveexec_b64 s[72:73], vcc
	s_cbranch_execz .LBB2_8161
; %bb.8156:                             ;   in Loop: Header=BB2_8093 Depth=3
	v_and_b32_e32 v17, 0x7c, v20
	v_and_b32_e32 v15, 3, v20
	v_cmp_ne_u32_e32 vcc, s95, v17
                                        ; implicit-def: $vgpr17
	s_and_saveexec_b64 s[74:75], vcc
	s_xor_b64 s[74:75], exec, s[74:75]
	s_cbranch_execz .LBB2_8158
; %bb.8157:                             ;   in Loop: Header=BB2_8093 Depth=3
	v_ffbh_u32_e32 v23, v15
	v_and_b32_e32 v17, 0xff, v20
	v_min_u32_e32 v23, 32, v23
	v_mov_b32_e32 v21, v51
	v_bfe_u32 v17, v17, 2, 5
	v_subrev_u32_e32 v24, 29, v23
	v_lshlrev_b64 v[26:27], v24, v[20:21]
	v_sub_u32_e32 v21, 30, v23
	v_cmp_eq_u32_e32 vcc, 0, v17
	v_cndmask_b32_e32 v17, v17, v21, vcc
	v_bfrev_b32_e32 v21, 28
	v_bfe_i32 v19, v20, 0, 16
	v_and_b32_e32 v23, 3, v26
	v_lshl_add_u32 v17, v17, 23, v21
	v_cndmask_b32_e32 v15, v15, v23, vcc
	v_and_or_b32 v17, v19, s96, v17
	v_lshl_or_b32 v17, v15, 21, v17
                                        ; implicit-def: $vgpr15
.LBB2_8158:                             ;   in Loop: Header=BB2_8093 Depth=3
	s_andn2_saveexec_b64 s[74:75], s[74:75]
; %bb.8159:                             ;   in Loop: Header=BB2_8093 Depth=3
	v_cmp_lt_i16_e32 vcc, -1, v20
	v_mov_b32_e32 v17, 0xc7600000
	v_mov_b32_e32 v19, 0x47600000
	v_cndmask_b32_e32 v17, v17, v19, vcc
	v_cmp_eq_u32_e32 vcc, 0, v15
	v_mov_b32_e32 v15, 0x7f800001
	v_cndmask_b32_e32 v17, v15, v17, vcc
; %bb.8160:                             ;   in Loop: Header=BB2_8093 Depth=3
	s_or_b64 exec, exec, s[74:75]
.LBB2_8161:                             ;   in Loop: Header=BB2_8093 Depth=3
	s_or_b64 exec, exec, s[72:73]
.LBB2_8162:                             ;   in Loop: Header=BB2_8093 Depth=3
	s_or_b64 exec, exec, s[70:71]
	v_max_f32_e32 v15, v17, v17
	v_max_f32_e32 v13, v13, v13
	;; [unrolled: 1-line block ×3, first 2 shown]
	s_branch .LBB2_8181
.LBB2_8163:                             ;   in Loop: Header=BB2_8093 Depth=3
                                        ; implicit-def: $vgpr15
	s_cbranch_execz .LBB2_8181
; %bb.8164:                             ;   in Loop: Header=BB2_8093 Depth=3
	v_mov_b32_e32 v17, 0
	v_mov_b32_e32 v13, 0
	s_and_saveexec_b64 s[70:71], s[30:31]
	s_cbranch_execz .LBB2_8172
; %bb.8165:                             ;   in Loop: Header=BB2_8093 Depth=3
	v_cmp_ne_u16_e32 vcc, s94, v14
	v_bfrev_b32_e32 v13, 1
	s_and_saveexec_b64 s[30:31], vcc
	s_cbranch_execz .LBB2_8171
; %bb.8166:                             ;   in Loop: Header=BB2_8093 Depth=3
	v_and_b32_e32 v13, 0x7c, v6
	v_and_b32_e32 v19, 3, v6
	v_cmp_ne_u32_e32 vcc, s95, v13
                                        ; implicit-def: $vgpr13
	s_and_saveexec_b64 s[72:73], vcc
	s_xor_b64 s[72:73], exec, s[72:73]
	s_cbranch_execz .LBB2_8168
; %bb.8167:                             ;   in Loop: Header=BB2_8093 Depth=3
	v_ffbh_u32_e32 v21, v19
	v_min_u32_e32 v21, 32, v21
	v_mov_b32_e32 v15, v51
	v_subrev_u32_e32 v23, 29, v21
	v_bfe_u32 v6, v6, 2, 5
	v_bfe_i32 v13, v14, 0, 16
	v_lshlrev_b64 v[14:15], v23, v[14:15]
	v_sub_u32_e32 v15, 30, v21
	v_cmp_eq_u32_e32 vcc, 0, v6
	v_cndmask_b32_e32 v6, v6, v15, vcc
	v_bfrev_b32_e32 v15, 28
	v_and_b32_e32 v14, 3, v14
	v_lshl_add_u32 v6, v6, 23, v15
	v_cndmask_b32_e32 v14, v19, v14, vcc
	v_and_or_b32 v6, v13, s96, v6
	v_lshl_or_b32 v13, v14, 21, v6
                                        ; implicit-def: $vgpr19
                                        ; implicit-def: $vgpr14
.LBB2_8168:                             ;   in Loop: Header=BB2_8093 Depth=3
	s_andn2_saveexec_b64 s[72:73], s[72:73]
; %bb.8169:                             ;   in Loop: Header=BB2_8093 Depth=3
	v_cmp_lt_i16_e32 vcc, -1, v14
	v_mov_b32_e32 v6, 0xc7600000
	v_mov_b32_e32 v13, 0x47600000
	v_cndmask_b32_e32 v6, v6, v13, vcc
	v_cmp_eq_u32_e32 vcc, 0, v19
	v_mov_b32_e32 v13, 0x7f800001
	v_cndmask_b32_e32 v13, v13, v6, vcc
; %bb.8170:                             ;   in Loop: Header=BB2_8093 Depth=3
	s_or_b64 exec, exec, s[72:73]
.LBB2_8171:                             ;   in Loop: Header=BB2_8093 Depth=3
	s_or_b64 exec, exec, s[30:31]
.LBB2_8172:                             ;   in Loop: Header=BB2_8093 Depth=3
	s_or_b64 exec, exec, s[70:71]
	v_cmp_ne_u16_e32 vcc, 0, v20
	s_and_saveexec_b64 s[30:31], vcc
	s_cbranch_execz .LBB2_8180
; %bb.8173:                             ;   in Loop: Header=BB2_8093 Depth=3
	v_cmp_ne_u16_e32 vcc, s94, v20
	v_bfrev_b32_e32 v17, 1
	s_and_saveexec_b64 s[70:71], vcc
	s_cbranch_execz .LBB2_8179
; %bb.8174:                             ;   in Loop: Header=BB2_8093 Depth=3
	v_and_b32_e32 v14, 0x7c, v20
	v_and_b32_e32 v6, 3, v20
	v_cmp_ne_u32_e32 vcc, s95, v14
                                        ; implicit-def: $vgpr17
	s_and_saveexec_b64 s[72:73], vcc
	s_xor_b64 s[72:73], exec, s[72:73]
	s_cbranch_execz .LBB2_8176
; %bb.8175:                             ;   in Loop: Header=BB2_8093 Depth=3
	v_and_b32_e32 v14, 0xff, v20
	v_bfe_u32 v17, v14, 2, 5
	v_ffbh_u32_e32 v14, v6
	v_min_u32_e32 v23, 32, v14
	v_mov_b32_e32 v21, v51
	v_subrev_u32_e32 v14, 29, v23
	v_lshlrev_b64 v[14:15], v14, v[20:21]
	v_sub_u32_e32 v15, 30, v23
	v_and_b32_e32 v14, 3, v14
	v_cmp_eq_u32_e32 vcc, 0, v17
	v_cndmask_b32_e32 v15, v17, v15, vcc
	v_cndmask_b32_e32 v6, v6, v14, vcc
	v_bfrev_b32_e32 v14, 28
	v_bfe_i32 v19, v20, 0, 16
	v_lshl_add_u32 v14, v15, 23, v14
	v_and_or_b32 v14, v19, s96, v14
	v_lshl_or_b32 v17, v6, 21, v14
                                        ; implicit-def: $vgpr6
                                        ; implicit-def: $vgpr20
.LBB2_8176:                             ;   in Loop: Header=BB2_8093 Depth=3
	s_andn2_saveexec_b64 s[72:73], s[72:73]
; %bb.8177:                             ;   in Loop: Header=BB2_8093 Depth=3
	v_cmp_lt_i16_e32 vcc, -1, v20
	v_mov_b32_e32 v14, 0xc7600000
	v_mov_b32_e32 v15, 0x47600000
	v_cndmask_b32_e32 v14, v14, v15, vcc
	v_cmp_eq_u32_e32 vcc, 0, v6
	v_mov_b32_e32 v6, 0x7f800001
	v_cndmask_b32_e32 v17, v6, v14, vcc
; %bb.8178:                             ;   in Loop: Header=BB2_8093 Depth=3
	s_or_b64 exec, exec, s[72:73]
.LBB2_8179:                             ;   in Loop: Header=BB2_8093 Depth=3
	s_or_b64 exec, exec, s[70:71]
.LBB2_8180:                             ;   in Loop: Header=BB2_8093 Depth=3
	s_or_b64 exec, exec, s[30:31]
	v_max_f32_e32 v6, v17, v17
	v_max_f32_e32 v13, v13, v13
	v_min_f32_e32 v15, v13, v6
.LBB2_8181:                             ;   in Loop: Header=BB2_8093 Depth=3
	v_and_b32_sdwa v13, v15, s97 dst_sel:DWORD dst_unused:UNUSED_PAD src0_sel:BYTE_3 src1_sel:DWORD
	v_and_b32_e32 v20, 0x7f800000, v15
	v_mov_b32_e32 v21, v51
	v_and_b32_e32 v50, 0x7fffff, v15
	v_or_b32_e32 v6, 0x7b, v13
	v_cmp_ne_u64_e32 vcc, s[52:53], v[20:21]
	s_and_saveexec_b64 s[30:31], vcc
	s_xor_b64 s[70:71], exec, s[30:31]
	s_cbranch_execz .LBB2_8195
; %bb.8182:                             ;   in Loop: Header=BB2_8093 Depth=3
	v_and_b32_e32 v20, 0x7fffffff, v15
	v_mov_b32_e32 v21, v51
	v_cmp_gt_u64_e32 vcc, s[54:55], v[20:21]
	s_and_saveexec_b64 s[30:31], vcc
	s_xor_b64 s[72:73], exec, s[30:31]
	s_cbranch_execz .LBB2_8194
; %bb.8183:                             ;   in Loop: Header=BB2_8093 Depth=3
	v_cmp_ne_u32_e32 vcc, 0, v15
	v_mov_b32_e32 v6, 0
	s_and_saveexec_b64 s[74:75], vcc
	s_cbranch_execz .LBB2_8193
; %bb.8184:                             ;   in Loop: Header=BB2_8093 Depth=3
	v_bfe_u32 v6, v15, 23, 8
	v_sub_u32_e32 v15, 0x71, v6
	v_cmp_gt_u32_e32 vcc, s38, v6
	v_add_u32_e32 v14, 0xffffff81, v6
	v_cndmask_b32_e32 v15, 0, v15, vcc
	v_cmp_eq_u32_e32 vcc, 0, v6
	v_mov_b32_e32 v6, 0xffffff82
	v_cndmask_b32_e32 v6, v14, v6, vcc
	v_mov_b32_e32 v14, 0x70
	v_or_b32_e32 v17, 0x800000, v50
	v_cndmask_b32_e32 v19, v15, v14, vcc
	v_cndmask_b32_e32 v50, v17, v50, vcc
	v_add_u32_e32 v14, 21, v19
	v_lshlrev_b64 v[14:15], v14, -1
	v_add_u32_e32 v17, 20, v19
	v_lshrrev_b64 v[26:27], v19, v[50:51]
	v_not_b32_e32 v15, v15
	v_not_b32_e32 v14, v14
	v_lshlrev_b64 v[20:21], v17, 1
	v_lshrrev_b32_e32 v17, 23, v26
	v_and_b32_e32 v15, 0, v15
	v_and_b32_e32 v14, v50, v14
	v_add3_u32 v19, v19, v6, v17
	v_bfe_u32 v17, v26, 21, 1
	v_add_u32_e32 v17, -1, v17
	v_cmp_eq_u64_e32 vcc, v[14:15], v[20:21]
	v_cndmask_b32_e32 v14, 0, v17, vcc
	v_add_u32_e32 v14, v14, v26
	v_and_b32_e32 v14, 0x1fffff, v14
	v_add_co_u32_e32 v14, vcc, v14, v26
	v_add_u32_e32 v6, 14, v19
	v_addc_co_u32_e32 v15, vcc, 0, v27, vcc
	v_cmp_ne_u32_e32 vcc, 0, v6
                                        ; implicit-def: $vgpr17
	s_and_saveexec_b64 s[30:31], vcc
	s_xor_b64 s[30:31], exec, s[30:31]
; %bb.8185:                             ;   in Loop: Header=BB2_8093 Depth=3
	v_add_u32_e32 v17, 15, v19
	v_cmp_lt_u64_e32 vcc, s[56:57], v[14:15]
	v_cndmask_b32_e32 v17, v6, v17, vcc
	v_cndmask_b32_e64 v6, 0, 1, vcc
	v_lshrrev_b64 v[14:15], v6, v[14:15]
; %bb.8186:                             ;   in Loop: Header=BB2_8093 Depth=3
	s_andn2_saveexec_b64 vcc, s[30:31]
; %bb.8187:                             ;   in Loop: Header=BB2_8093 Depth=3
	v_bfe_u32 v17, v14, 23, 1
; %bb.8188:                             ;   in Loop: Header=BB2_8093 Depth=3
	s_or_b64 exec, exec, vcc
	v_lshrrev_b64 v[14:15], 21, v[14:15]
	v_cmp_gt_i32_e32 vcc, 32, v17
	v_cndmask_b32_e32 v15, 0, v15, vcc
	v_cndmask_b32_e32 v14, 3, v14, vcc
	v_cmp_ne_u32_e32 vcc, 0, v17
	v_cmp_ne_u64_e64 s[30:31], 0, v[14:15]
	s_or_b64 vcc, vcc, s[30:31]
                                        ; implicit-def: $vgpr6
	s_and_saveexec_b64 s[30:31], vcc
	s_xor_b64 vcc, exec, s[30:31]
; %bb.8189:                             ;   in Loop: Header=BB2_8093 Depth=3
	v_min_i32_e32 v6, 31, v17
	v_lshl_or_b32 v6, v6, 2, v13
	v_and_or_b32 v6, v14, 3, v6
                                        ; implicit-def: $vgpr13
; %bb.8190:                             ;   in Loop: Header=BB2_8093 Depth=3
	s_andn2_saveexec_b64 vcc, vcc
; %bb.8191:                             ;   in Loop: Header=BB2_8093 Depth=3
	v_mov_b32_e32 v6, v13
; %bb.8192:                             ;   in Loop: Header=BB2_8093 Depth=3
	s_or_b64 exec, exec, vcc
.LBB2_8193:                             ;   in Loop: Header=BB2_8093 Depth=3
	s_or_b64 exec, exec, s[74:75]
.LBB2_8194:                             ;   in Loop: Header=BB2_8093 Depth=3
	s_andn2_saveexec_b64 vcc, s[72:73]
	s_or_b64 exec, exec, vcc
                                        ; implicit-def: $vgpr15
.LBB2_8195:                             ;   in Loop: Header=BB2_8093 Depth=3
	s_andn2_saveexec_b64 s[30:31], s[70:71]
; %bb.8196:                             ;   in Loop: Header=BB2_8093 Depth=3
	v_or_b32_sdwa v13, v15, s39 dst_sel:DWORD dst_unused:UNUSED_PAD src0_sel:BYTE_3 src1_sel:DWORD
	v_cmp_eq_u64_e32 vcc, 0, v[50:51]
	v_cndmask_b32_e32 v6, v13, v6, vcc
; %bb.8197:                             ;   in Loop: Header=BB2_8093 Depth=3
	s_or_b64 exec, exec, s[30:31]
	v_and_b32_e32 v13, 0xff, v18
	s_and_b64 vcc, exec, s[28:29]
	v_cmp_ne_u16_e64 s[30:31], 0, v18
	s_cbranch_vccnz .LBB2_8215
; %bb.8198:                             ;   in Loop: Header=BB2_8093 Depth=3
	v_mov_b32_e32 v15, 0
	v_mov_b32_e32 v14, 0
	s_and_saveexec_b64 s[70:71], s[30:31]
	s_cbranch_execz .LBB2_8206
; %bb.8199:                             ;   in Loop: Header=BB2_8093 Depth=3
	v_cmp_ne_u16_e32 vcc, s94, v18
	v_bfrev_b32_e32 v14, 1
	s_and_saveexec_b64 s[72:73], vcc
	s_cbranch_execz .LBB2_8205
; %bb.8200:                             ;   in Loop: Header=BB2_8093 Depth=3
	v_and_b32_e32 v14, 0x7c, v13
	v_and_b32_e32 v17, 3, v13
	v_cmp_ne_u32_e32 vcc, s95, v14
                                        ; implicit-def: $vgpr14
	s_and_saveexec_b64 s[74:75], vcc
	s_xor_b64 s[74:75], exec, s[74:75]
	s_cbranch_execz .LBB2_8202
; %bb.8201:                             ;   in Loop: Header=BB2_8093 Depth=3
	v_ffbh_u32_e32 v20, v17
	v_min_u32_e32 v24, 32, v20
	v_mov_b32_e32 v19, v51
	v_bfe_u32 v14, v13, 2, 5
	v_subrev_u32_e32 v20, 29, v24
	v_lshlrev_b64 v[20:21], v20, v[18:19]
	v_sub_u32_e32 v19, 30, v24
	v_cmp_eq_u32_e32 vcc, 0, v14
	v_cndmask_b32_e32 v14, v14, v19, vcc
	v_bfrev_b32_e32 v19, 28
	v_bfe_i32 v23, v18, 0, 16
	v_and_b32_e32 v20, 3, v20
	v_lshl_add_u32 v14, v14, 23, v19
	v_cndmask_b32_e32 v17, v17, v20, vcc
	v_and_or_b32 v14, v23, s96, v14
	v_lshl_or_b32 v14, v17, 21, v14
                                        ; implicit-def: $vgpr17
.LBB2_8202:                             ;   in Loop: Header=BB2_8093 Depth=3
	s_andn2_saveexec_b64 s[74:75], s[74:75]
; %bb.8203:                             ;   in Loop: Header=BB2_8093 Depth=3
	v_cmp_lt_i16_e32 vcc, -1, v18
	v_mov_b32_e32 v14, 0xc7600000
	v_mov_b32_e32 v19, 0x47600000
	v_cndmask_b32_e32 v14, v14, v19, vcc
	v_cmp_eq_u32_e32 vcc, 0, v17
	v_mov_b32_e32 v17, 0x7f800001
	v_cndmask_b32_e32 v14, v17, v14, vcc
; %bb.8204:                             ;   in Loop: Header=BB2_8093 Depth=3
	s_or_b64 exec, exec, s[74:75]
.LBB2_8205:                             ;   in Loop: Header=BB2_8093 Depth=3
	s_or_b64 exec, exec, s[72:73]
.LBB2_8206:                             ;   in Loop: Header=BB2_8093 Depth=3
	s_or_b64 exec, exec, s[70:71]
	v_cmp_ne_u16_e32 vcc, 0, v16
	s_and_saveexec_b64 s[70:71], vcc
	s_cbranch_execz .LBB2_8214
; %bb.8207:                             ;   in Loop: Header=BB2_8093 Depth=3
	v_cmp_ne_u16_e32 vcc, s94, v16
	v_bfrev_b32_e32 v15, 1
	s_and_saveexec_b64 s[72:73], vcc
	s_cbranch_execz .LBB2_8213
; %bb.8208:                             ;   in Loop: Header=BB2_8093 Depth=3
	v_and_b32_e32 v15, 0x7c, v16
	v_and_b32_e32 v19, 3, v16
	v_cmp_ne_u32_e32 vcc, s95, v15
                                        ; implicit-def: $vgpr15
	s_and_saveexec_b64 s[74:75], vcc
	s_xor_b64 s[74:75], exec, s[74:75]
	s_cbranch_execz .LBB2_8210
; %bb.8209:                             ;   in Loop: Header=BB2_8093 Depth=3
	v_ffbh_u32_e32 v20, v19
	v_min_u32_e32 v24, 32, v20
	v_and_b32_e32 v15, 0xff, v16
	v_mov_b32_e32 v17, v51
	v_subrev_u32_e32 v20, 29, v24
	v_bfe_u32 v15, v15, 2, 5
	v_lshlrev_b64 v[20:21], v20, v[16:17]
	v_sub_u32_e32 v17, 30, v24
	v_and_b32_e32 v20, 3, v20
	v_cmp_eq_u32_e32 vcc, 0, v15
	v_cndmask_b32_e32 v15, v15, v17, vcc
	v_cndmask_b32_e32 v17, v19, v20, vcc
	v_bfrev_b32_e32 v19, 28
	v_bfe_i32 v23, v16, 0, 16
	v_lshl_add_u32 v15, v15, 23, v19
	v_and_or_b32 v15, v23, s96, v15
	v_lshl_or_b32 v15, v17, 21, v15
                                        ; implicit-def: $vgpr19
.LBB2_8210:                             ;   in Loop: Header=BB2_8093 Depth=3
	s_andn2_saveexec_b64 s[74:75], s[74:75]
; %bb.8211:                             ;   in Loop: Header=BB2_8093 Depth=3
	v_cmp_lt_i16_e32 vcc, -1, v16
	v_mov_b32_e32 v15, 0xc7600000
	v_mov_b32_e32 v17, 0x47600000
	v_cndmask_b32_e32 v15, v15, v17, vcc
	v_cmp_eq_u32_e32 vcc, 0, v19
	v_mov_b32_e32 v17, 0x7f800001
	v_cndmask_b32_e32 v15, v17, v15, vcc
; %bb.8212:                             ;   in Loop: Header=BB2_8093 Depth=3
	s_or_b64 exec, exec, s[74:75]
.LBB2_8213:                             ;   in Loop: Header=BB2_8093 Depth=3
	s_or_b64 exec, exec, s[72:73]
.LBB2_8214:                             ;   in Loop: Header=BB2_8093 Depth=3
	s_or_b64 exec, exec, s[70:71]
	v_max_f32_e32 v15, v15, v15
	v_max_f32_e32 v14, v14, v14
	v_max_f32_e32 v14, v14, v15
	s_branch .LBB2_8233
.LBB2_8215:                             ;   in Loop: Header=BB2_8093 Depth=3
                                        ; implicit-def: $vgpr14
	s_cbranch_execz .LBB2_8233
; %bb.8216:                             ;   in Loop: Header=BB2_8093 Depth=3
	v_mov_b32_e32 v15, 0
	v_mov_b32_e32 v14, 0
	s_and_saveexec_b64 s[70:71], s[30:31]
	s_cbranch_execz .LBB2_8224
; %bb.8217:                             ;   in Loop: Header=BB2_8093 Depth=3
	v_cmp_ne_u16_e32 vcc, s94, v18
	v_bfrev_b32_e32 v14, 1
	s_and_saveexec_b64 s[30:31], vcc
	s_cbranch_execz .LBB2_8223
; %bb.8218:                             ;   in Loop: Header=BB2_8093 Depth=3
	v_and_b32_e32 v14, 0x7c, v13
	v_and_b32_e32 v17, 3, v13
	v_cmp_ne_u32_e32 vcc, s95, v14
                                        ; implicit-def: $vgpr14
	s_and_saveexec_b64 s[72:73], vcc
	s_xor_b64 s[72:73], exec, s[72:73]
	s_cbranch_execz .LBB2_8220
; %bb.8219:                             ;   in Loop: Header=BB2_8093 Depth=3
	v_ffbh_u32_e32 v20, v17
	v_min_u32_e32 v20, 32, v20
	v_mov_b32_e32 v19, v51
	v_subrev_u32_e32 v21, 29, v20
	v_bfe_u32 v13, v13, 2, 5
	v_bfe_i32 v14, v18, 0, 16
	v_lshlrev_b64 v[18:19], v21, v[18:19]
	v_sub_u32_e32 v19, 30, v20
	v_and_b32_e32 v18, 3, v18
	v_cmp_eq_u32_e32 vcc, 0, v13
	v_cndmask_b32_e32 v13, v13, v19, vcc
	v_cndmask_b32_e32 v17, v17, v18, vcc
	v_bfrev_b32_e32 v18, 28
	v_lshl_add_u32 v13, v13, 23, v18
	v_and_or_b32 v13, v14, s96, v13
	v_lshl_or_b32 v14, v17, 21, v13
                                        ; implicit-def: $vgpr17
                                        ; implicit-def: $vgpr18
.LBB2_8220:                             ;   in Loop: Header=BB2_8093 Depth=3
	s_andn2_saveexec_b64 s[72:73], s[72:73]
; %bb.8221:                             ;   in Loop: Header=BB2_8093 Depth=3
	v_cmp_lt_i16_e32 vcc, -1, v18
	v_mov_b32_e32 v13, 0xc7600000
	v_mov_b32_e32 v14, 0x47600000
	v_cndmask_b32_e32 v13, v13, v14, vcc
	v_cmp_eq_u32_e32 vcc, 0, v17
	v_mov_b32_e32 v14, 0x7f800001
	v_cndmask_b32_e32 v14, v14, v13, vcc
; %bb.8222:                             ;   in Loop: Header=BB2_8093 Depth=3
	s_or_b64 exec, exec, s[72:73]
.LBB2_8223:                             ;   in Loop: Header=BB2_8093 Depth=3
	s_or_b64 exec, exec, s[30:31]
.LBB2_8224:                             ;   in Loop: Header=BB2_8093 Depth=3
	s_or_b64 exec, exec, s[70:71]
	v_cmp_ne_u16_e32 vcc, 0, v16
	s_and_saveexec_b64 s[30:31], vcc
	s_cbranch_execz .LBB2_8232
; %bb.8225:                             ;   in Loop: Header=BB2_8093 Depth=3
	v_cmp_ne_u16_e32 vcc, s94, v16
	v_bfrev_b32_e32 v15, 1
	s_and_saveexec_b64 s[70:71], vcc
	s_cbranch_execz .LBB2_8231
; %bb.8226:                             ;   in Loop: Header=BB2_8093 Depth=3
	v_and_b32_e32 v15, 0x7c, v16
	v_and_b32_e32 v13, 3, v16
	v_cmp_ne_u32_e32 vcc, s95, v15
                                        ; implicit-def: $vgpr15
	s_and_saveexec_b64 s[72:73], vcc
	s_xor_b64 s[72:73], exec, s[72:73]
	s_cbranch_execz .LBB2_8228
; %bb.8227:                             ;   in Loop: Header=BB2_8093 Depth=3
	v_ffbh_u32_e32 v19, v13
	v_min_u32_e32 v19, 32, v19
	v_and_b32_e32 v15, 0xff, v16
	v_mov_b32_e32 v17, v51
	v_subrev_u32_e32 v20, 29, v19
	v_bfe_u32 v15, v15, 2, 5
	v_bfe_i32 v18, v16, 0, 16
	v_lshlrev_b64 v[16:17], v20, v[16:17]
	v_sub_u32_e32 v17, 30, v19
	v_and_b32_e32 v16, 3, v16
	v_cmp_eq_u32_e32 vcc, 0, v15
	v_cndmask_b32_e32 v15, v15, v17, vcc
	v_cndmask_b32_e32 v13, v13, v16, vcc
	v_bfrev_b32_e32 v16, 28
	v_lshl_add_u32 v15, v15, 23, v16
	v_and_or_b32 v15, v18, s96, v15
	v_lshl_or_b32 v15, v13, 21, v15
                                        ; implicit-def: $vgpr13
                                        ; implicit-def: $vgpr16
.LBB2_8228:                             ;   in Loop: Header=BB2_8093 Depth=3
	s_andn2_saveexec_b64 s[72:73], s[72:73]
; %bb.8229:                             ;   in Loop: Header=BB2_8093 Depth=3
	v_cmp_lt_i16_e32 vcc, -1, v16
	v_mov_b32_e32 v15, 0xc7600000
	v_mov_b32_e32 v16, 0x47600000
	v_cndmask_b32_e32 v15, v15, v16, vcc
	v_cmp_eq_u32_e32 vcc, 0, v13
	v_mov_b32_e32 v13, 0x7f800001
	v_cndmask_b32_e32 v15, v13, v15, vcc
; %bb.8230:                             ;   in Loop: Header=BB2_8093 Depth=3
	s_or_b64 exec, exec, s[72:73]
.LBB2_8231:                             ;   in Loop: Header=BB2_8093 Depth=3
	s_or_b64 exec, exec, s[70:71]
.LBB2_8232:                             ;   in Loop: Header=BB2_8093 Depth=3
	s_or_b64 exec, exec, s[30:31]
	v_max_f32_e32 v13, v15, v15
	v_max_f32_e32 v14, v14, v14
	v_min_f32_e32 v14, v14, v13
.LBB2_8233:                             ;   in Loop: Header=BB2_8093 Depth=3
	v_and_b32_sdwa v13, v14, s97 dst_sel:DWORD dst_unused:UNUSED_PAD src0_sel:BYTE_3 src1_sel:DWORD
	v_and_b32_e32 v16, 0x7f800000, v14
	v_mov_b32_e32 v17, v51
	v_and_b32_e32 v50, 0x7fffff, v14
	v_or_b32_e32 v15, 0x7b, v13
	v_cmp_ne_u64_e32 vcc, s[52:53], v[16:17]
	s_and_saveexec_b64 s[30:31], vcc
	s_xor_b64 s[70:71], exec, s[30:31]
	s_cbranch_execz .LBB2_8247
; %bb.8234:                             ;   in Loop: Header=BB2_8093 Depth=3
	v_and_b32_e32 v16, 0x7fffffff, v14
	v_mov_b32_e32 v17, v51
	v_cmp_gt_u64_e32 vcc, s[54:55], v[16:17]
	s_and_saveexec_b64 s[30:31], vcc
	s_xor_b64 s[72:73], exec, s[30:31]
	s_cbranch_execz .LBB2_8246
; %bb.8235:                             ;   in Loop: Header=BB2_8093 Depth=3
	v_cmp_ne_u32_e32 vcc, 0, v14
	v_mov_b32_e32 v15, 0
	s_and_saveexec_b64 s[74:75], vcc
	s_cbranch_execz .LBB2_8245
; %bb.8236:                             ;   in Loop: Header=BB2_8093 Depth=3
	v_bfe_u32 v14, v14, 23, 8
	v_sub_u32_e32 v16, 0x71, v14
	v_cmp_gt_u32_e32 vcc, s38, v14
	v_add_u32_e32 v15, 0xffffff81, v14
	v_cndmask_b32_e32 v16, 0, v16, vcc
	v_cmp_eq_u32_e32 vcc, 0, v14
	v_mov_b32_e32 v14, 0xffffff82
	v_cndmask_b32_e32 v18, v15, v14, vcc
	v_mov_b32_e32 v14, 0x70
	v_or_b32_e32 v17, 0x800000, v50
	v_cndmask_b32_e32 v16, v16, v14, vcc
	v_cndmask_b32_e32 v50, v17, v50, vcc
	v_add_u32_e32 v14, 21, v16
	v_lshlrev_b64 v[14:15], v14, -1
	v_add_u32_e32 v17, 20, v16
	v_lshrrev_b64 v[26:27], v16, v[50:51]
	v_not_b32_e32 v15, v15
	v_not_b32_e32 v14, v14
	v_lshlrev_b64 v[20:21], v17, 1
	v_lshrrev_b32_e32 v17, 23, v26
	v_and_b32_e32 v15, 0, v15
	v_and_b32_e32 v14, v50, v14
	v_add3_u32 v18, v16, v18, v17
	v_bfe_u32 v16, v26, 21, 1
	v_add_u32_e32 v16, -1, v16
	v_cmp_eq_u64_e32 vcc, v[14:15], v[20:21]
	v_cndmask_b32_e32 v14, 0, v16, vcc
	v_add_u32_e32 v14, v14, v26
	v_and_b32_e32 v14, 0x1fffff, v14
	v_add_co_u32_e32 v14, vcc, v14, v26
	v_add_u32_e32 v17, 14, v18
	v_addc_co_u32_e32 v15, vcc, 0, v27, vcc
	v_cmp_ne_u32_e32 vcc, 0, v17
                                        ; implicit-def: $vgpr16
	s_and_saveexec_b64 s[30:31], vcc
	s_xor_b64 s[30:31], exec, s[30:31]
; %bb.8237:                             ;   in Loop: Header=BB2_8093 Depth=3
	v_add_u32_e32 v16, 15, v18
	v_cmp_lt_u64_e32 vcc, s[56:57], v[14:15]
	v_cndmask_b32_e32 v16, v17, v16, vcc
	v_cndmask_b32_e64 v17, 0, 1, vcc
	v_lshrrev_b64 v[14:15], v17, v[14:15]
; %bb.8238:                             ;   in Loop: Header=BB2_8093 Depth=3
	s_andn2_saveexec_b64 vcc, s[30:31]
; %bb.8239:                             ;   in Loop: Header=BB2_8093 Depth=3
	v_bfe_u32 v16, v14, 23, 1
; %bb.8240:                             ;   in Loop: Header=BB2_8093 Depth=3
	s_or_b64 exec, exec, vcc
	v_lshrrev_b64 v[14:15], 21, v[14:15]
	v_cmp_gt_i32_e32 vcc, 32, v16
	v_cndmask_b32_e32 v15, 0, v15, vcc
	v_cndmask_b32_e32 v14, 3, v14, vcc
	v_cmp_ne_u32_e32 vcc, 0, v16
	v_cmp_ne_u64_e64 s[30:31], 0, v[14:15]
	s_or_b64 vcc, vcc, s[30:31]
                                        ; implicit-def: $vgpr15
	s_and_saveexec_b64 s[30:31], vcc
	s_xor_b64 vcc, exec, s[30:31]
; %bb.8241:                             ;   in Loop: Header=BB2_8093 Depth=3
	v_min_i32_e32 v15, 31, v16
	v_lshl_or_b32 v13, v15, 2, v13
	v_and_or_b32 v15, v14, 3, v13
                                        ; implicit-def: $vgpr13
; %bb.8242:                             ;   in Loop: Header=BB2_8093 Depth=3
	s_andn2_saveexec_b64 vcc, vcc
; %bb.8243:                             ;   in Loop: Header=BB2_8093 Depth=3
	v_mov_b32_e32 v15, v13
; %bb.8244:                             ;   in Loop: Header=BB2_8093 Depth=3
	s_or_b64 exec, exec, vcc
.LBB2_8245:                             ;   in Loop: Header=BB2_8093 Depth=3
	s_or_b64 exec, exec, s[74:75]
.LBB2_8246:                             ;   in Loop: Header=BB2_8093 Depth=3
	s_andn2_saveexec_b64 vcc, s[72:73]
	s_or_b64 exec, exec, vcc
                                        ; implicit-def: $vgpr14
.LBB2_8247:                             ;   in Loop: Header=BB2_8093 Depth=3
	s_andn2_saveexec_b64 s[30:31], s[70:71]
; %bb.8248:                             ;   in Loop: Header=BB2_8093 Depth=3
	v_or_b32_sdwa v13, v14, s39 dst_sel:DWORD dst_unused:UNUSED_PAD src0_sel:BYTE_3 src1_sel:DWORD
	v_cmp_eq_u64_e32 vcc, 0, v[50:51]
	v_cndmask_b32_e32 v15, v13, v15, vcc
; %bb.8249:                             ;   in Loop: Header=BB2_8093 Depth=3
	s_or_b64 exec, exec, s[30:31]
	v_and_b32_e32 v14, 0xff, v22
	s_and_b64 vcc, exec, s[28:29]
	v_cmp_ne_u16_e64 s[28:29], 0, v22
	s_cbranch_vccnz .LBB2_8267
; %bb.8250:                             ;   in Loop: Header=BB2_8093 Depth=3
	v_mov_b32_e32 v13, 0
	v_mov_b32_e32 v16, 0
	s_and_saveexec_b64 s[30:31], s[28:29]
	s_cbranch_execz .LBB2_8258
; %bb.8251:                             ;   in Loop: Header=BB2_8093 Depth=3
	v_cmp_ne_u16_e32 vcc, s94, v22
	v_bfrev_b32_e32 v16, 1
	s_and_saveexec_b64 s[70:71], vcc
	s_cbranch_execz .LBB2_8257
; %bb.8252:                             ;   in Loop: Header=BB2_8093 Depth=3
	v_and_b32_e32 v16, 0x7c, v14
	v_and_b32_e32 v17, 3, v14
	v_cmp_ne_u32_e32 vcc, s95, v16
                                        ; implicit-def: $vgpr16
	s_and_saveexec_b64 s[72:73], vcc
	s_xor_b64 s[72:73], exec, s[72:73]
	s_cbranch_execz .LBB2_8254
; %bb.8253:                             ;   in Loop: Header=BB2_8093 Depth=3
	v_ffbh_u32_e32 v18, v17
	v_min_u32_e32 v21, 32, v18
	v_mov_b32_e32 v23, v51
	v_subrev_u32_e32 v18, 29, v21
	v_bfe_u32 v16, v14, 2, 5
	v_lshlrev_b64 v[18:19], v18, v[22:23]
	v_sub_u32_e32 v19, 30, v21
	v_and_b32_e32 v18, 3, v18
	v_cmp_eq_u32_e32 vcc, 0, v16
	v_cndmask_b32_e32 v16, v16, v19, vcc
	v_cndmask_b32_e32 v17, v17, v18, vcc
	v_bfrev_b32_e32 v18, 28
	v_bfe_i32 v20, v22, 0, 16
	v_lshl_add_u32 v16, v16, 23, v18
	v_and_or_b32 v16, v20, s96, v16
	v_lshl_or_b32 v16, v17, 21, v16
                                        ; implicit-def: $vgpr17
.LBB2_8254:                             ;   in Loop: Header=BB2_8093 Depth=3
	s_andn2_saveexec_b64 s[72:73], s[72:73]
; %bb.8255:                             ;   in Loop: Header=BB2_8093 Depth=3
	v_cmp_lt_i16_e32 vcc, -1, v22
	v_mov_b32_e32 v16, 0xc7600000
	v_mov_b32_e32 v18, 0x47600000
	v_cndmask_b32_e32 v16, v16, v18, vcc
	v_cmp_eq_u32_e32 vcc, 0, v17
	v_mov_b32_e32 v17, 0x7f800001
	v_cndmask_b32_e32 v16, v17, v16, vcc
; %bb.8256:                             ;   in Loop: Header=BB2_8093 Depth=3
	s_or_b64 exec, exec, s[72:73]
.LBB2_8257:                             ;   in Loop: Header=BB2_8093 Depth=3
	s_or_b64 exec, exec, s[70:71]
.LBB2_8258:                             ;   in Loop: Header=BB2_8093 Depth=3
	s_or_b64 exec, exec, s[30:31]
	v_cmp_ne_u16_e32 vcc, 0, v12
	s_and_saveexec_b64 s[30:31], vcc
	s_cbranch_execz .LBB2_8266
; %bb.8259:                             ;   in Loop: Header=BB2_8093 Depth=3
	v_cmp_ne_u16_e32 vcc, s94, v12
	v_bfrev_b32_e32 v13, 1
	s_and_saveexec_b64 s[70:71], vcc
	s_cbranch_execz .LBB2_8265
; %bb.8260:                             ;   in Loop: Header=BB2_8093 Depth=3
	v_and_b32_e32 v13, 0x7c, v12
	v_and_b32_e32 v17, 3, v12
	v_cmp_ne_u32_e32 vcc, s95, v13
                                        ; implicit-def: $vgpr13
	s_and_saveexec_b64 s[72:73], vcc
	s_xor_b64 s[72:73], exec, s[72:73]
	s_cbranch_execz .LBB2_8262
; %bb.8261:                             ;   in Loop: Header=BB2_8093 Depth=3
	v_and_b32_e32 v18, 0xff, v12
	v_bfe_u32 v20, v18, 2, 5
	v_ffbh_u32_e32 v18, v17
	v_min_u32_e32 v23, 32, v18
	v_mov_b32_e32 v13, v51
	v_subrev_u32_e32 v18, 29, v23
	v_lshlrev_b64 v[18:19], v18, v[12:13]
	v_sub_u32_e32 v13, 30, v23
	v_and_b32_e32 v18, 3, v18
	v_cmp_eq_u32_e32 vcc, 0, v20
	v_cndmask_b32_e32 v13, v20, v13, vcc
	v_cndmask_b32_e32 v17, v17, v18, vcc
	v_bfrev_b32_e32 v18, 28
	v_bfe_i32 v21, v12, 0, 16
	v_lshl_add_u32 v13, v13, 23, v18
	v_and_or_b32 v13, v21, s96, v13
	v_lshl_or_b32 v13, v17, 21, v13
                                        ; implicit-def: $vgpr17
.LBB2_8262:                             ;   in Loop: Header=BB2_8093 Depth=3
	s_andn2_saveexec_b64 s[72:73], s[72:73]
; %bb.8263:                             ;   in Loop: Header=BB2_8093 Depth=3
	v_cmp_lt_i16_e32 vcc, -1, v12
	v_mov_b32_e32 v13, 0xc7600000
	v_mov_b32_e32 v18, 0x47600000
	v_cndmask_b32_e32 v13, v13, v18, vcc
	v_cmp_eq_u32_e32 vcc, 0, v17
	v_mov_b32_e32 v17, 0x7f800001
	v_cndmask_b32_e32 v13, v17, v13, vcc
; %bb.8264:                             ;   in Loop: Header=BB2_8093 Depth=3
	s_or_b64 exec, exec, s[72:73]
.LBB2_8265:                             ;   in Loop: Header=BB2_8093 Depth=3
	s_or_b64 exec, exec, s[70:71]
.LBB2_8266:                             ;   in Loop: Header=BB2_8093 Depth=3
	s_or_b64 exec, exec, s[30:31]
	v_max_f32_e32 v13, v13, v13
	v_max_f32_e32 v16, v16, v16
	;; [unrolled: 1-line block ×3, first 2 shown]
	s_branch .LBB2_8285
.LBB2_8267:                             ;   in Loop: Header=BB2_8093 Depth=3
                                        ; implicit-def: $vgpr16
	s_cbranch_execz .LBB2_8285
; %bb.8268:                             ;   in Loop: Header=BB2_8093 Depth=3
	v_mov_b32_e32 v13, 0
	v_mov_b32_e32 v16, 0
	s_and_saveexec_b64 s[30:31], s[28:29]
	s_cbranch_execz .LBB2_8276
; %bb.8269:                             ;   in Loop: Header=BB2_8093 Depth=3
	v_cmp_ne_u16_e32 vcc, s94, v22
	v_bfrev_b32_e32 v16, 1
	s_and_saveexec_b64 s[28:29], vcc
	s_cbranch_execz .LBB2_8275
; %bb.8270:                             ;   in Loop: Header=BB2_8093 Depth=3
	v_and_b32_e32 v16, 0x7c, v14
	v_and_b32_e32 v17, 3, v14
	v_cmp_ne_u32_e32 vcc, s95, v16
                                        ; implicit-def: $vgpr16
	s_and_saveexec_b64 s[70:71], vcc
	s_xor_b64 s[70:71], exec, s[70:71]
	s_cbranch_execz .LBB2_8272
; %bb.8271:                             ;   in Loop: Header=BB2_8093 Depth=3
	v_ffbh_u32_e32 v18, v17
	v_min_u32_e32 v20, 32, v18
	v_mov_b32_e32 v23, v51
	v_subrev_u32_e32 v18, 29, v20
	v_bfe_u32 v14, v14, 2, 5
	v_lshlrev_b64 v[18:19], v18, v[22:23]
	v_sub_u32_e32 v19, 30, v20
	v_and_b32_e32 v18, 3, v18
	v_cmp_eq_u32_e32 vcc, 0, v14
	v_cndmask_b32_e32 v14, v14, v19, vcc
	v_cndmask_b32_e32 v17, v17, v18, vcc
	v_bfrev_b32_e32 v18, 28
	v_bfe_i32 v16, v22, 0, 16
	v_lshl_add_u32 v14, v14, 23, v18
	v_and_or_b32 v14, v16, s96, v14
	v_lshl_or_b32 v16, v17, 21, v14
                                        ; implicit-def: $vgpr17
                                        ; implicit-def: $vgpr22
.LBB2_8272:                             ;   in Loop: Header=BB2_8093 Depth=3
	s_andn2_saveexec_b64 s[70:71], s[70:71]
; %bb.8273:                             ;   in Loop: Header=BB2_8093 Depth=3
	v_cmp_lt_i16_e32 vcc, -1, v22
	v_mov_b32_e32 v14, 0xc7600000
	v_mov_b32_e32 v16, 0x47600000
	v_cndmask_b32_e32 v14, v14, v16, vcc
	v_cmp_eq_u32_e32 vcc, 0, v17
	v_mov_b32_e32 v16, 0x7f800001
	v_cndmask_b32_e32 v16, v16, v14, vcc
; %bb.8274:                             ;   in Loop: Header=BB2_8093 Depth=3
	s_or_b64 exec, exec, s[70:71]
.LBB2_8275:                             ;   in Loop: Header=BB2_8093 Depth=3
	s_or_b64 exec, exec, s[28:29]
.LBB2_8276:                             ;   in Loop: Header=BB2_8093 Depth=3
	s_or_b64 exec, exec, s[30:31]
	v_cmp_ne_u16_e32 vcc, 0, v12
	s_and_saveexec_b64 s[28:29], vcc
	s_cbranch_execz .LBB2_8284
; %bb.8277:                             ;   in Loop: Header=BB2_8093 Depth=3
	v_cmp_ne_u16_e32 vcc, s94, v12
	v_bfrev_b32_e32 v13, 1
	s_and_saveexec_b64 s[30:31], vcc
	s_cbranch_execz .LBB2_8283
; %bb.8278:                             ;   in Loop: Header=BB2_8093 Depth=3
	v_and_b32_e32 v13, 0x7c, v12
	v_and_b32_e32 v14, 3, v12
	v_cmp_ne_u32_e32 vcc, s95, v13
                                        ; implicit-def: $vgpr13
	s_and_saveexec_b64 s[70:71], vcc
	s_xor_b64 s[70:71], exec, s[70:71]
	s_cbranch_execz .LBB2_8280
; %bb.8279:                             ;   in Loop: Header=BB2_8093 Depth=3
	v_ffbh_u32_e32 v19, v14
	v_min_u32_e32 v19, 32, v19
	v_and_b32_e32 v17, 0xff, v12
	v_mov_b32_e32 v13, v51
	v_subrev_u32_e32 v20, 29, v19
	v_bfe_u32 v17, v17, 2, 5
	v_bfe_i32 v18, v12, 0, 16
	v_lshlrev_b64 v[12:13], v20, v[12:13]
	v_sub_u32_e32 v13, 30, v19
	v_and_b32_e32 v12, 3, v12
	v_cmp_eq_u32_e32 vcc, 0, v17
	v_cndmask_b32_e32 v13, v17, v13, vcc
	v_cndmask_b32_e32 v12, v14, v12, vcc
	v_bfrev_b32_e32 v14, 28
	v_lshl_add_u32 v13, v13, 23, v14
	v_and_or_b32 v13, v18, s96, v13
	v_lshl_or_b32 v13, v12, 21, v13
                                        ; implicit-def: $vgpr14
                                        ; implicit-def: $vgpr12
.LBB2_8280:                             ;   in Loop: Header=BB2_8093 Depth=3
	s_andn2_saveexec_b64 s[70:71], s[70:71]
; %bb.8281:                             ;   in Loop: Header=BB2_8093 Depth=3
	v_cmp_lt_i16_e32 vcc, -1, v12
	v_mov_b32_e32 v12, 0xc7600000
	v_mov_b32_e32 v13, 0x47600000
	v_cndmask_b32_e32 v12, v12, v13, vcc
	v_cmp_eq_u32_e32 vcc, 0, v14
	v_mov_b32_e32 v13, 0x7f800001
	v_cndmask_b32_e32 v13, v13, v12, vcc
; %bb.8282:                             ;   in Loop: Header=BB2_8093 Depth=3
	s_or_b64 exec, exec, s[70:71]
.LBB2_8283:                             ;   in Loop: Header=BB2_8093 Depth=3
	s_or_b64 exec, exec, s[30:31]
.LBB2_8284:                             ;   in Loop: Header=BB2_8093 Depth=3
	s_or_b64 exec, exec, s[28:29]
	v_max_f32_e32 v12, v13, v13
	v_max_f32_e32 v13, v16, v16
	v_min_f32_e32 v16, v13, v12
.LBB2_8285:                             ;   in Loop: Header=BB2_8093 Depth=3
	v_and_b32_sdwa v14, v16, s97 dst_sel:DWORD dst_unused:UNUSED_PAD src0_sel:BYTE_3 src1_sel:DWORD
	v_and_b32_e32 v18, 0x7f800000, v16
	v_mov_b32_e32 v19, v51
	v_and_b32_e32 v50, 0x7fffff, v16
	v_or_b32_e32 v13, 0x7b, v14
	v_cmp_ne_u64_e32 vcc, s[52:53], v[18:19]
	s_and_saveexec_b64 s[28:29], vcc
	s_xor_b64 s[30:31], exec, s[28:29]
	s_cbranch_execz .LBB2_8299
; %bb.8286:                             ;   in Loop: Header=BB2_8093 Depth=3
	v_and_b32_e32 v18, 0x7fffffff, v16
	v_mov_b32_e32 v19, v51
	v_cmp_gt_u64_e32 vcc, s[54:55], v[18:19]
	s_and_saveexec_b64 s[28:29], vcc
	s_xor_b64 s[70:71], exec, s[28:29]
	s_cbranch_execz .LBB2_8298
; %bb.8287:                             ;   in Loop: Header=BB2_8093 Depth=3
	v_cmp_ne_u32_e32 vcc, 0, v16
	v_mov_b32_e32 v13, 0
	s_and_saveexec_b64 s[72:73], vcc
	s_cbranch_execz .LBB2_8297
; %bb.8288:                             ;   in Loop: Header=BB2_8093 Depth=3
	v_bfe_u32 v12, v16, 23, 8
	v_sub_u32_e32 v16, 0x71, v12
	v_cmp_gt_u32_e32 vcc, s38, v12
	v_add_u32_e32 v13, 0xffffff81, v12
	v_cndmask_b32_e32 v16, 0, v16, vcc
	v_cmp_eq_u32_e32 vcc, 0, v12
	v_mov_b32_e32 v12, 0xffffff82
	v_cndmask_b32_e32 v18, v13, v12, vcc
	v_mov_b32_e32 v12, 0x70
	v_or_b32_e32 v17, 0x800000, v50
	v_cndmask_b32_e32 v16, v16, v12, vcc
	v_cndmask_b32_e32 v50, v17, v50, vcc
	v_add_u32_e32 v12, 21, v16
	v_lshlrev_b64 v[12:13], v12, -1
	v_add_u32_e32 v17, 20, v16
	v_lshrrev_b64 v[22:23], v16, v[50:51]
	v_not_b32_e32 v13, v13
	v_not_b32_e32 v12, v12
	v_lshlrev_b64 v[20:21], v17, 1
	v_lshrrev_b32_e32 v17, 23, v22
	v_and_b32_e32 v13, 0, v13
	v_and_b32_e32 v12, v50, v12
	v_add3_u32 v18, v16, v18, v17
	v_bfe_u32 v16, v22, 21, 1
	v_add_u32_e32 v16, -1, v16
	v_cmp_eq_u64_e32 vcc, v[12:13], v[20:21]
	v_cndmask_b32_e32 v12, 0, v16, vcc
	v_add_u32_e32 v12, v12, v22
	v_and_b32_e32 v12, 0x1fffff, v12
	v_add_co_u32_e32 v12, vcc, v12, v22
	v_add_u32_e32 v17, 14, v18
	v_addc_co_u32_e32 v13, vcc, 0, v23, vcc
	v_cmp_ne_u32_e32 vcc, 0, v17
                                        ; implicit-def: $vgpr16
	s_and_saveexec_b64 s[28:29], vcc
	s_xor_b64 s[28:29], exec, s[28:29]
; %bb.8289:                             ;   in Loop: Header=BB2_8093 Depth=3
	v_add_u32_e32 v16, 15, v18
	v_cmp_lt_u64_e32 vcc, s[56:57], v[12:13]
	v_cndmask_b32_e32 v16, v17, v16, vcc
	v_cndmask_b32_e64 v17, 0, 1, vcc
	v_lshrrev_b64 v[12:13], v17, v[12:13]
; %bb.8290:                             ;   in Loop: Header=BB2_8093 Depth=3
	s_andn2_saveexec_b64 s[28:29], s[28:29]
; %bb.8291:                             ;   in Loop: Header=BB2_8093 Depth=3
	v_bfe_u32 v16, v12, 23, 1
; %bb.8292:                             ;   in Loop: Header=BB2_8093 Depth=3
	s_or_b64 exec, exec, s[28:29]
	v_lshrrev_b64 v[12:13], 21, v[12:13]
	v_cmp_gt_i32_e32 vcc, 32, v16
	v_cndmask_b32_e32 v13, 0, v13, vcc
	v_cndmask_b32_e32 v12, 3, v12, vcc
	v_cmp_ne_u32_e32 vcc, 0, v16
	v_cmp_ne_u64_e64 s[28:29], 0, v[12:13]
	s_or_b64 s[28:29], vcc, s[28:29]
                                        ; implicit-def: $vgpr13
	s_and_saveexec_b64 vcc, s[28:29]
	s_xor_b64 s[28:29], exec, vcc
; %bb.8293:                             ;   in Loop: Header=BB2_8093 Depth=3
	v_min_i32_e32 v13, 31, v16
	v_lshl_or_b32 v13, v13, 2, v14
	v_and_or_b32 v13, v12, 3, v13
                                        ; implicit-def: $vgpr14
; %bb.8294:                             ;   in Loop: Header=BB2_8093 Depth=3
	s_andn2_saveexec_b64 s[28:29], s[28:29]
; %bb.8295:                             ;   in Loop: Header=BB2_8093 Depth=3
	v_mov_b32_e32 v13, v14
; %bb.8296:                             ;   in Loop: Header=BB2_8093 Depth=3
	s_or_b64 exec, exec, s[28:29]
.LBB2_8297:                             ;   in Loop: Header=BB2_8093 Depth=3
	s_or_b64 exec, exec, s[72:73]
.LBB2_8298:                             ;   in Loop: Header=BB2_8093 Depth=3
	s_andn2_saveexec_b64 s[28:29], s[70:71]
	s_or_b64 exec, exec, s[28:29]
                                        ; implicit-def: $vgpr16
.LBB2_8299:                             ;   in Loop: Header=BB2_8093 Depth=3
	s_andn2_saveexec_b64 s[28:29], s[30:31]
	s_cbranch_execz .LBB2_8092
; %bb.8300:                             ;   in Loop: Header=BB2_8093 Depth=3
	v_or_b32_sdwa v12, v16, s39 dst_sel:DWORD dst_unused:UNUSED_PAD src0_sel:BYTE_3 src1_sel:DWORD
	v_cmp_eq_u64_e32 vcc, 0, v[50:51]
	v_cndmask_b32_e32 v13, v12, v13, vcc
	s_branch .LBB2_8092
.LBB2_8301:                             ;   in Loop: Header=BB2_3056 Depth=2
	s_or_b64 exec, exec, s[66:67]
.LBB2_8302:                             ;   in Loop: Header=BB2_3056 Depth=2
	s_or_b64 exec, exec, s[34:35]
	v_lshlrev_b32_e32 v0, 8, v3
	v_cmp_ne_u32_e32 vcc, v29, v0
	s_and_saveexec_b64 s[66:67], vcc
	s_cbranch_execz .LBB2_8358
; %bb.8303:                             ;   in Loop: Header=BB2_3056 Depth=2
	v_add_u32_e32 v2, v30, v2
	v_and_b32_e32 v2, 0xffffffc0, v2
	v_sub_u32_e32 v2, v30, v2
	v_lshlrev_b32_e32 v1, 6, v1
	v_sub_u32_e32 v1, v2, v1
	v_add_u32_e32 v1, v0, v1
	v_sub_u32_e32 v0, v29, v1
	v_cmp_lt_i32_e32 vcc, 0, v0
	s_and_b64 exec, exec, vcc
	s_cbranch_execz .LBB2_8358
; %bb.8304:                             ;   in Loop: Header=BB2_3056 Depth=2
	s_trap 2
	ds_read_b128 v[8:11], v0
	ds_read_b64 v[2:3], v0
	v_add_u32_e32 v1, v1, v7
	v_ashrrev_i32_e32 v6, 31, v1
	s_bitcmp1_b32 s82, 0
	s_waitcnt lgkmcnt(0)
	v_add_co_u32_e32 v4, vcc, v8, v1
	v_addc_co_u32_e32 v5, vcc, v9, v6, vcc
	v_add_co_u32_e32 v8, vcc, v10, v1
	v_addc_co_u32_e32 v9, vcc, v11, v6, vcc
	v_add_co_u32_e32 v10, vcc, v2, v1
	v_addc_co_u32_e32 v11, vcc, v3, v6, vcc
	s_mov_b64 s[68:69], 0
	s_cselect_b64 s[70:71], -1, 0
	s_branch .LBB2_8306
.LBB2_8305:                             ;   in Loop: Header=BB2_8306 Depth=3
	s_or_b64 exec, exec, s[28:29]
	v_accvgpr_read_b32 v1, a36
	flat_store_byte v[10:11], v2 glc slc
	v_add_co_u32_e32 v4, vcc, v4, v1
	v_accvgpr_read_b32 v2, a37
	v_addc_co_u32_e32 v5, vcc, v5, v2, vcc
	v_add_co_u32_e32 v8, vcc, v8, v1
	v_addc_co_u32_e32 v9, vcc, v9, v2, vcc
	v_sub_u32_e32 v0, v0, v41
	v_cmp_gt_i32_e32 vcc, 1, v0
	s_or_b64 s[68:69], vcc, s[68:69]
	v_add_co_u32_e32 v10, vcc, v10, v1
	v_addc_co_u32_e32 v11, vcc, v11, v2, vcc
	s_andn2_b64 exec, exec, s[68:69]
	s_cbranch_execz .LBB2_8358
.LBB2_8306:                             ;   Parent Loop BB2_47 Depth=1
                                        ;     Parent Loop BB2_3056 Depth=2
                                        ; =>    This Inner Loop Header: Depth=3
	flat_load_ubyte v3, v[4:5] glc slc
	flat_load_ubyte v1, v[8:9] glc slc
	v_mov_b32_e32 v2, -1
	v_mov_b32_e32 v6, 0x47600000
	s_and_b64 vcc, exec, s[70:71]
	s_waitcnt vmcnt(0) lgkmcnt(0)
	v_bfe_i32 v12, v3, 0, 8
	v_lshlrev_b32_e32 v7, 24, v1
	v_cmp_gt_i16_sdwa s[34:35], sext(v1), v2 src0_sel:BYTE_0 src1_sel:DWORD
	v_mov_b32_e32 v2, 0xc7600000
	v_cmp_ne_u16_e64 s[30:31], 0, v1
	v_and_b32_e32 v50, 0xffff, v1
	v_cmp_ne_u16_e64 s[28:29], s97, v1
	v_cndmask_b32_e64 v2, v2, v6, s[34:35]
	v_and_b32_e32 v6, 0xffff, v3
	v_cmp_ne_u16_e64 s[34:35], 0, v3
	v_and_b32_e32 v3, 0x80000000, v7
	s_cbranch_vccz .LBB2_8324
; %bb.8307:                             ;   in Loop: Header=BB2_8306 Depth=3
	v_mov_b32_e32 v7, 0
	v_mov_b32_e32 v13, 0
	s_and_saveexec_b64 s[72:73], s[34:35]
	s_cbranch_execz .LBB2_8315
; %bb.8308:                             ;   in Loop: Header=BB2_8306 Depth=3
	v_cmp_ne_u16_e32 vcc, s94, v12
	v_bfrev_b32_e32 v13, 1
	s_and_saveexec_b64 s[74:75], vcc
	s_cbranch_execz .LBB2_8314
; %bb.8309:                             ;   in Loop: Header=BB2_8306 Depth=3
	v_and_b32_e32 v13, 0x7c, v6
	v_and_b32_e32 v14, 3, v6
	v_cmp_ne_u32_e32 vcc, s95, v13
                                        ; implicit-def: $vgpr13
	s_and_saveexec_b64 s[76:77], vcc
	s_xor_b64 s[76:77], exec, s[76:77]
	s_cbranch_execz .LBB2_8311
; %bb.8310:                             ;   in Loop: Header=BB2_8306 Depth=3
	v_ffbh_u32_e32 v16, v14
	v_min_u32_e32 v19, 32, v16
	v_mov_b32_e32 v13, v51
	v_bfe_u32 v15, v6, 2, 5
	v_subrev_u32_e32 v16, 29, v19
	v_lshlrev_b64 v[16:17], v16, v[12:13]
	v_sub_u32_e32 v13, 30, v19
	v_cmp_eq_u32_e32 vcc, 0, v15
	v_cndmask_b32_e32 v13, v15, v13, vcc
	v_bfrev_b32_e32 v15, 28
	v_bfe_i32 v18, v12, 0, 16
	v_and_b32_e32 v16, 3, v16
	v_lshl_add_u32 v13, v13, 23, v15
	v_cndmask_b32_e32 v14, v14, v16, vcc
	v_and_or_b32 v13, v18, s96, v13
	v_lshl_or_b32 v13, v14, 21, v13
                                        ; implicit-def: $vgpr14
.LBB2_8311:                             ;   in Loop: Header=BB2_8306 Depth=3
	s_andn2_saveexec_b64 s[76:77], s[76:77]
; %bb.8312:                             ;   in Loop: Header=BB2_8306 Depth=3
	v_cmp_lt_i16_e32 vcc, -1, v12
	v_mov_b32_e32 v13, 0xc7600000
	v_mov_b32_e32 v15, 0x47600000
	v_cndmask_b32_e32 v13, v13, v15, vcc
	v_cmp_eq_u32_e32 vcc, 0, v14
	v_mov_b32_e32 v14, 0x7f800001
	v_cndmask_b32_e32 v13, v14, v13, vcc
; %bb.8313:                             ;   in Loop: Header=BB2_8306 Depth=3
	s_or_b64 exec, exec, s[76:77]
.LBB2_8314:                             ;   in Loop: Header=BB2_8306 Depth=3
	s_or_b64 exec, exec, s[74:75]
.LBB2_8315:                             ;   in Loop: Header=BB2_8306 Depth=3
	s_or_b64 exec, exec, s[72:73]
	s_and_saveexec_b64 s[72:73], s[30:31]
	s_cbranch_execz .LBB2_8323
; %bb.8316:                             ;   in Loop: Header=BB2_8306 Depth=3
	v_bfrev_b32_e32 v7, 1
	s_and_saveexec_b64 s[74:75], s[28:29]
	s_cbranch_execz .LBB2_8322
; %bb.8317:                             ;   in Loop: Header=BB2_8306 Depth=3
	v_mov_b32_e32 v7, 3
	v_and_b32_sdwa v14, sext(v1), v7 dst_sel:DWORD dst_unused:UNUSED_PAD src0_sel:BYTE_0 src1_sel:DWORD
	v_and_b32_sdwa v7, sext(v1), s95 dst_sel:DWORD dst_unused:UNUSED_PAD src0_sel:BYTE_0 src1_sel:DWORD
	v_cmp_ne_u32_e32 vcc, s95, v7
                                        ; implicit-def: $vgpr7
	s_and_saveexec_b64 s[76:77], vcc
	s_xor_b64 s[76:77], exec, s[76:77]
	s_cbranch_execz .LBB2_8319
; %bb.8318:                             ;   in Loop: Header=BB2_8306 Depth=3
	v_ffbh_u32_e32 v15, v14
	v_min_u32_e32 v15, 32, v15
	v_and_b32_sdwa v7, sext(v1), s93 dst_sel:DWORD dst_unused:UNUSED_PAD src0_sel:BYTE_0 src1_sel:DWORD
	v_subrev_u32_e32 v16, 29, v15
	v_bfe_u32 v7, v7, 2, 5
	v_lshlrev_b64 v[16:17], v16, v[50:51]
	v_and_b32_e32 v16, 3, v16
	v_cmp_eq_u32_e32 vcc, 0, v7
	v_sub_u32_e32 v15, 30, v15
	v_cndmask_b32_e32 v14, v14, v16, vcc
	v_cndmask_b32_e32 v7, v7, v15, vcc
	v_lshlrev_b32_e32 v14, 21, v14
	v_lshl_or_b32 v7, v7, 23, v14
	v_add_u32_e32 v7, 0x38000000, v7
	v_or_b32_e32 v7, v7, v3
                                        ; implicit-def: $vgpr14
.LBB2_8319:                             ;   in Loop: Header=BB2_8306 Depth=3
	s_andn2_saveexec_b64 s[76:77], s[76:77]
; %bb.8320:                             ;   in Loop: Header=BB2_8306 Depth=3
	v_cmp_eq_u32_e32 vcc, 0, v14
	v_mov_b32_e32 v7, 0x7f800001
	v_cndmask_b32_e32 v7, v7, v2, vcc
; %bb.8321:                             ;   in Loop: Header=BB2_8306 Depth=3
	s_or_b64 exec, exec, s[76:77]
.LBB2_8322:                             ;   in Loop: Header=BB2_8306 Depth=3
	s_or_b64 exec, exec, s[74:75]
.LBB2_8323:                             ;   in Loop: Header=BB2_8306 Depth=3
	s_or_b64 exec, exec, s[72:73]
	v_max_f32_e32 v7, v7, v7
	v_max_f32_e32 v13, v13, v13
	;; [unrolled: 1-line block ×3, first 2 shown]
	s_branch .LBB2_8342
.LBB2_8324:                             ;   in Loop: Header=BB2_8306 Depth=3
                                        ; implicit-def: $vgpr7
	s_cbranch_execz .LBB2_8342
; %bb.8325:                             ;   in Loop: Header=BB2_8306 Depth=3
	v_mov_b32_e32 v7, 0
	v_mov_b32_e32 v13, 0
	s_and_saveexec_b64 s[72:73], s[34:35]
	s_cbranch_execz .LBB2_8333
; %bb.8326:                             ;   in Loop: Header=BB2_8306 Depth=3
	v_cmp_ne_u16_e32 vcc, s94, v12
	v_bfrev_b32_e32 v13, 1
	s_and_saveexec_b64 s[34:35], vcc
	s_cbranch_execz .LBB2_8332
; %bb.8327:                             ;   in Loop: Header=BB2_8306 Depth=3
	v_and_b32_e32 v13, 0x7c, v6
	v_and_b32_e32 v14, 3, v6
	v_cmp_ne_u32_e32 vcc, s95, v13
                                        ; implicit-def: $vgpr13
	s_and_saveexec_b64 s[74:75], vcc
	s_xor_b64 s[74:75], exec, s[74:75]
	s_cbranch_execz .LBB2_8329
; %bb.8328:                             ;   in Loop: Header=BB2_8306 Depth=3
	v_ffbh_u32_e32 v16, v14
	v_min_u32_e32 v16, 32, v16
	v_mov_b32_e32 v13, v51
	v_subrev_u32_e32 v17, 29, v16
	v_bfe_u32 v6, v6, 2, 5
	v_bfe_i32 v15, v12, 0, 16
	v_lshlrev_b64 v[12:13], v17, v[12:13]
	v_sub_u32_e32 v13, 30, v16
	v_cmp_eq_u32_e32 vcc, 0, v6
	v_cndmask_b32_e32 v6, v6, v13, vcc
	v_bfrev_b32_e32 v13, 28
	v_and_b32_e32 v12, 3, v12
	v_lshl_add_u32 v6, v6, 23, v13
	v_cndmask_b32_e32 v12, v14, v12, vcc
	v_and_or_b32 v6, v15, s96, v6
	v_lshl_or_b32 v13, v12, 21, v6
                                        ; implicit-def: $vgpr14
                                        ; implicit-def: $vgpr12
.LBB2_8329:                             ;   in Loop: Header=BB2_8306 Depth=3
	s_andn2_saveexec_b64 s[74:75], s[74:75]
; %bb.8330:                             ;   in Loop: Header=BB2_8306 Depth=3
	v_cmp_lt_i16_e32 vcc, -1, v12
	v_mov_b32_e32 v6, 0xc7600000
	v_mov_b32_e32 v12, 0x47600000
	v_cndmask_b32_e32 v6, v6, v12, vcc
	v_cmp_eq_u32_e32 vcc, 0, v14
	v_mov_b32_e32 v12, 0x7f800001
	v_cndmask_b32_e32 v13, v12, v6, vcc
; %bb.8331:                             ;   in Loop: Header=BB2_8306 Depth=3
	s_or_b64 exec, exec, s[74:75]
.LBB2_8332:                             ;   in Loop: Header=BB2_8306 Depth=3
	s_or_b64 exec, exec, s[34:35]
.LBB2_8333:                             ;   in Loop: Header=BB2_8306 Depth=3
	s_or_b64 exec, exec, s[72:73]
	s_and_saveexec_b64 s[34:35], s[30:31]
	s_cbranch_execz .LBB2_8341
; %bb.8334:                             ;   in Loop: Header=BB2_8306 Depth=3
	v_bfrev_b32_e32 v7, 1
	s_and_saveexec_b64 s[30:31], s[28:29]
	s_cbranch_execz .LBB2_8340
; %bb.8335:                             ;   in Loop: Header=BB2_8306 Depth=3
	v_mov_b32_e32 v6, 3
	v_and_b32_sdwa v7, sext(v1), s95 dst_sel:DWORD dst_unused:UNUSED_PAD src0_sel:BYTE_0 src1_sel:DWORD
	v_and_b32_sdwa v6, sext(v1), v6 dst_sel:DWORD dst_unused:UNUSED_PAD src0_sel:BYTE_0 src1_sel:DWORD
	v_cmp_ne_u32_e32 vcc, s95, v7
                                        ; implicit-def: $vgpr7
	s_and_saveexec_b64 s[28:29], vcc
	s_xor_b64 s[28:29], exec, s[28:29]
	s_cbranch_execz .LBB2_8337
; %bb.8336:                             ;   in Loop: Header=BB2_8306 Depth=3
	v_ffbh_u32_e32 v2, v6
	v_min_u32_e32 v2, 32, v2
	v_and_b32_sdwa v1, sext(v1), s93 dst_sel:DWORD dst_unused:UNUSED_PAD src0_sel:BYTE_0 src1_sel:DWORD
	v_subrev_u32_e32 v7, 29, v2
	v_bfe_u32 v1, v1, 2, 5
	v_lshlrev_b64 v[14:15], v7, v[50:51]
	v_sub_u32_e32 v2, 30, v2
	v_and_b32_e32 v7, 3, v14
	v_cmp_eq_u32_e32 vcc, 0, v1
	v_cndmask_b32_e32 v1, v1, v2, vcc
	v_cndmask_b32_e32 v2, v6, v7, vcc
	v_lshlrev_b32_e32 v2, 21, v2
	v_lshl_or_b32 v1, v1, 23, v2
	v_add_u32_e32 v1, 0x38000000, v1
	v_or_b32_e32 v7, v1, v3
                                        ; implicit-def: $vgpr6
                                        ; implicit-def: $vgpr2
.LBB2_8337:                             ;   in Loop: Header=BB2_8306 Depth=3
	s_andn2_saveexec_b64 s[28:29], s[28:29]
; %bb.8338:                             ;   in Loop: Header=BB2_8306 Depth=3
	v_cmp_eq_u32_e32 vcc, 0, v6
	v_mov_b32_e32 v1, 0x7f800001
	v_cndmask_b32_e32 v7, v1, v2, vcc
; %bb.8339:                             ;   in Loop: Header=BB2_8306 Depth=3
	s_or_b64 exec, exec, s[28:29]
.LBB2_8340:                             ;   in Loop: Header=BB2_8306 Depth=3
	s_or_b64 exec, exec, s[30:31]
.LBB2_8341:                             ;   in Loop: Header=BB2_8306 Depth=3
	s_or_b64 exec, exec, s[34:35]
	v_max_f32_e32 v1, v7, v7
	v_max_f32_e32 v2, v13, v13
	v_min_f32_e32 v7, v2, v1
.LBB2_8342:                             ;   in Loop: Header=BB2_8306 Depth=3
	v_and_b32_sdwa v1, v7, s97 dst_sel:DWORD dst_unused:UNUSED_PAD src0_sel:BYTE_3 src1_sel:DWORD
	v_and_b32_e32 v12, 0x7f800000, v7
	v_mov_b32_e32 v13, v51
	v_and_b32_e32 v50, 0x7fffff, v7
	v_or_b32_e32 v2, 0x7b, v1
	v_cmp_ne_u64_e32 vcc, s[52:53], v[12:13]
	s_and_saveexec_b64 s[28:29], vcc
	s_xor_b64 s[30:31], exec, s[28:29]
	s_cbranch_execz .LBB2_8356
; %bb.8343:                             ;   in Loop: Header=BB2_8306 Depth=3
	v_and_b32_e32 v12, 0x7fffffff, v7
	v_mov_b32_e32 v13, v51
	v_cmp_gt_u64_e32 vcc, s[54:55], v[12:13]
	s_and_saveexec_b64 s[28:29], vcc
	s_xor_b64 s[34:35], exec, s[28:29]
	s_cbranch_execz .LBB2_8355
; %bb.8344:                             ;   in Loop: Header=BB2_8306 Depth=3
	v_cmp_ne_u32_e32 vcc, 0, v7
	v_mov_b32_e32 v2, 0
	s_and_saveexec_b64 s[72:73], vcc
	s_cbranch_execz .LBB2_8354
; %bb.8345:                             ;   in Loop: Header=BB2_8306 Depth=3
	v_bfe_u32 v2, v7, 23, 8
	v_sub_u32_e32 v6, 0x71, v2
	v_cmp_gt_u32_e32 vcc, s38, v2
	v_add_u32_e32 v3, 0xffffff81, v2
	v_cndmask_b32_e32 v6, 0, v6, vcc
	v_cmp_eq_u32_e32 vcc, 0, v2
	v_mov_b32_e32 v2, 0xffffff82
	v_cndmask_b32_e32 v18, v3, v2, vcc
	v_mov_b32_e32 v2, 0x70
	v_cndmask_b32_e32 v6, v6, v2, vcc
	v_add_u32_e32 v2, 21, v6
	v_or_b32_e32 v7, 0x800000, v50
	v_lshlrev_b64 v[2:3], v2, -1
	v_cndmask_b32_e32 v50, v7, v50, vcc
	v_not_b32_e32 v2, v2
	v_not_b32_e32 v3, v3
	v_and_b32_e32 v12, v50, v2
	v_add_u32_e32 v2, 20, v6
	v_lshrrev_b64 v[16:17], v6, v[50:51]
	v_and_b32_e32 v13, 0, v3
	v_lshlrev_b64 v[14:15], v2, 1
	v_bfe_u32 v3, v16, 21, 1
	v_add_u32_e32 v3, -1, v3
	v_cmp_eq_u64_e32 vcc, v[12:13], v[14:15]
	v_cndmask_b32_e32 v3, 0, v3, vcc
	v_add_u32_e32 v3, v3, v16
	v_lshrrev_b32_e32 v2, 23, v16
	v_and_b32_e32 v3, 0x1fffff, v3
	v_add3_u32 v6, v6, v18, v2
	v_add_co_u32_e32 v12, vcc, v3, v16
	v_add_u32_e32 v2, 14, v6
	v_addc_co_u32_e32 v13, vcc, 0, v17, vcc
	v_cmp_ne_u32_e32 vcc, 0, v2
                                        ; implicit-def: $vgpr3
	s_and_saveexec_b64 s[28:29], vcc
	s_xor_b64 s[28:29], exec, s[28:29]
; %bb.8346:                             ;   in Loop: Header=BB2_8306 Depth=3
	v_add_u32_e32 v3, 15, v6
	v_cmp_lt_u64_e32 vcc, s[56:57], v[12:13]
	v_cndmask_b32_e32 v3, v2, v3, vcc
	v_cndmask_b32_e64 v2, 0, 1, vcc
	v_lshrrev_b64 v[12:13], v2, v[12:13]
; %bb.8347:                             ;   in Loop: Header=BB2_8306 Depth=3
	s_andn2_saveexec_b64 s[28:29], s[28:29]
; %bb.8348:                             ;   in Loop: Header=BB2_8306 Depth=3
	v_bfe_u32 v3, v12, 23, 1
; %bb.8349:                             ;   in Loop: Header=BB2_8306 Depth=3
	s_or_b64 exec, exec, s[28:29]
	v_lshrrev_b64 v[6:7], 21, v[12:13]
	v_cmp_gt_i32_e32 vcc, 32, v3
	v_cndmask_b32_e32 v13, 0, v7, vcc
	v_cndmask_b32_e32 v12, 3, v6, vcc
	v_cmp_ne_u32_e32 vcc, 0, v3
	v_cmp_ne_u64_e64 s[28:29], 0, v[12:13]
	s_or_b64 s[28:29], vcc, s[28:29]
                                        ; implicit-def: $vgpr2
	s_and_saveexec_b64 vcc, s[28:29]
	s_xor_b64 s[28:29], exec, vcc
; %bb.8350:                             ;   in Loop: Header=BB2_8306 Depth=3
	v_min_i32_e32 v2, 31, v3
	v_lshl_or_b32 v1, v2, 2, v1
	v_and_or_b32 v2, v12, 3, v1
                                        ; implicit-def: $vgpr1
; %bb.8351:                             ;   in Loop: Header=BB2_8306 Depth=3
	s_andn2_saveexec_b64 s[28:29], s[28:29]
; %bb.8352:                             ;   in Loop: Header=BB2_8306 Depth=3
	v_mov_b32_e32 v2, v1
; %bb.8353:                             ;   in Loop: Header=BB2_8306 Depth=3
	s_or_b64 exec, exec, s[28:29]
.LBB2_8354:                             ;   in Loop: Header=BB2_8306 Depth=3
	s_or_b64 exec, exec, s[72:73]
.LBB2_8355:                             ;   in Loop: Header=BB2_8306 Depth=3
	s_andn2_saveexec_b64 s[28:29], s[34:35]
	s_or_b64 exec, exec, s[28:29]
                                        ; implicit-def: $vgpr7
.LBB2_8356:                             ;   in Loop: Header=BB2_8306 Depth=3
	s_andn2_saveexec_b64 s[28:29], s[30:31]
	s_cbranch_execz .LBB2_8305
; %bb.8357:                             ;   in Loop: Header=BB2_8306 Depth=3
	v_or_b32_sdwa v1, v7, s39 dst_sel:DWORD dst_unused:UNUSED_PAD src0_sel:BYTE_3 src1_sel:DWORD
	v_cmp_eq_u64_e32 vcc, 0, v[50:51]
	v_cndmask_b32_e32 v2, v1, v2, vcc
	s_branch .LBB2_8305
.LBB2_8358:                             ;   in Loop: Header=BB2_3056 Depth=2
	s_or_b64 exec, exec, s[66:67]
	s_or_b64 exec, exec, s[64:65]
	s_and_saveexec_b64 s[28:29], s[10:11]
	s_cbranch_execz .LBB2_4688
; %bb.8952:                             ;   in Loop: Header=BB2_3056 Depth=2
	s_getpc_b64 s[98:99]
.Lpost_getpc5:
	s_add_u32 s98, s98, (.LBB2_3130-.Lpost_getpc5)&4294967295
	s_addc_u32 s99, s99, (.LBB2_3130-.Lpost_getpc5)>>32
	s_setpc_b64 s[98:99]
.LBB2_8359:                             ;   in Loop: Header=BB2_47 Depth=1
	s_or_b64 exec, exec, s[58:59]
	v_cmp_gt_i32_e32 vcc, 2, v0
	s_and_saveexec_b64 s[30:31], vcc
	s_cbranch_execz .LBB2_8433
.LBB2_8360:                             ;   in Loop: Header=BB2_47 Depth=1
	v_cmp_eq_u32_e64 s[28:29], 0, v0
	s_mov_b64 s[34:35], 0
	s_branch .LBB2_8362
.LBB2_8361:                             ;   in Loop: Header=BB2_8362 Depth=2
	s_or_b64 exec, exec, s[28:29]
	v_accvgpr_read_b32 v0, a56
	v_add_u32_e32 v47, v0, v47
	s_mov_b64 s[28:29], 0
	s_andn2_b64 exec, exec, s[34:35]
	s_cbranch_execz .LBB2_8434
.LBB2_8362:                             ;   Parent Loop BB2_47 Depth=1
                                        ; =>  This Loop Header: Depth=2
                                        ;       Child Loop BB2_8368 Depth 3
                                        ;       Child Loop BB2_8398 Depth 3
                                        ;       Child Loop BB2_8417 Depth 3
	v_and_b32_e32 v0, 12, v60
	s_mov_b64 s[60:61], -1
	v_cmp_ne_u32_e32 vcc, 0, v0
	s_and_saveexec_b64 s[58:59], vcc
	s_cbranch_execz .LBB2_8374
; %bb.8363:                             ;   in Loop: Header=BB2_8362 Depth=2
	v_and_b32_e32 v4, 8, v60
	v_add_co_u32_e32 v0, vcc, v48, v4
	v_addc_co_u32_e32 v1, vcc, 0, v49, vcc
	v_add_co_u32_e32 v8, vcc, 2, v32
	v_addc_co_u32_e32 v9, vcc, 0, v33, vcc
	v_cmp_lt_u64_e32 vcc, v[0:1], v[8:9]
	v_mov_b32_e32 v0, 1
	s_and_saveexec_b64 s[60:61], vcc
	s_cbranch_execz .LBB2_8373
; %bb.8364:                             ;   in Loop: Header=BB2_8362 Depth=2
	s_mov_b64 s[62:63], 0
	v_mov_b32_e32 v0, 0
                                        ; implicit-def: $sgpr64_sgpr65
	s_branch .LBB2_8368
.LBB2_8365:                             ;   in Loop: Header=BB2_8368 Depth=3
	s_or_b64 exec, exec, s[72:73]
	v_mov_b32_e32 v1, 0
	s_orn2_b64 s[70:71], s[70:71], exec
.LBB2_8366:                             ;   in Loop: Header=BB2_8368 Depth=3
	s_or_b64 exec, exec, s[68:69]
	s_andn2_b64 vcc, s[64:65], exec
	s_and_b64 s[64:65], s[70:71], exec
	s_or_b64 s[64:65], vcc, s[64:65]
	v_mov_b32_e32 v0, v1
.LBB2_8367:                             ;   in Loop: Header=BB2_8368 Depth=3
	s_or_b64 exec, exec, s[66:67]
	s_waitcnt vmcnt(0) lgkmcnt(0)
	v_add_co_u32_e32 v2, vcc, v48, v4
	v_addc_co_u32_e32 v3, vcc, 0, v49, vcc
	v_cmp_ge_u64_e32 vcc, v[2:3], v[8:9]
	s_xor_b64 s[66:67], s[64:65], -1
	s_or_b64 vcc, s[66:67], vcc
	s_and_b64 vcc, exec, vcc
	s_or_b64 s[62:63], vcc, s[62:63]
	s_andn2_b64 exec, exec, s[62:63]
	s_cbranch_execz .LBB2_8372
.LBB2_8368:                             ;   Parent Loop BB2_47 Depth=1
                                        ;     Parent Loop BB2_8362 Depth=2
                                        ; =>    This Inner Loop Header: Depth=3
	s_sleep 1
	flat_load_dwordx2 v[48:49], v[34:35] glc
	v_and_b32_e32 v1, 64, v60
	v_cmp_eq_u32_e32 vcc, 0, v1
	s_andn2_b64 s[64:65], s[64:65], exec
	s_and_saveexec_b64 s[66:67], vcc
	s_cbranch_execz .LBB2_8367
; %bb.8369:                             ;   in Loop: Header=BB2_8368 Depth=3
	v_add_u32_e32 v1, 1, v0
	v_cmp_lt_i32_e32 vcc, s91, v0
	s_mov_b64 s[70:71], -1
	s_and_saveexec_b64 s[68:69], vcc
	s_cbranch_execz .LBB2_8366
; %bb.8370:                             ;   in Loop: Header=BB2_8368 Depth=3
	s_trap 2
	ds_read_b64 v[0:1], v0
	s_waitcnt vmcnt(0) lgkmcnt(0)
	flat_load_dword v0, v[0:1] glc
	s_waitcnt vmcnt(0) lgkmcnt(0)
	buffer_invl2
	buffer_wbinvl1_vol
	v_cmp_ne_u32_e32 vcc, 0, v0
	s_and_saveexec_b64 s[72:73], vcc
	s_cbranch_execz .LBB2_8365
; %bb.8371:                             ;   in Loop: Header=BB2_8368 Depth=3
	v_or_b32_e32 v60, 64, v60
	s_xor_b64 s[70:71], exec, -1
	ds_write_b32 v0, v0
	s_trap 2
	s_branch .LBB2_8365
.LBB2_8372:                             ;   in Loop: Header=BB2_8362 Depth=2
	s_or_b64 exec, exec, s[62:63]
	v_and_b32_e32 v0, 12, v60
.LBB2_8373:                             ;   in Loop: Header=BB2_8362 Depth=2
	s_or_b64 exec, exec, s[60:61]
	v_cmp_eq_u32_e32 vcc, 0, v0
	s_orn2_b64 s[60:61], vcc, exec
	;;#ASMSTART
	s_wakeup
	;;#ASMEND
.LBB2_8374:                             ;   in Loop: Header=BB2_8362 Depth=2
	s_or_b64 exec, exec, s[58:59]
	s_xor_b64 s[28:29], s[28:29], -1
	v_mov_b32_e32 v0, v47
	v_accvgpr_read_b32 v1, a57
	s_and_b64 s[28:29], exec, s[28:29]
	v_sub_u32_e32 v0, v1, v0
	v_accvgpr_read_b32 v2, a56
	s_or_b64 s[34:35], s[28:29], s[34:35]
	v_min_i32_e32 v2, v2, v0
	s_xor_b64 s[28:29], s[60:61], -1
	v_accvgpr_write_b32 a56, v2
	s_and_saveexec_b64 s[58:59], s[28:29]
	s_cbranch_execz .LBB2_8390
; %bb.8375:                             ;   in Loop: Header=BB2_8362 Depth=2
	v_and_b32_e32 v0, 0x108, v60
	v_cmp_ne_u32_e32 vcc, s92, v0
	v_and_b32_e32 v4, 7, v32
	s_and_saveexec_b64 s[28:29], vcc
	s_xor_b64 s[28:29], exec, s[28:29]
	s_andn2_saveexec_b64 s[28:29], s[28:29]
	s_cbranch_execz .LBB2_8377
; %bb.8376:                             ;   in Loop: Header=BB2_8362 Depth=2
	v_accvgpr_read_b32 v0, a12
	v_accvgpr_read_b32 v1, a13
	;; [unrolled: 1-line block ×3, first 2 shown]
	v_mad_u64_u32 v[0:1], vcc, v4, 24, v[0:1]
	v_ashrrev_i32_e32 v3, 31, v2
	flat_store_dwordx2 v[0:1], v[2:3] offset:8
.LBB2_8377:                             ;   in Loop: Header=BB2_8362 Depth=2
	s_or_b64 exec, exec, s[28:29]
	v_and_b32_e32 v0, 0x100, v60
	v_cmp_ne_u32_e32 vcc, 0, v0
	s_mov_b64 s[28:29], -1
                                        ; implicit-def: $vgpr8_vgpr9
	s_and_saveexec_b64 s[60:61], vcc
	s_cbranch_execz .LBB2_8381
; %bb.8378:                             ;   in Loop: Header=BB2_8362 Depth=2
	v_accvgpr_read_b32 v0, a12
	v_accvgpr_read_b32 v1, a13
	v_mad_u64_u32 v[10:11], s[28:29], v4, 24, v[0:1]
	v_mov_b32_e32 v0, v11
	v_mad_u64_u32 v[0:1], s[28:29], v51, 24, v[0:1]
	v_mov_b32_e32 v11, v0
	flat_load_dword v0, v[10:11]
                                        ; implicit-def: $vgpr8_vgpr9
	s_waitcnt vmcnt(0) lgkmcnt(0)
	v_cmp_ne_u32_e32 vcc, 1, v0
	v_cmp_eq_u32_e64 s[28:29], 1, v0
	s_and_saveexec_b64 s[62:63], s[28:29]
	s_cbranch_execz .LBB2_8380
; %bb.8379:                             ;   in Loop: Header=BB2_8362 Depth=2
	flat_load_dword v8, v[10:11] offset:4 glc
	s_waitcnt vmcnt(0) lgkmcnt(0)
	v_ashrrev_i32_e32 v9, 31, v8
.LBB2_8380:                             ;   in Loop: Header=BB2_8362 Depth=2
	s_or_b64 exec, exec, s[62:63]
	s_orn2_b64 s[28:29], vcc, exec
.LBB2_8381:                             ;   in Loop: Header=BB2_8362 Depth=2
	s_or_b64 exec, exec, s[60:61]
	s_and_saveexec_b64 vcc, s[28:29]
; %bb.8382:                             ;   in Loop: Header=BB2_8362 Depth=2
	v_accvgpr_read_b32 v2, a16
	v_accvgpr_read_b32 v1, a17
	v_mul_lo_u32 v0, v51, v2
	v_mul_lo_u32 v1, v4, v1
	v_mad_u64_u32 v[8:9], s[28:29], v4, v2, 0
	v_add3_u32 v9, v9, v1, v0
; %bb.8383:                             ;   in Loop: Header=BB2_8362 Depth=2
	s_or_b64 exec, exec, vcc
	v_accvgpr_read_b32 v0, a18
	v_accvgpr_read_b32 v1, a19
	v_add_co_u32_e32 v0, vcc, v0, v8
	v_addc_co_u32_e32 v1, vcc, v1, v9, vcc
	s_trap 2
	ds_write_b64 v0, v[0:1]
	v_and_b32_e32 v0, 0x2000, v60
	v_cmp_ne_u32_e32 vcc, 0, v0
	s_and_saveexec_b64 s[28:29], vcc
	s_cbranch_execz .LBB2_8385
; %bb.8384:                             ;   in Loop: Header=BB2_8362 Depth=2
	ds_read_b64 v[0:1], v0 offset:584
	s_waitcnt lgkmcnt(0)
	v_add_co_u32_e32 v0, vcc, 1, v0
	v_addc_co_u32_e32 v1, vcc, 0, v1, vcc
	ds_write_b64 v0, v[0:1] offset:584
.LBB2_8385:                             ;   in Loop: Header=BB2_8362 Depth=2
	s_or_b64 exec, exec, s[28:29]
	v_add_co_u32_e32 v32, vcc, 2, v32
	v_addc_co_u32_e32 v33, vcc, 0, v33, vcc
	s_or_b64 exec, exec, s[58:59]
	s_and_saveexec_b64 s[28:29], s[10:11]
	s_cbranch_execnz .LBB2_8391
.LBB2_8386:                             ;   in Loop: Header=BB2_8362 Depth=2
	s_or_b64 exec, exec, s[28:29]
                                        ; implicit-def: $vgpr0
	s_and_saveexec_b64 s[28:29], s[24:25]
	s_xor_b64 s[28:29], exec, s[28:29]
	s_cbranch_execz .LBB2_8409
.LBB2_8387:                             ;   in Loop: Header=BB2_8362 Depth=2
	s_trap 2
	ds_read_b32 v1, v0
	v_accvgpr_read_b32 v0, a56
	v_cmp_lt_i32_e32 vcc, 0, v0
	v_and_b32_e32 v2, 16, v60
	v_and_b32_e32 v0, 16, v60
	s_waitcnt lgkmcnt(0)
	v_readfirstlane_b32 s8, v1
	s_cmp_eq_u32 s8, 0
	s_cselect_b64 s[58:59], -1, 0
	s_and_b64 s[58:59], vcc, s[58:59]
	v_cmp_ne_u32_e32 vcc, 0, v2
	s_and_b64 s[58:59], vcc, s[58:59]
	s_and_saveexec_b64 vcc, s[58:59]
	s_cbranch_execz .LBB2_8389
; %bb.8388:                             ;   in Loop: Header=BB2_8362 Depth=2
	v_mov_b32_e32 v0, 1
	s_waitcnt vmcnt(0)
	buffer_wbinvl1_vol
.LBB2_8389:                             ;   in Loop: Header=BB2_8362 Depth=2
	s_or_b64 exec, exec, vcc
	s_andn2_saveexec_b64 s[28:29], s[28:29]
	s_cbranch_execz .LBB2_8428
	s_branch .LBB2_8410
.LBB2_8390:                             ;   in Loop: Header=BB2_8362 Depth=2
	s_or_b64 exec, exec, s[58:59]
	s_and_saveexec_b64 s[28:29], s[10:11]
	s_cbranch_execz .LBB2_8386
.LBB2_8391:                             ;   in Loop: Header=BB2_8362 Depth=2
	s_and_saveexec_b64 vcc, s[44:45]
	s_xor_b64 s[58:59], exec, vcc
	s_cbranch_execz .LBB2_8406
; %bb.8392:                             ;   in Loop: Header=BB2_8362 Depth=2
	s_and_saveexec_b64 s[60:61], s[16:17]
	s_cbranch_execz .LBB2_8405
; %bb.8393:                             ;   in Loop: Header=BB2_8362 Depth=2
	s_mov_b64 s[64:65], exec
	v_mbcnt_lo_u32_b32 v0, s64, 0
	v_mbcnt_hi_u32_b32 v0, s65, v0
	v_cmp_eq_u32_e32 vcc, 0, v0
	s_waitcnt vmcnt(0) lgkmcnt(0)
	buffer_wbinvl1_vol
	s_and_saveexec_b64 s[62:63], vcc
	s_cbranch_execz .LBB2_8395
; %bb.8394:                             ;   in Loop: Header=BB2_8362 Depth=2
	s_bcnt1_i32_b64 s8, s[64:65]
	v_mov_b32_e32 v50, s8
	ds_add_u64 v0, v[50:51]
	s_trap 2
.LBB2_8395:                             ;   in Loop: Header=BB2_8362 Depth=2
	s_or_b64 exec, exec, s[62:63]
	s_trap 2
	ds_read_b64 v[0:1], v0
	v_accvgpr_read_b32 v2, a14
	v_accvgpr_read_b32 v3, a15
	v_add_co_u32_e32 v2, vcc, v2, v44
	v_addc_co_u32_e32 v3, vcc, 0, v3, vcc
	v_accvgpr_write_b32 a15, v3
	v_accvgpr_write_b32 a14, v2
	s_waitcnt lgkmcnt(0)
	v_cmp_lt_u64_e32 vcc, v[0:1], v[2:3]
	s_and_saveexec_b64 s[62:63], vcc
	s_cbranch_execz .LBB2_8404
; %bb.8396:                             ;   in Loop: Header=BB2_8362 Depth=2
	s_mov_b32 s8, 0
	s_mov_b64 s[64:65], 0
                                        ; implicit-def: $sgpr66_sgpr67
                                        ; implicit-def: $sgpr68_sgpr69
	s_branch .LBB2_8398
.LBB2_8397:                             ;   in Loop: Header=BB2_8398 Depth=3
	s_or_b64 exec, exec, s[72:73]
	s_and_b64 vcc, exec, vcc
	s_or_b64 s[64:65], vcc, s[64:65]
	s_andn2_b64 vcc, s[66:67], exec
	s_and_b64 s[46:47], s[68:69], exec
	s_or_b64 s[66:67], vcc, s[46:47]
	s_andn2_b64 exec, exec, s[64:65]
	s_cbranch_execz .LBB2_8402
.LBB2_8398:                             ;   Parent Loop BB2_47 Depth=1
                                        ;     Parent Loop BB2_8362 Depth=2
                                        ; =>    This Inner Loop Header: Depth=3
	s_add_i32 s8, s8, 1
	s_cmpk_lg_i32 s8, 0x2710
	s_cselect_b64 s[70:71], -1, 0
	s_and_b64 vcc, exec, s[70:71]
                                        ; implicit-def: $sgpr72_sgpr73
	s_cbranch_vccnz .LBB2_8400
; %bb.8399:                             ;   in Loop: Header=BB2_8398 Depth=3
	s_trap 2
	ds_read_b64 v[0:1], v0
	s_andn2_b64 s[70:71], s[70:71], exec
	s_mov_b32 s8, 0
	s_mov_b64 s[72:73], -1
	s_waitcnt lgkmcnt(0)
	flat_load_dword v0, v[0:1] glc
	s_waitcnt vmcnt(0) lgkmcnt(0)
	buffer_invl2
	buffer_wbinvl1_vol
	v_cmp_eq_u32_e32 vcc, 0, v0
	s_and_b64 vcc, vcc, exec
	s_or_b64 s[70:71], s[70:71], vcc
.LBB2_8400:                             ;   in Loop: Header=BB2_8398 Depth=3
	s_andn2_b64 s[68:69], s[68:69], exec
	s_and_b64 s[72:73], s[72:73], exec
	s_mov_b64 vcc, -1
	s_or_b64 s[68:69], s[68:69], s[72:73]
	s_and_saveexec_b64 s[72:73], s[70:71]
	s_cbranch_execz .LBB2_8397
; %bb.8401:                             ;   in Loop: Header=BB2_8398 Depth=3
	s_sleep 1
	s_trap 2
	ds_read_b64 v[0:1], v0
	v_accvgpr_read_b32 v2, a14
	v_accvgpr_read_b32 v3, a15
	s_andn2_b64 s[68:69], s[68:69], exec
	s_waitcnt lgkmcnt(0)
	v_cmp_ge_u64_e32 vcc, v[0:1], v[2:3]
	s_orn2_b64 vcc, vcc, exec
	s_branch .LBB2_8397
.LBB2_8402:                             ;   in Loop: Header=BB2_8362 Depth=2
	s_or_b64 exec, exec, s[64:65]
	s_and_saveexec_b64 vcc, s[66:67]
	s_xor_b64 vcc, exec, vcc
	s_cbranch_execz .LBB2_8404
; %bb.8403:                             ;   in Loop: Header=BB2_8362 Depth=2
	v_mov_b32_e32 v0, 1
	ds_write_b32 v0, v0
	s_trap 2
.LBB2_8404:                             ;   in Loop: Header=BB2_8362 Depth=2
	s_or_b64 exec, exec, s[62:63]
	;;#ASMSTART
	s_wakeup
	;;#ASMEND
.LBB2_8405:                             ;   in Loop: Header=BB2_8362 Depth=2
	s_or_b64 exec, exec, s[60:61]
.LBB2_8406:                             ;   in Loop: Header=BB2_8362 Depth=2
	s_andn2_saveexec_b64 vcc, s[58:59]
	s_cbranch_execz .LBB2_8408
; %bb.8407:                             ;   in Loop: Header=BB2_8362 Depth=2
	s_waitcnt vmcnt(0) lgkmcnt(0)
	buffer_wbinvl1_vol
	s_barrier
.LBB2_8408:                             ;   in Loop: Header=BB2_8362 Depth=2
	s_or_b64 exec, exec, vcc
	s_or_b64 exec, exec, s[28:29]
                                        ; implicit-def: $vgpr0
	s_and_saveexec_b64 s[28:29], s[24:25]
	s_xor_b64 s[28:29], exec, s[28:29]
	s_cbranch_execnz .LBB2_8387
.LBB2_8409:                             ;   in Loop: Header=BB2_8362 Depth=2
	s_andn2_saveexec_b64 s[28:29], s[28:29]
	s_cbranch_execz .LBB2_8428
.LBB2_8410:                             ;   in Loop: Header=BB2_8362 Depth=2
	s_and_saveexec_b64 vcc, s[44:45]
	s_xor_b64 s[58:59], exec, vcc
	s_cbranch_execz .LBB2_8425
; %bb.8411:                             ;   in Loop: Header=BB2_8362 Depth=2
	s_and_saveexec_b64 s[60:61], s[16:17]
	s_cbranch_execz .LBB2_8424
; %bb.8412:                             ;   in Loop: Header=BB2_8362 Depth=2
	s_mov_b64 s[64:65], exec
	v_mbcnt_lo_u32_b32 v0, s64, 0
	v_mbcnt_hi_u32_b32 v0, s65, v0
	v_cmp_eq_u32_e32 vcc, 0, v0
	;;#ASMSTART
	s_waitcnt lgkmcnt(0) vmcnt(0)
	;;#ASMEND
	s_and_saveexec_b64 s[62:63], vcc
	s_cbranch_execz .LBB2_8414
; %bb.8413:                             ;   in Loop: Header=BB2_8362 Depth=2
	s_bcnt1_i32_b64 s8, s[64:65]
	v_mov_b32_e32 v50, s8
	ds_add_u64 v0, v[50:51]
	s_trap 2
.LBB2_8414:                             ;   in Loop: Header=BB2_8362 Depth=2
	s_or_b64 exec, exec, s[62:63]
	s_trap 2
	ds_read_b64 v[0:1], v0
	v_accvgpr_read_b32 v2, a14
	v_accvgpr_read_b32 v3, a15
	v_add_co_u32_e32 v2, vcc, v2, v44
	v_addc_co_u32_e32 v3, vcc, 0, v3, vcc
	v_accvgpr_write_b32 a15, v3
	v_accvgpr_write_b32 a14, v2
	s_waitcnt lgkmcnt(0)
	v_cmp_lt_u64_e32 vcc, v[0:1], v[2:3]
	s_and_saveexec_b64 s[62:63], vcc
	s_cbranch_execz .LBB2_8423
; %bb.8415:                             ;   in Loop: Header=BB2_8362 Depth=2
	s_mov_b32 s8, 0
	s_mov_b64 s[64:65], 0
                                        ; implicit-def: $sgpr66_sgpr67
                                        ; implicit-def: $sgpr68_sgpr69
	s_branch .LBB2_8417
.LBB2_8416:                             ;   in Loop: Header=BB2_8417 Depth=3
	s_or_b64 exec, exec, s[72:73]
	s_and_b64 vcc, exec, vcc
	s_or_b64 s[64:65], vcc, s[64:65]
	s_andn2_b64 vcc, s[66:67], exec
	s_and_b64 s[46:47], s[68:69], exec
	s_or_b64 s[66:67], vcc, s[46:47]
	s_andn2_b64 exec, exec, s[64:65]
	s_cbranch_execz .LBB2_8421
.LBB2_8417:                             ;   Parent Loop BB2_47 Depth=1
                                        ;     Parent Loop BB2_8362 Depth=2
                                        ; =>    This Inner Loop Header: Depth=3
	s_add_i32 s8, s8, 1
	s_cmpk_lg_i32 s8, 0x2710
	s_cselect_b64 s[70:71], -1, 0
	s_and_b64 vcc, exec, s[70:71]
                                        ; implicit-def: $sgpr72_sgpr73
	s_cbranch_vccnz .LBB2_8419
; %bb.8418:                             ;   in Loop: Header=BB2_8417 Depth=3
	s_trap 2
	ds_read_b64 v[0:1], v0
	s_andn2_b64 s[70:71], s[70:71], exec
	s_mov_b32 s8, 0
	s_mov_b64 s[72:73], -1
	s_waitcnt vmcnt(0) lgkmcnt(0)
	flat_load_dword v0, v[0:1] glc
	s_waitcnt vmcnt(0) lgkmcnt(0)
	buffer_invl2
	buffer_wbinvl1_vol
	v_cmp_eq_u32_e32 vcc, 0, v0
	s_and_b64 vcc, vcc, exec
	s_or_b64 s[70:71], s[70:71], vcc
.LBB2_8419:                             ;   in Loop: Header=BB2_8417 Depth=3
	s_andn2_b64 s[68:69], s[68:69], exec
	s_and_b64 s[72:73], s[72:73], exec
	s_mov_b64 vcc, -1
	s_or_b64 s[68:69], s[68:69], s[72:73]
	s_and_saveexec_b64 s[72:73], s[70:71]
	s_cbranch_execz .LBB2_8416
; %bb.8420:                             ;   in Loop: Header=BB2_8417 Depth=3
	s_sleep 1
	s_trap 2
	ds_read_b64 v[0:1], v0
	v_accvgpr_read_b32 v2, a14
	v_accvgpr_read_b32 v3, a15
	s_andn2_b64 s[68:69], s[68:69], exec
	s_waitcnt lgkmcnt(0)
	v_cmp_ge_u64_e32 vcc, v[0:1], v[2:3]
	s_orn2_b64 vcc, vcc, exec
	s_branch .LBB2_8416
.LBB2_8421:                             ;   in Loop: Header=BB2_8362 Depth=2
	s_or_b64 exec, exec, s[64:65]
	s_and_saveexec_b64 vcc, s[66:67]
	s_xor_b64 vcc, exec, vcc
	s_cbranch_execz .LBB2_8423
; %bb.8422:                             ;   in Loop: Header=BB2_8362 Depth=2
	v_mov_b32_e32 v0, 1
	ds_write_b32 v0, v0
	s_trap 2
.LBB2_8423:                             ;   in Loop: Header=BB2_8362 Depth=2
	s_or_b64 exec, exec, s[62:63]
	;;#ASMSTART
	s_wakeup
	;;#ASMEND
.LBB2_8424:                             ;   in Loop: Header=BB2_8362 Depth=2
	s_or_b64 exec, exec, s[60:61]
.LBB2_8425:                             ;   in Loop: Header=BB2_8362 Depth=2
	s_andn2_saveexec_b64 vcc, s[58:59]
	s_cbranch_execz .LBB2_8427
; %bb.8426:                             ;   in Loop: Header=BB2_8362 Depth=2
	;;#ASMSTART
	s_waitcnt lgkmcnt(0) vmcnt(0)
	;;#ASMEND
	s_barrier
.LBB2_8427:                             ;   in Loop: Header=BB2_8362 Depth=2
	s_or_b64 exec, exec, vcc
	v_and_b32_e32 v0, 16, v60
.LBB2_8428:                             ;   in Loop: Header=BB2_8362 Depth=2
	s_or_b64 exec, exec, s[28:29]
	v_cmp_ne_u32_e32 vcc, 0, v0
	s_xor_b64 s[28:29], s[12:13], -1
	s_and_b64 vcc, vcc, s[28:29]
	s_and_saveexec_b64 s[28:29], vcc
	s_cbranch_execz .LBB2_8430
; %bb.8429:                             ;   in Loop: Header=BB2_8362 Depth=2
	v_accvgpr_read_b32 v0, a20
	v_accvgpr_read_b32 v1, a21
	v_mov_b32_e32 v2, 1
	flat_store_dword v[0:1], v2
.LBB2_8430:                             ;   in Loop: Header=BB2_8362 Depth=2
	s_or_b64 exec, exec, s[28:29]
	v_and_b32_e32 v0, 48, v60
	v_cmp_ne_u32_e32 vcc, 0, v0
	s_and_saveexec_b64 s[28:29], vcc
	s_cbranch_execz .LBB2_8361
; %bb.8431:                             ;   in Loop: Header=BB2_8362 Depth=2
	v_add_co_u32_e32 v32, vcc, 2, v32
	v_addc_co_u32_e32 v33, vcc, 0, v33, vcc
	flat_store_dwordx2 v[34:35], v[32:33]
	s_branch .LBB2_8361
.LBB2_8432:                             ;   in Loop: Header=BB2_47 Depth=1
	s_or_b64 exec, exec, s[60:61]
	s_or_b64 exec, exec, s[58:59]
	v_cmp_gt_i32_e32 vcc, 2, v0
	s_and_saveexec_b64 s[30:31], vcc
	s_cbranch_execnz .LBB2_8360
.LBB2_8433:                             ;   in Loop: Header=BB2_47 Depth=1
	s_or_b64 exec, exec, s[30:31]
	s_and_b64 vcc, exec, s[26:27]
	s_cbranch_vccz .LBB2_8435
	s_branch .LBB2_8693
.LBB2_8434:                             ;   in Loop: Header=BB2_47 Depth=1
	s_or_b64 exec, exec, s[34:35]
	s_or_b64 exec, exec, s[30:31]
	s_and_b64 vcc, exec, s[26:27]
	s_cbranch_vccnz .LBB2_8693
.LBB2_8435:                             ;   in Loop: Header=BB2_47 Depth=1
	s_mov_b32 s8, 1
.LBB2_8436:                             ;   Parent Loop BB2_47 Depth=1
                                        ; =>  This Loop Header: Depth=2
                                        ;       Child Loop BB2_8439 Depth 3
                                        ;         Child Loop BB2_8447 Depth 4
                                        ;         Child Loop BB2_8473 Depth 4
	;; [unrolled: 1-line block ×4, first 2 shown]
                                        ;           Child Loop BB2_8514 Depth 5
                                        ;         Child Loop BB2_8520 Depth 4
                                        ;           Child Loop BB2_8521 Depth 5
                                        ;         Child Loop BB2_8530 Depth 4
                                        ;         Child Loop BB2_8535 Depth 4
                                        ;           Child Loop BB2_8536 Depth 5
                                        ;         Child Loop BB2_8549 Depth 4
                                        ;         Child Loop BB2_8554 Depth 4
	;; [unrolled: 1-line block ×6, first 2 shown]
                                        ;       Child Loop BB2_8619 Depth 3
                                        ;         Child Loop BB2_8625 Depth 4
                                        ;         Child Loop BB2_8655 Depth 4
	;; [unrolled: 1-line block ×3, first 2 shown]
	s_sub_i32 s26, s83, s8
	s_cmp_le_i32 s78, s26
	s_cselect_b32 s27, s78, 0
	s_sub_i32 s26, s26, s27
	v_accvgpr_read_b32 v4, a50
	s_ashr_i32 s27, s26, 31
	v_accvgpr_read_b32 v5, a51
	v_mul_lo_u32 v0, v4, s27
	v_mul_lo_u32 v1, v5, s26
	v_mad_u64_u32 v[2:3], s[26:27], v4, s26, 0
	v_add3_u32 v3, v3, v0, v1
	v_accvgpr_read_b32 v0, a52
	v_accvgpr_read_b32 v1, a53
	v_sub_co_u32_e32 v0, vcc, v0, v2
	v_subb_co_u32_e32 v1, vcc, v1, v3, vcc
	v_cmp_lt_i64_e32 vcc, v[4:5], v[0:1]
	v_cndmask_b32_e32 v0, v0, v4, vcc
	v_max_i32_e32 v1, 0, v0
	v_add_u32_e32 v4, 31, v1
	v_lshrrev_b32_e32 v4, 1, v4
	v_and_b32_e32 v4, 0x3ffffff0, v4
	v_cmp_lt_i32_e32 vcc, 0, v0
	v_max_i32_e32 v4, s86, v4
	s_and_b64 s[26:27], s[50:51], vcc
	v_mov_b32_e32 v0, 0
	v_mov_b32_e32 v6, 0
	s_and_saveexec_b64 s[58:59], s[26:27]
	s_cbranch_execz .LBB2_8616
; %bb.8437:                             ;   in Loop: Header=BB2_8436 Depth=2
	v_accvgpr_read_b32 v0, a54
	v_add_co_u32_e32 v7, vcc, v2, v0
	v_accvgpr_read_b32 v0, a55
	v_addc_co_u32_e32 v16, vcc, v3, v0, vcc
	s_mov_b32 s74, 1
	s_mov_b64 s[62:63], -1
	s_mov_b64 s[60:61], 0
	v_mov_b32_e32 v6, 0
	s_branch .LBB2_8439
.LBB2_8438:                             ;   in Loop: Header=BB2_8439 Depth=3
	s_or_b64 exec, exec, s[26:27]
	v_add_u32_e32 v6, v4, v6
	v_cmp_ge_i32_e32 vcc, v6, v1
	s_xor_b64 s[26:27], s[62:63], -1
	s_or_b64 s[26:27], s[26:27], vcc
	s_and_b64 s[26:27], exec, s[26:27]
	s_or_b64 s[60:61], s[26:27], s[60:61]
	s_mov_b64 s[62:63], 0
	v_mov_b32_e32 v0, s74
	s_mov_b32 s74, 2
	s_andn2_b64 exec, exec, s[60:61]
	s_cbranch_execz .LBB2_8689
.LBB2_8439:                             ;   Parent Loop BB2_47 Depth=1
                                        ;     Parent Loop BB2_8436 Depth=2
                                        ; =>    This Loop Header: Depth=3
                                        ;         Child Loop BB2_8447 Depth 4
                                        ;         Child Loop BB2_8473 Depth 4
	;; [unrolled: 1-line block ×4, first 2 shown]
                                        ;           Child Loop BB2_8514 Depth 5
                                        ;         Child Loop BB2_8520 Depth 4
                                        ;           Child Loop BB2_8521 Depth 5
                                        ;         Child Loop BB2_8530 Depth 4
                                        ;         Child Loop BB2_8535 Depth 4
                                        ;           Child Loop BB2_8536 Depth 5
                                        ;         Child Loop BB2_8549 Depth 4
                                        ;         Child Loop BB2_8554 Depth 4
	;; [unrolled: 1-line block ×6, first 2 shown]
	s_and_saveexec_b64 s[26:27], s[4:5]
	s_cbranch_execz .LBB2_8441
; %bb.8440:                             ;   in Loop: Header=BB2_8439 Depth=3
	s_trap 2
	ds_read_b128 v[8:11], v0
	v_ashrrev_i32_e32 v5, 31, v6
	s_waitcnt lgkmcnt(0)
	v_add_co_u32_e32 v0, vcc, v8, v7
	v_addc_co_u32_e32 v3, vcc, v9, v16, vcc
	v_add_co_u32_e32 v2, vcc, v0, v6
	v_addc_co_u32_e32 v3, vcc, v3, v5, vcc
	ds_write_b64 v0, v[2:3]
	v_add_co_u32_e32 v0, vcc, v10, v7
	v_addc_co_u32_e32 v2, vcc, v11, v16, vcc
	v_add_co_u32_e32 v0, vcc, v0, v6
	v_addc_co_u32_e32 v2, vcc, v2, v5, vcc
	v_cmp_ne_u64_e32 vcc, 0, v[10:11]
	v_cndmask_b32_e32 v3, 0, v2, vcc
	v_cndmask_b32_e32 v2, 0, v0, vcc
	ds_write_b64 v0, v[2:3]
.LBB2_8441:                             ;   in Loop: Header=BB2_8439 Depth=3
	s_or_b64 exec, exec, s[26:27]
	v_and_b32_e32 v0, 12, v60
	v_cmp_ne_u32_e32 vcc, 0, v0
	s_mov_b64 s[28:29], -1
	s_and_saveexec_b64 s[26:27], vcc
	s_cbranch_execz .LBB2_8453
; %bb.8442:                             ;   in Loop: Header=BB2_8439 Depth=3
	v_and_b32_e32 v2, 8, v60
	v_add_co_u32_e32 v10, vcc, v48, v2
	v_addc_co_u32_e32 v11, vcc, 0, v49, vcc
	v_add_co_u32_e32 v8, vcc, 2, v32
	v_addc_co_u32_e32 v9, vcc, 0, v33, vcc
	v_cmp_lt_u64_e32 vcc, v[10:11], v[8:9]
	v_mov_b32_e32 v0, 1
	s_and_saveexec_b64 s[28:29], vcc
	s_cbranch_execz .LBB2_8452
; %bb.8443:                             ;   in Loop: Header=BB2_8439 Depth=3
	s_mov_b64 s[30:31], 0
	v_mov_b32_e32 v0, 0
                                        ; implicit-def: $sgpr34_sgpr35
	s_branch .LBB2_8447
.LBB2_8444:                             ;   in Loop: Header=BB2_8447 Depth=4
	s_or_b64 exec, exec, s[70:71]
	v_mov_b32_e32 v3, 0
	s_orn2_b64 s[68:69], s[68:69], exec
.LBB2_8445:                             ;   in Loop: Header=BB2_8447 Depth=4
	s_or_b64 exec, exec, s[66:67]
	s_andn2_b64 vcc, s[34:35], exec
	s_and_b64 s[34:35], s[68:69], exec
	s_or_b64 s[34:35], vcc, s[34:35]
	v_mov_b32_e32 v0, v3
.LBB2_8446:                             ;   in Loop: Header=BB2_8447 Depth=4
	s_or_b64 exec, exec, s[64:65]
	s_waitcnt vmcnt(0) lgkmcnt(0)
	v_add_co_u32_e32 v10, vcc, v48, v2
	v_addc_co_u32_e32 v11, vcc, 0, v49, vcc
	v_cmp_ge_u64_e32 vcc, v[10:11], v[8:9]
	s_xor_b64 s[46:47], s[34:35], -1
	s_or_b64 vcc, s[46:47], vcc
	s_and_b64 vcc, exec, vcc
	s_or_b64 s[30:31], vcc, s[30:31]
	s_andn2_b64 exec, exec, s[30:31]
	s_cbranch_execz .LBB2_8451
.LBB2_8447:                             ;   Parent Loop BB2_47 Depth=1
                                        ;     Parent Loop BB2_8436 Depth=2
                                        ;       Parent Loop BB2_8439 Depth=3
                                        ; =>      This Inner Loop Header: Depth=4
	s_sleep 1
	flat_load_dwordx2 v[48:49], v[34:35] glc
	v_and_b32_e32 v3, 64, v60
	v_cmp_eq_u32_e32 vcc, 0, v3
	s_andn2_b64 s[34:35], s[34:35], exec
	s_and_saveexec_b64 s[64:65], vcc
	s_cbranch_execz .LBB2_8446
; %bb.8448:                             ;   in Loop: Header=BB2_8447 Depth=4
	v_add_u32_e32 v3, 1, v0
	v_cmp_lt_i32_e32 vcc, s91, v0
	s_mov_b64 s[68:69], -1
	s_and_saveexec_b64 s[66:67], vcc
	s_cbranch_execz .LBB2_8445
; %bb.8449:                             ;   in Loop: Header=BB2_8447 Depth=4
	s_trap 2
	ds_read_b64 v[10:11], v0
	s_waitcnt vmcnt(0) lgkmcnt(0)
	flat_load_dword v0, v[10:11] glc
	s_waitcnt vmcnt(0) lgkmcnt(0)
	buffer_invl2
	buffer_wbinvl1_vol
	v_cmp_ne_u32_e32 vcc, 0, v0
	s_and_saveexec_b64 s[70:71], vcc
	s_cbranch_execz .LBB2_8444
; %bb.8450:                             ;   in Loop: Header=BB2_8447 Depth=4
	v_or_b32_e32 v60, 64, v60
	s_xor_b64 s[68:69], exec, -1
	ds_write_b32 v0, v0
	s_trap 2
	s_branch .LBB2_8444
.LBB2_8451:                             ;   in Loop: Header=BB2_8439 Depth=3
	s_or_b64 exec, exec, s[30:31]
	v_and_b32_e32 v0, 12, v60
.LBB2_8452:                             ;   in Loop: Header=BB2_8439 Depth=3
	s_or_b64 exec, exec, s[28:29]
	v_cmp_eq_u32_e32 vcc, 0, v0
	s_orn2_b64 s[28:29], vcc, exec
	;;#ASMSTART
	s_wakeup
	;;#ASMEND
.LBB2_8453:                             ;   in Loop: Header=BB2_8439 Depth=3
	s_or_b64 exec, exec, s[26:27]
	v_sub_u32_e32 v0, v1, v6
	s_xor_b64 s[26:27], s[28:29], -1
	v_min_i32_e32 v4, v4, v0
	s_and_saveexec_b64 s[28:29], s[26:27]
	s_cbranch_execz .LBB2_8465
; %bb.8454:                             ;   in Loop: Header=BB2_8439 Depth=3
	v_and_b32_e32 v0, 0x108, v60
	v_cmp_ne_u32_e32 vcc, s92, v0
	v_and_b32_e32 v2, 7, v32
	s_and_saveexec_b64 s[26:27], vcc
	s_xor_b64 s[26:27], exec, s[26:27]
	s_andn2_saveexec_b64 s[26:27], s[26:27]
	s_cbranch_execz .LBB2_8456
; %bb.8455:                             ;   in Loop: Header=BB2_8439 Depth=3
	v_accvgpr_read_b32 v8, a12
	v_accvgpr_read_b32 v9, a13
	v_mad_u64_u32 v[8:9], vcc, v2, 24, v[8:9]
	v_ashrrev_i32_e32 v5, 31, v4
	flat_store_dwordx2 v[8:9], v[4:5] offset:8
.LBB2_8456:                             ;   in Loop: Header=BB2_8439 Depth=3
	s_or_b64 exec, exec, s[26:27]
	v_and_b32_e32 v0, 0x100, v60
	v_cmp_ne_u32_e32 vcc, 0, v0
	s_mov_b64 s[26:27], -1
                                        ; implicit-def: $vgpr8_vgpr9
	s_and_saveexec_b64 s[30:31], vcc
	s_cbranch_execz .LBB2_8460
; %bb.8457:                             ;   in Loop: Header=BB2_8439 Depth=3
	v_accvgpr_read_b32 v8, a12
	v_accvgpr_read_b32 v9, a13
	v_mad_u64_u32 v[10:11], s[26:27], v2, 24, v[8:9]
	v_mov_b32_e32 v0, v11
	v_mad_u64_u32 v[8:9], s[26:27], v51, 24, v[0:1]
	v_mov_b32_e32 v11, v8
	flat_load_dword v0, v[10:11]
                                        ; implicit-def: $vgpr8_vgpr9
	s_waitcnt vmcnt(0) lgkmcnt(0)
	v_cmp_ne_u32_e32 vcc, 1, v0
	v_cmp_eq_u32_e64 s[26:27], 1, v0
	s_and_saveexec_b64 s[34:35], s[26:27]
	s_cbranch_execz .LBB2_8459
; %bb.8458:                             ;   in Loop: Header=BB2_8439 Depth=3
	flat_load_dword v8, v[10:11] offset:4 glc
	s_waitcnt vmcnt(0) lgkmcnt(0)
	v_ashrrev_i32_e32 v9, 31, v8
.LBB2_8459:                             ;   in Loop: Header=BB2_8439 Depth=3
	s_or_b64 exec, exec, s[34:35]
	s_orn2_b64 s[26:27], vcc, exec
.LBB2_8460:                             ;   in Loop: Header=BB2_8439 Depth=3
	s_or_b64 exec, exec, s[30:31]
	s_and_saveexec_b64 vcc, s[26:27]
; %bb.8461:                             ;   in Loop: Header=BB2_8439 Depth=3
	v_accvgpr_read_b32 v8, a16
	v_accvgpr_read_b32 v3, a17
	v_mul_lo_u32 v0, v51, v8
	v_mul_lo_u32 v3, v2, v3
	v_mad_u64_u32 v[8:9], s[26:27], v2, v8, 0
	v_add3_u32 v9, v9, v3, v0
; %bb.8462:                             ;   in Loop: Header=BB2_8439 Depth=3
	s_or_b64 exec, exec, vcc
	v_accvgpr_read_b32 v2, a18
	v_accvgpr_read_b32 v3, a19
	v_add_co_u32_e32 v2, vcc, v2, v8
	v_addc_co_u32_e32 v3, vcc, v3, v9, vcc
	s_trap 2
	ds_write_b64 v0, v[2:3]
	v_and_b32_e32 v0, 0x2000, v60
	v_cmp_ne_u32_e32 vcc, 0, v0
	s_and_saveexec_b64 s[26:27], vcc
	s_cbranch_execz .LBB2_8464
; %bb.8463:                             ;   in Loop: Header=BB2_8439 Depth=3
	ds_read_b64 v[2:3], v0 offset:584
	s_waitcnt lgkmcnt(0)
	v_add_co_u32_e32 v2, vcc, 1, v2
	v_addc_co_u32_e32 v3, vcc, 0, v3, vcc
	ds_write_b64 v0, v[2:3] offset:584
.LBB2_8464:                             ;   in Loop: Header=BB2_8439 Depth=3
	s_or_b64 exec, exec, s[26:27]
	v_add_co_u32_e32 v32, vcc, 2, v32
	v_addc_co_u32_e32 v33, vcc, 0, v33, vcc
.LBB2_8465:                             ;   in Loop: Header=BB2_8439 Depth=3
	s_or_b64 exec, exec, s[28:29]
	s_and_saveexec_b64 s[26:27], s[10:11]
	s_cbranch_execz .LBB2_8484
; %bb.8466:                             ;   in Loop: Header=BB2_8439 Depth=3
	s_and_saveexec_b64 s[28:29], s[44:45]
	s_xor_b64 s[28:29], exec, s[28:29]
	s_cbranch_execz .LBB2_8481
; %bb.8467:                             ;   in Loop: Header=BB2_8439 Depth=3
	s_and_saveexec_b64 s[30:31], s[16:17]
	s_cbranch_execz .LBB2_8480
; %bb.8468:                             ;   in Loop: Header=BB2_8439 Depth=3
	s_mov_b64 s[64:65], exec
	v_mbcnt_lo_u32_b32 v0, s64, 0
	v_mbcnt_hi_u32_b32 v0, s65, v0
	v_cmp_eq_u32_e32 vcc, 0, v0
	s_waitcnt vmcnt(0) lgkmcnt(0)
	buffer_wbinvl1_vol
	s_and_saveexec_b64 s[34:35], vcc
	s_cbranch_execz .LBB2_8470
; %bb.8469:                             ;   in Loop: Header=BB2_8439 Depth=3
	s_bcnt1_i32_b64 vcc_lo, s[64:65]
	v_mov_b32_e32 v50, vcc_lo
	ds_add_u64 v0, v[50:51]
	s_trap 2
.LBB2_8470:                             ;   in Loop: Header=BB2_8439 Depth=3
	s_or_b64 exec, exec, s[34:35]
	s_trap 2
	ds_read_b64 v[2:3], v0
	v_accvgpr_read_b32 v8, a14
	v_accvgpr_read_b32 v9, a15
	v_add_co_u32_e32 v8, vcc, v8, v44
	v_addc_co_u32_e32 v9, vcc, 0, v9, vcc
	v_accvgpr_write_b32 a15, v9
	v_accvgpr_write_b32 a14, v8
	s_waitcnt lgkmcnt(0)
	v_cmp_lt_u64_e32 vcc, v[2:3], v[8:9]
	s_and_saveexec_b64 s[34:35], vcc
	s_cbranch_execz .LBB2_8479
; %bb.8471:                             ;   in Loop: Header=BB2_8439 Depth=3
	s_mov_b32 s75, 0
	s_mov_b64 s[64:65], 0
                                        ; implicit-def: $sgpr66_sgpr67
                                        ; implicit-def: $sgpr68_sgpr69
	s_branch .LBB2_8473
.LBB2_8472:                             ;   in Loop: Header=BB2_8473 Depth=4
	s_or_b64 exec, exec, s[72:73]
	s_and_b64 vcc, exec, vcc
	s_or_b64 s[64:65], vcc, s[64:65]
	s_andn2_b64 vcc, s[66:67], exec
	s_and_b64 s[46:47], s[68:69], exec
	s_or_b64 s[66:67], vcc, s[46:47]
	s_andn2_b64 exec, exec, s[64:65]
	s_cbranch_execz .LBB2_8477
.LBB2_8473:                             ;   Parent Loop BB2_47 Depth=1
                                        ;     Parent Loop BB2_8436 Depth=2
                                        ;       Parent Loop BB2_8439 Depth=3
                                        ; =>      This Inner Loop Header: Depth=4
	s_add_i32 s75, s75, 1
	s_cmpk_lg_i32 s75, 0x2710
	s_cselect_b64 s[70:71], -1, 0
	s_and_b64 vcc, exec, s[70:71]
                                        ; implicit-def: $sgpr72_sgpr73
	s_cbranch_vccnz .LBB2_8475
; %bb.8474:                             ;   in Loop: Header=BB2_8473 Depth=4
	s_trap 2
	ds_read_b64 v[2:3], v0
	s_andn2_b64 s[46:47], s[70:71], exec
	s_mov_b32 s75, 0
	s_mov_b64 s[72:73], -1
	s_waitcnt lgkmcnt(0)
	flat_load_dword v0, v[2:3] glc
	s_waitcnt vmcnt(0) lgkmcnt(0)
	buffer_invl2
	buffer_wbinvl1_vol
	v_cmp_eq_u32_e32 vcc, 0, v0
	s_and_b64 vcc, vcc, exec
	s_or_b64 s[70:71], s[46:47], vcc
.LBB2_8475:                             ;   in Loop: Header=BB2_8473 Depth=4
	s_andn2_b64 s[46:47], s[68:69], exec
	s_and_b64 s[68:69], s[72:73], exec
	s_mov_b64 vcc, -1
	s_or_b64 s[68:69], s[46:47], s[68:69]
	s_and_saveexec_b64 s[72:73], s[70:71]
	s_cbranch_execz .LBB2_8472
; %bb.8476:                             ;   in Loop: Header=BB2_8473 Depth=4
	s_sleep 1
	s_trap 2
	ds_read_b64 v[2:3], v0
	v_accvgpr_read_b32 v8, a14
	v_accvgpr_read_b32 v9, a15
	s_andn2_b64 s[68:69], s[68:69], exec
	s_waitcnt lgkmcnt(0)
	v_cmp_ge_u64_e32 vcc, v[2:3], v[8:9]
	s_orn2_b64 vcc, vcc, exec
	s_branch .LBB2_8472
.LBB2_8477:                             ;   in Loop: Header=BB2_8439 Depth=3
	s_or_b64 exec, exec, s[64:65]
	s_and_saveexec_b64 vcc, s[66:67]
	s_xor_b64 vcc, exec, vcc
	s_cbranch_execz .LBB2_8479
; %bb.8478:                             ;   in Loop: Header=BB2_8439 Depth=3
	v_mov_b32_e32 v0, 1
	ds_write_b32 v0, v0
	s_trap 2
.LBB2_8479:                             ;   in Loop: Header=BB2_8439 Depth=3
	s_or_b64 exec, exec, s[34:35]
	;;#ASMSTART
	s_wakeup
	;;#ASMEND
.LBB2_8480:                             ;   in Loop: Header=BB2_8439 Depth=3
	s_or_b64 exec, exec, s[30:31]
.LBB2_8481:                             ;   in Loop: Header=BB2_8439 Depth=3
	s_andn2_saveexec_b64 s[28:29], s[28:29]
	s_cbranch_execz .LBB2_8483
; %bb.8482:                             ;   in Loop: Header=BB2_8439 Depth=3
	s_waitcnt vmcnt(0) lgkmcnt(0)
	buffer_wbinvl1_vol
	s_barrier
.LBB2_8483:                             ;   in Loop: Header=BB2_8439 Depth=3
	s_or_b64 exec, exec, s[28:29]
.LBB2_8484:                             ;   in Loop: Header=BB2_8439 Depth=3
	s_or_b64 exec, exec, s[26:27]
	s_trap 2
	ds_read_b32 v2, v0
	v_and_b32_e32 v0, 0x4000, v60
	v_cmp_ne_u32_e32 vcc, 0, v0
	s_xor_b64 s[26:27], s[6:7], -1
	s_and_b64 s[28:29], s[26:27], vcc
	s_and_saveexec_b64 s[26:27], s[28:29]
	s_cbranch_execz .LBB2_8503
; %bb.8485:                             ;   in Loop: Header=BB2_8439 Depth=3
	s_and_saveexec_b64 s[28:29], s[44:45]
	s_xor_b64 s[28:29], exec, s[28:29]
	s_cbranch_execz .LBB2_8500
; %bb.8486:                             ;   in Loop: Header=BB2_8439 Depth=3
	s_and_saveexec_b64 s[30:31], s[16:17]
	s_cbranch_execz .LBB2_8499
; %bb.8487:                             ;   in Loop: Header=BB2_8439 Depth=3
	s_mov_b64 s[64:65], exec
	v_mbcnt_lo_u32_b32 v0, s64, 0
	v_mbcnt_hi_u32_b32 v0, s65, v0
	v_cmp_eq_u32_e32 vcc, 0, v0
	s_waitcnt vmcnt(0) lgkmcnt(0)
	buffer_wbinvl1_vol
	s_and_saveexec_b64 s[34:35], vcc
	s_cbranch_execz .LBB2_8489
; %bb.8488:                             ;   in Loop: Header=BB2_8439 Depth=3
	s_bcnt1_i32_b64 vcc_lo, s[64:65]
	v_mov_b32_e32 v50, vcc_lo
	ds_add_u64 v0, v[50:51]
	s_trap 2
.LBB2_8489:                             ;   in Loop: Header=BB2_8439 Depth=3
	s_or_b64 exec, exec, s[34:35]
	s_trap 2
	ds_read_b64 v[8:9], v0
	v_accvgpr_read_b32 v10, a14
	v_accvgpr_read_b32 v11, a15
	v_add_co_u32_e32 v10, vcc, v10, v44
	v_addc_co_u32_e32 v11, vcc, 0, v11, vcc
	v_accvgpr_write_b32 a15, v11
	v_accvgpr_write_b32 a14, v10
	s_waitcnt lgkmcnt(0)
	v_cmp_lt_u64_e32 vcc, v[8:9], v[10:11]
	s_and_saveexec_b64 s[34:35], vcc
	s_cbranch_execz .LBB2_8498
; %bb.8490:                             ;   in Loop: Header=BB2_8439 Depth=3
	s_mov_b32 s75, 0
	s_mov_b64 s[64:65], 0
                                        ; implicit-def: $sgpr66_sgpr67
                                        ; implicit-def: $sgpr68_sgpr69
	s_branch .LBB2_8492
.LBB2_8491:                             ;   in Loop: Header=BB2_8492 Depth=4
	s_or_b64 exec, exec, s[72:73]
	s_and_b64 vcc, exec, vcc
	s_or_b64 s[64:65], vcc, s[64:65]
	s_andn2_b64 vcc, s[66:67], exec
	s_and_b64 s[46:47], s[68:69], exec
	s_or_b64 s[66:67], vcc, s[46:47]
	s_andn2_b64 exec, exec, s[64:65]
	s_cbranch_execz .LBB2_8496
.LBB2_8492:                             ;   Parent Loop BB2_47 Depth=1
                                        ;     Parent Loop BB2_8436 Depth=2
                                        ;       Parent Loop BB2_8439 Depth=3
                                        ; =>      This Inner Loop Header: Depth=4
	s_add_i32 s75, s75, 1
	s_cmpk_lg_i32 s75, 0x2710
	s_cselect_b64 s[70:71], -1, 0
	s_and_b64 vcc, exec, s[70:71]
                                        ; implicit-def: $sgpr72_sgpr73
	s_cbranch_vccnz .LBB2_8494
; %bb.8493:                             ;   in Loop: Header=BB2_8492 Depth=4
	s_trap 2
	ds_read_b64 v[8:9], v0
	s_andn2_b64 s[46:47], s[70:71], exec
	s_mov_b32 s75, 0
	s_mov_b64 s[72:73], -1
	s_waitcnt lgkmcnt(0)
	flat_load_dword v0, v[8:9] glc
	s_waitcnt vmcnt(0) lgkmcnt(0)
	buffer_invl2
	buffer_wbinvl1_vol
	v_cmp_eq_u32_e32 vcc, 0, v0
	s_and_b64 vcc, vcc, exec
	s_or_b64 s[70:71], s[46:47], vcc
.LBB2_8494:                             ;   in Loop: Header=BB2_8492 Depth=4
	s_andn2_b64 s[46:47], s[68:69], exec
	s_and_b64 s[68:69], s[72:73], exec
	s_mov_b64 vcc, -1
	s_or_b64 s[68:69], s[46:47], s[68:69]
	s_and_saveexec_b64 s[72:73], s[70:71]
	s_cbranch_execz .LBB2_8491
; %bb.8495:                             ;   in Loop: Header=BB2_8492 Depth=4
	s_sleep 1
	s_trap 2
	ds_read_b64 v[8:9], v0
	v_accvgpr_read_b32 v10, a14
	v_accvgpr_read_b32 v11, a15
	s_andn2_b64 s[68:69], s[68:69], exec
	s_waitcnt lgkmcnt(0)
	v_cmp_ge_u64_e32 vcc, v[8:9], v[10:11]
	s_orn2_b64 vcc, vcc, exec
	s_branch .LBB2_8491
.LBB2_8496:                             ;   in Loop: Header=BB2_8439 Depth=3
	s_or_b64 exec, exec, s[64:65]
	s_and_saveexec_b64 vcc, s[66:67]
	s_xor_b64 vcc, exec, vcc
	s_cbranch_execz .LBB2_8498
; %bb.8497:                             ;   in Loop: Header=BB2_8439 Depth=3
	v_mov_b32_e32 v0, 1
	ds_write_b32 v0, v0
	s_trap 2
.LBB2_8498:                             ;   in Loop: Header=BB2_8439 Depth=3
	s_or_b64 exec, exec, s[34:35]
	;;#ASMSTART
	s_wakeup
	;;#ASMEND
.LBB2_8499:                             ;   in Loop: Header=BB2_8439 Depth=3
	s_or_b64 exec, exec, s[30:31]
.LBB2_8500:                             ;   in Loop: Header=BB2_8439 Depth=3
	s_andn2_saveexec_b64 s[28:29], s[28:29]
	s_cbranch_execz .LBB2_8502
; %bb.8501:                             ;   in Loop: Header=BB2_8439 Depth=3
	s_waitcnt vmcnt(0) lgkmcnt(0)
	buffer_wbinvl1_vol
	s_barrier
.LBB2_8502:                             ;   in Loop: Header=BB2_8439 Depth=3
	s_or_b64 exec, exec, s[28:29]
.LBB2_8503:                             ;   in Loop: Header=BB2_8439 Depth=3
	s_or_b64 exec, exec, s[26:27]
	s_trap 2
	ds_read_b64 v[8:9], v0
	v_mov_b32_e32 v0, 0
	s_waitcnt lgkmcnt(0)
	v_readfirstlane_b32 s26, v8
	v_readfirstlane_b32 s27, v9
	s_cmp_eq_u64 s[26:27], 0
	s_cselect_b64 s[26:27], -1, 0
	s_or_b64 s[26:27], s[26:27], s[26:27]
	s_and_b64 vcc, exec, s[26:27]
	s_cbranch_vccnz .LBB2_8570
; %bb.8504:                             ;   in Loop: Header=BB2_8439 Depth=3
	s_trap 2
	ds_read_b64 v[8:9], v0
	v_cmp_eq_u32_e64 s[26:27], 0, v2
	v_cndmask_b32_e64 v0, 0, v4, s[26:27]
	s_mov_b64 s[26:27], -1
	s_waitcnt lgkmcnt(0)
	v_cmp_ne_u64_e32 vcc, 0, v[8:9]
	s_cbranch_vccz .LBB2_8540
; %bb.8505:                             ;   in Loop: Header=BB2_8439 Depth=3
	s_and_saveexec_b64 s[28:29], s[20:21]
	s_cbranch_execz .LBB2_8507
; %bb.8506:                             ;   in Loop: Header=BB2_8439 Depth=3
	ds_read_b32 v2, v0 offset:720
	s_waitcnt lgkmcnt(0)
	v_and_b32_e32 v2, 15, v2
	v_cmp_eq_u32_e32 vcc, 0, v2
	s_orn2_b64 s[26:27], vcc, exec
.LBB2_8507:                             ;   in Loop: Header=BB2_8439 Depth=3
	s_or_b64 exec, exec, s[28:29]
	s_and_saveexec_b64 s[28:29], s[22:23]
	s_cbranch_execz .LBB2_8509
; %bb.8508:                             ;   in Loop: Header=BB2_8439 Depth=3
	ds_read_b32 v2, v0 offset:784
	s_waitcnt lgkmcnt(0)
	v_and_b32_e32 v2, 15, v2
	v_cmp_eq_u32_e32 vcc, 0, v2
	s_and_b64 vcc, s[26:27], vcc
	s_andn2_b64 s[26:27], s[26:27], exec
	s_and_b64 vcc, vcc, exec
	s_or_b64 s[26:27], s[26:27], vcc
.LBB2_8509:                             ;   in Loop: Header=BB2_8439 Depth=3
	s_or_b64 exec, exec, s[28:29]
	s_xor_b64 s[26:27], s[26:27], -1
	v_cndmask_b32_e64 v2, 0, 1, s[26:27]
	;;#ASMSTART
	;;#ASMEND
	s_mov_b64 s[28:29], -1
	v_cmp_ne_u32_e32 vcc, 0, v2
	v_mov_b32_e32 v5, 0
	v_mov_b32_e32 v12, v0
	v_mov_b32_e32 v13, v40
	v_accvgpr_read_b32 v2, a31
	s_cbranch_vccz .LBB2_8511
; %bb.8510:                             ;   in Loop: Header=BB2_8439 Depth=3
	s_and_saveexec_b64 s[30:31], s[28:29]
	s_cbranch_execnz .LBB2_8528
	s_branch .LBB2_8539
.LBB2_8511:                             ;   in Loop: Header=BB2_8439 Depth=3
	v_accvgpr_read_b32 v2, a24
	v_sub_u32_e32 v5, v0, v2
	v_ashrrev_i32_e32 v2, 31, v0
	v_lshrrev_b32_e32 v2, 22, v2
	v_add_u32_e32 v2, v0, v2
	v_and_b32_e32 v17, 0xfffffc00, v2
	v_accvgpr_read_b32 v3, a25
	v_sub_u32_e32 v20, v0, v17
	v_ashrrev_i32_e32 v3, 10, v2
	v_cmp_lt_i32_e64 s[26:27], 15, v20
	v_accvgpr_read_b32 v2, a41
	v_addc_co_u32_e64 v19, vcc, v3, v2, s[26:27]
	v_cmp_lt_i32_e32 vcc, 15, v5
	s_and_saveexec_b64 s[64:65], vcc
	s_cbranch_execz .LBB2_8517
; %bb.8512:                             ;   in Loop: Header=BB2_8439 Depth=3
	s_trap 2
	ds_read_b64 v[2:3], v0
	ds_read_b128 v[8:11], v0
	v_accvgpr_read_b32 v12, a24
	v_accvgpr_read_b32 v13, a25
	s_mov_b64 s[66:67], 0
	s_waitcnt lgkmcnt(0)
	v_add_co_u32_e32 v14, vcc, v2, v12
	v_addc_co_u32_e32 v15, vcc, v3, v13, vcc
	v_add_co_u32_e32 v2, vcc, v8, v12
	v_addc_co_u32_e32 v3, vcc, v9, v13, vcc
	;; [unrolled: 2-line block ×3, first 2 shown]
.LBB2_8513:                             ;   Parent Loop BB2_47 Depth=1
                                        ;     Parent Loop BB2_8436 Depth=2
                                        ;       Parent Loop BB2_8439 Depth=3
                                        ; =>      This Loop Header: Depth=4
                                        ;           Child Loop BB2_8514 Depth 5
	global_load_dwordx4 v[10:13], v[14:15], off glc slc
	s_mov_b64 s[70:71], -1
	s_mov_b64 s[68:69], 0
	s_waitcnt vmcnt(0)
.LBB2_8514:                             ;   Parent Loop BB2_47 Depth=1
                                        ;     Parent Loop BB2_8436 Depth=2
                                        ;       Parent Loop BB2_8439 Depth=3
                                        ;         Parent Loop BB2_8513 Depth=4
                                        ; =>        This Inner Loop Header: Depth=5
	s_cmp_eq_u32 s68, 0
	s_cselect_b64 s[28:29], -1, 0
	s_cmp_eq_u32 s68, 1
	s_cselect_b64 s[34:35], -1, 0
	v_cndmask_b32_e64 v18, 0, 1, s[70:71]
	v_cndmask_b32_e64 v22, v2, v8, s[34:35]
	v_cmp_ne_u32_e64 s[30:31], 1, v18
	v_cndmask_b32_e64 v23, v3, v9, s[34:35]
	v_add_co_u32_e32 v18, vcc, 0x400, v22
	v_addc_co_u32_e32 v21, vcc, 0, v23, vcc
	s_mov_b64 s[70:71], 0
	s_mov_b64 s[68:69], 1
	v_cndmask_b32_e64 v8, v8, v18, s[34:35]
	s_and_b64 vcc, exec, s[30:31]
	v_cndmask_b32_e64 v9, v9, v21, s[34:35]
	v_cndmask_b32_e64 v3, v3, v21, s[28:29]
	;; [unrolled: 1-line block ×3, first 2 shown]
	global_store_dwordx4 v[22:23], v[10:13], off glc slc
	s_cbranch_vccz .LBB2_8514
; %bb.8515:                             ;   in Loop: Header=BB2_8513 Depth=4
	v_accvgpr_read_b32 v10, a32
	v_add_co_u32_e32 v2, vcc, v2, v10
	v_accvgpr_read_b32 v11, a33
	v_addc_co_u32_e32 v3, vcc, v3, v11, vcc
	v_add_co_u32_e32 v8, vcc, v8, v10
	v_addc_co_u32_e32 v9, vcc, v9, v11, vcc
	v_accvgpr_read_b32 v10, a42
	v_add_co_u32_e32 v14, vcc, v10, v14
	v_accvgpr_read_b32 v10, a43
	v_addc_co_u32_e32 v15, vcc, v10, v15, vcc
	v_accvgpr_read_b32 v10, a28
	v_sub_u32_e32 v5, v5, v10
	v_cmp_gt_i32_e32 vcc, 16, v5
	s_or_b64 s[66:67], vcc, s[66:67]
	v_sub_u32_e32 v19, v19, v44
	s_andn2_b64 exec, exec, s[66:67]
	s_cbranch_execnz .LBB2_8513
; %bb.8516:                             ;   in Loop: Header=BB2_8439 Depth=3
	s_or_b64 exec, exec, s[66:67]
.LBB2_8517:                             ;   in Loop: Header=BB2_8439 Depth=3
	s_or_b64 exec, exec, s[64:65]
	v_and_b32_e32 v3, 15, v0
	v_cndmask_b32_e64 v18, v20, v3, s[26:27]
	v_cmp_ne_u32_e32 vcc, 0, v18
	s_mov_b64 s[28:29], 0
	v_mov_b32_e32 v5, 0
                                        ; implicit-def: $vgpr12
                                        ; implicit-def: $vgpr13
                                        ; implicit-def: $vgpr2
	s_and_saveexec_b64 s[64:65], vcc
	s_cbranch_execz .LBB2_8527
; %bb.8518:                             ;   in Loop: Header=BB2_8439 Depth=3
	v_sub_u32_e32 v2, v20, v3
	v_cndmask_b32_e64 v2, 0, v2, s[26:27]
	v_cmp_lt_i32_e32 vcc, 0, v19
	v_add_u32_e32 v17, v2, v17
	v_cndmask_b32_e32 v2, 0, v44, vcc
	v_sub_u32_e32 v2, v2, v19
	v_accvgpr_read_b32 v3, a40
	v_lshl_add_u32 v2, v2, 6, v3
	v_ashrrev_i32_e32 v3, 31, v2
	v_lshrrev_b32_e32 v3, 26, v3
	v_add_u32_e32 v3, v2, v3
	v_ashrrev_i32_e32 v8, 6, v3
	v_and_b32_e32 v3, 0xffffffc0, v3
	v_sub_u32_e32 v19, v2, v3
	v_ashrrev_i32_e32 v3, 31, v18
	v_lshrrev_b32_e32 v3, 22, v3
	v_add_u32_e32 v3, v18, v3
	v_and_b32_e32 v20, 0xfffffc00, v3
	v_lshlrev_b32_e32 v2, 4, v19
	v_sub_u32_e32 v22, v18, v20
	v_lshl_add_u32 v2, v8, 10, v2
	v_ashrrev_i32_e32 v9, 10, v3
	v_cmp_lt_i32_e64 s[26:27], 15, v22
	v_sub_u32_e32 v5, v18, v2
	v_addc_co_u32_e64 v3, vcc, 0, v9, s[26:27]
	v_sub_u32_e32 v21, v3, v8
	v_cmp_lt_i32_e32 vcc, 15, v5
	s_and_saveexec_b64 s[66:67], vcc
	s_cbranch_execz .LBB2_8524
; %bb.8519:                             ;   in Loop: Header=BB2_8439 Depth=3
	s_trap 2
	ds_read_b64 v[12:13], v0
	ds_read_b128 v[8:11], v0
	v_add_u32_e32 v23, v2, v17
	v_ashrrev_i32_e32 v24, 31, v23
	s_mov_b64 s[68:69], 0
	s_waitcnt lgkmcnt(0)
	v_add_co_u32_e32 v14, vcc, v12, v23
	v_addc_co_u32_e32 v15, vcc, v13, v24, vcc
	v_add_co_u32_e32 v2, vcc, v8, v23
	v_addc_co_u32_e32 v3, vcc, v9, v24, vcc
	;; [unrolled: 2-line block ×3, first 2 shown]
.LBB2_8520:                             ;   Parent Loop BB2_47 Depth=1
                                        ;     Parent Loop BB2_8436 Depth=2
                                        ;       Parent Loop BB2_8439 Depth=3
                                        ; =>      This Loop Header: Depth=4
                                        ;           Child Loop BB2_8521 Depth 5
	global_load_dwordx4 v[10:13], v[14:15], off glc slc
	s_mov_b64 s[72:73], -1
	s_mov_b64 s[70:71], 0
	s_waitcnt vmcnt(0)
.LBB2_8521:                             ;   Parent Loop BB2_47 Depth=1
                                        ;     Parent Loop BB2_8436 Depth=2
                                        ;       Parent Loop BB2_8439 Depth=3
                                        ;         Parent Loop BB2_8520 Depth=4
                                        ; =>        This Inner Loop Header: Depth=5
	s_cmp_eq_u32 s70, 0
	s_cselect_b64 s[28:29], -1, 0
	s_cmp_eq_u32 s70, 1
	s_cselect_b64 s[34:35], -1, 0
	v_cndmask_b32_e64 v23, 0, 1, s[72:73]
	v_cndmask_b32_e64 v24, v2, v8, s[34:35]
	v_cmp_ne_u32_e64 s[30:31], 1, v23
	v_cndmask_b32_e64 v25, v3, v9, s[34:35]
	v_add_co_u32_e32 v23, vcc, 0x400, v24
	global_store_dwordx4 v[24:25], v[10:13], off glc slc
	v_addc_co_u32_e32 v24, vcc, 0, v25, vcc
	s_mov_b64 s[72:73], 0
	s_mov_b64 s[70:71], 1
	v_cndmask_b32_e64 v8, v8, v23, s[34:35]
	s_and_b64 vcc, exec, s[30:31]
	v_cndmask_b32_e64 v9, v9, v24, s[34:35]
	v_cndmask_b32_e64 v3, v3, v24, s[28:29]
	;; [unrolled: 1-line block ×3, first 2 shown]
	s_cbranch_vccz .LBB2_8521
; %bb.8522:                             ;   in Loop: Header=BB2_8520 Depth=4
	v_accvgpr_read_b32 v10, a32
	v_add_co_u32_e32 v2, vcc, v2, v10
	v_accvgpr_read_b32 v11, a33
	v_addc_co_u32_e32 v3, vcc, v3, v11, vcc
	v_add_co_u32_e32 v8, vcc, v8, v10
	v_addc_co_u32_e32 v9, vcc, v9, v11, vcc
	v_accvgpr_read_b32 v10, a42
	v_add_co_u32_e32 v14, vcc, v10, v14
	v_accvgpr_read_b32 v10, a43
	v_addc_co_u32_e32 v15, vcc, v10, v15, vcc
	v_accvgpr_read_b32 v10, a28
	v_sub_u32_e32 v5, v5, v10
	v_cmp_gt_i32_e32 vcc, 16, v5
	s_or_b64 s[68:69], vcc, s[68:69]
	v_sub_u32_e32 v21, v21, v44
	s_andn2_b64 exec, exec, s[68:69]
	s_cbranch_execnz .LBB2_8520
; %bb.8523:                             ;   in Loop: Header=BB2_8439 Depth=3
	s_or_b64 exec, exec, s[68:69]
.LBB2_8524:                             ;   in Loop: Header=BB2_8439 Depth=3
	s_or_b64 exec, exec, s[66:67]
	v_and_b32_e32 v3, 15, v18
	v_cndmask_b32_e64 v12, v22, v3, s[26:27]
	v_cmp_ne_u32_e32 vcc, 0, v12
	s_mov_b64 s[28:29], 0
	v_mov_b32_e32 v5, 0
                                        ; implicit-def: $vgpr13
                                        ; implicit-def: $vgpr2
	s_and_saveexec_b64 s[30:31], vcc
	s_cbranch_execz .LBB2_8526
; %bb.8525:                             ;   in Loop: Header=BB2_8439 Depth=3
	v_sub_u32_e32 v2, v22, v3
	v_cndmask_b32_e64 v2, 0, v2, s[26:27]
	v_cmp_lt_i32_e32 vcc, 0, v21
	v_add3_u32 v5, v20, v17, v2
	v_cndmask_b32_e32 v2, 0, v44, vcc
	v_sub_u32_e32 v2, v2, v21
	v_lshl_add_u32 v13, v2, 6, v19
	v_ashrrev_i32_e32 v2, 31, v13
	v_lshrrev_b32_e32 v2, 26, v2
	v_add_u32_e32 v2, v13, v2
	s_mov_b64 s[28:29], exec
	v_ashrrev_i32_e32 v2, 6, v2
.LBB2_8526:                             ;   in Loop: Header=BB2_8439 Depth=3
	s_or_b64 exec, exec, s[30:31]
	s_and_b64 s[28:29], s[28:29], exec
.LBB2_8527:                             ;   in Loop: Header=BB2_8439 Depth=3
	s_or_b64 exec, exec, s[64:65]
	s_and_saveexec_b64 s[30:31], s[28:29]
	s_cbranch_execz .LBB2_8539
.LBB2_8528:                             ;   in Loop: Header=BB2_8439 Depth=3
	v_ashrrev_i32_e32 v3, 31, v12
	v_lshrrev_b32_e32 v3, 23, v3
	v_add_u32_e32 v3, v12, v3
	v_ashrrev_i32_e32 v17, 9, v3
	v_sub_u32_e32 v14, v17, v2
	v_ashrrev_i32_e32 v3, 31, v13
	v_cmp_lt_i32_e32 vcc, 0, v14
	v_lshrrev_b32_e32 v15, 26, v3
	s_and_saveexec_b64 s[26:27], vcc
	s_cbranch_execz .LBB2_8532
; %bb.8529:                             ;   in Loop: Header=BB2_8439 Depth=3
	s_trap 2
	ds_read_b64 v[18:19], v0
	ds_read_b128 v[8:11], v0
	v_add_u32_e32 v3, v13, v15
	v_and_b32_e32 v3, 0xffffffc0, v3
	v_sub_u32_e32 v3, v13, v3
	v_lshlrev_b32_e32 v2, 9, v2
	v_add3_u32 v20, v5, v3, v2
	v_ashrrev_i32_e32 v21, 31, v20
	s_waitcnt lgkmcnt(0)
	v_add_co_u32_e32 v2, vcc, v8, v20
	v_addc_co_u32_e32 v3, vcc, v9, v21, vcc
	v_add_co_u32_e32 v8, vcc, v10, v20
	v_addc_co_u32_e32 v9, vcc, v11, v21, vcc
	;; [unrolled: 2-line block ×4, first 2 shown]
	s_mov_b64 s[28:29], 0
	v_accvgpr_read_b32 v28, a34
	v_accvgpr_read_b32 v29, a35
.LBB2_8530:                             ;   Parent Loop BB2_47 Depth=1
                                        ;     Parent Loop BB2_8436 Depth=2
                                        ;       Parent Loop BB2_8439 Depth=3
                                        ; =>      This Inner Loop Header: Depth=4
	v_add_co_u32_e32 v18, vcc, 0xfffffe40, v10
	v_addc_co_u32_e32 v19, vcc, -1, v11, vcc
	v_add_co_u32_e32 v20, vcc, 0xfffffe80, v10
	v_addc_co_u32_e32 v21, vcc, -1, v11, vcc
	flat_load_ubyte v23, v[18:19] glc slc
	v_add_co_u32_e32 v18, vcc, 0xfffffec0, v10
	v_addc_co_u32_e32 v19, vcc, -1, v11, vcc
	flat_load_ubyte v24, v[20:21] glc slc
	v_add_co_u32_e32 v20, vcc, s87, v10
	flat_load_ubyte v22, v[10:11] glc slc
	v_addc_co_u32_e32 v21, vcc, -1, v11, vcc
	flat_load_ubyte v25, v[18:19] glc slc
	v_add_co_u32_e32 v18, vcc, 0xffffff40, v10
	v_addc_co_u32_e32 v19, vcc, -1, v11, vcc
	flat_load_ubyte v26, v[20:21] glc slc
	v_add_co_u32_e32 v20, vcc, s94, v10
	;; [unrolled: 3-line block ×3, first 2 shown]
	flat_load_ubyte v20, v[20:21] glc slc
	v_addc_co_u32_e32 v19, vcc, -1, v11, vcc
	flat_load_ubyte v18, v[18:19] glc slc
	v_sub_u32_e32 v14, v14, v44
	v_cmp_gt_i32_e32 vcc, 1, v14
	s_or_b64 s[28:29], vcc, s[28:29]
	v_add_co_u32_e32 v10, vcc, v10, v28
	v_addc_co_u32_e32 v11, vcc, v11, v29, vcc
	s_waitcnt vmcnt(0) lgkmcnt(0)
	flat_store_byte v[2:3], v22 offset:448 glc slc
	flat_store_byte v[2:3], v23 glc slc
	flat_store_byte v[2:3], v24 offset:64 glc slc
	flat_store_byte v[2:3], v25 offset:128 glc slc
	;; [unrolled: 1-line block ×6, first 2 shown]
	flat_store_byte v[8:9], v23 glc slc
	flat_store_byte v[8:9], v24 offset:64 glc slc
	flat_store_byte v[8:9], v25 offset:128 glc slc
	;; [unrolled: 1-line block ×7, first 2 shown]
	v_add_co_u32_e32 v2, vcc, v2, v28
	v_addc_co_u32_e32 v3, vcc, v3, v29, vcc
	v_add_co_u32_e32 v8, vcc, v8, v28
	v_addc_co_u32_e32 v9, vcc, v9, v29, vcc
	s_andn2_b64 exec, exec, s[28:29]
	s_cbranch_execnz .LBB2_8530
; %bb.8531:                             ;   in Loop: Header=BB2_8439 Depth=3
	s_or_b64 exec, exec, s[28:29]
.LBB2_8532:                             ;   in Loop: Header=BB2_8439 Depth=3
	s_or_b64 exec, exec, s[26:27]
	v_lshlrev_b32_e32 v2, 9, v17
	v_cmp_ne_u32_e32 vcc, v12, v2
	s_and_saveexec_b64 s[34:35], vcc
	s_cbranch_execz .LBB2_8538
; %bb.8533:                             ;   in Loop: Header=BB2_8439 Depth=3
	v_add_u32_e32 v3, v13, v15
	v_and_b32_e32 v3, 0xffffffc0, v3
	v_sub_u32_e32 v3, v13, v3
	v_lshlrev_b32_e32 v8, 6, v14
	v_sub_u32_e32 v3, v3, v8
	v_add_u32_e32 v2, v2, v3
	v_sub_u32_e32 v12, v12, v2
	v_cmp_lt_i32_e32 vcc, 0, v12
	s_and_b64 exec, exec, vcc
	s_cbranch_execz .LBB2_8538
; %bb.8534:                             ;   in Loop: Header=BB2_8439 Depth=3
	s_trap 2
	ds_read_b64 v[8:9], v0
	ds_read_b128 v[18:21], v0
	v_add_u32_e32 v5, v2, v5
	v_ashrrev_i32_e32 v13, 31, v5
	s_mov_b64 s[64:65], 0
	s_waitcnt lgkmcnt(0)
	v_add_co_u32_e32 v10, vcc, v8, v5
	v_addc_co_u32_e32 v11, vcc, v9, v13, vcc
	v_add_co_u32_e32 v2, vcc, v18, v5
	v_addc_co_u32_e32 v3, vcc, v19, v13, vcc
	;; [unrolled: 2-line block ×3, first 2 shown]
.LBB2_8535:                             ;   Parent Loop BB2_47 Depth=1
                                        ;     Parent Loop BB2_8436 Depth=2
                                        ;       Parent Loop BB2_8439 Depth=3
                                        ; =>      This Loop Header: Depth=4
                                        ;           Child Loop BB2_8536 Depth 5
	flat_load_ubyte v5, v[10:11] glc slc
	s_mov_b64 s[66:67], -1
	s_mov_b64 s[68:69], 0
	s_waitcnt vmcnt(0)
.LBB2_8536:                             ;   Parent Loop BB2_47 Depth=1
                                        ;     Parent Loop BB2_8436 Depth=2
                                        ;       Parent Loop BB2_8439 Depth=3
                                        ;         Parent Loop BB2_8535 Depth=4
                                        ; =>        This Inner Loop Header: Depth=5
	s_cmp_eq_u32 s68, 1
	s_cselect_b64 vcc, -1, 0
	v_cndmask_b32_e32 v14, v2, v8, vcc
	v_cndmask_b32_e32 v15, v3, v9, vcc
	v_add_co_u32_e64 v13, s[26:27], 64, v14
	s_cmp_eq_u32 s68, 0
	s_waitcnt lgkmcnt(0)
	flat_store_byte v[14:15], v5 glc slc
	v_addc_co_u32_e64 v14, s[26:27], 0, v15, s[26:27]
	s_cselect_b64 s[26:27], -1, 0
	s_and_b64 s[28:29], exec, s[66:67]
	s_mov_b64 s[68:69], 1
	s_mov_b64 s[66:67], 0
	v_cndmask_b32_e32 v9, v9, v14, vcc
	v_cndmask_b32_e32 v8, v8, v13, vcc
	v_cndmask_b32_e64 v3, v3, v14, s[26:27]
	v_cndmask_b32_e64 v2, v2, v13, s[26:27]
	s_mov_b64 vcc, s[28:29]
	s_cbranch_vccnz .LBB2_8536
; %bb.8537:                             ;   in Loop: Header=BB2_8535 Depth=4
	v_accvgpr_read_b32 v14, a30
	v_add_co_u32_e32 v2, vcc, v2, v14
	v_accvgpr_read_b32 v5, a29
	v_addc_co_u32_e32 v3, vcc, v3, v5, vcc
	v_add_co_u32_e32 v8, vcc, v8, v14
	v_addc_co_u32_e32 v9, vcc, v9, v5, vcc
	v_sub_u32_e32 v12, v12, v41
	v_cmp_gt_i32_e32 vcc, 1, v12
	v_accvgpr_read_b32 v5, a36
	s_or_b64 s[64:65], vcc, s[64:65]
	v_add_co_u32_e32 v10, vcc, v5, v10
	v_accvgpr_read_b32 v5, a37
	v_addc_co_u32_e32 v11, vcc, v5, v11, vcc
	s_andn2_b64 exec, exec, s[64:65]
	s_cbranch_execnz .LBB2_8535
.LBB2_8538:                             ;   in Loop: Header=BB2_8439 Depth=3
	s_or_b64 exec, exec, s[34:35]
.LBB2_8539:                             ;   in Loop: Header=BB2_8439 Depth=3
	s_or_b64 exec, exec, s[30:31]
	s_mov_b64 s[26:27], 0
.LBB2_8540:                             ;   in Loop: Header=BB2_8439 Depth=3
	s_and_b64 vcc, exec, s[26:27]
	s_cbranch_vccz .LBB2_8570
; %bb.8541:                             ;   in Loop: Header=BB2_8439 Depth=3
	s_mov_b64 s[26:27], -1
	s_and_saveexec_b64 s[28:29], s[20:21]
	s_cbranch_execz .LBB2_8543
; %bb.8542:                             ;   in Loop: Header=BB2_8439 Depth=3
	ds_read_b32 v2, v0 offset:720
	s_waitcnt lgkmcnt(0)
	v_and_b32_e32 v2, 15, v2
	v_cmp_eq_u32_e32 vcc, 0, v2
	s_orn2_b64 s[26:27], vcc, exec
.LBB2_8543:                             ;   in Loop: Header=BB2_8439 Depth=3
	s_or_b64 exec, exec, s[28:29]
	s_and_saveexec_b64 s[28:29], s[18:19]
	s_cbranch_execz .LBB2_8545
; %bb.8544:                             ;   in Loop: Header=BB2_8439 Depth=3
	ds_read_b32 v2, v0 offset:784
	s_waitcnt lgkmcnt(0)
	v_and_b32_e32 v2, 15, v2
	v_cmp_eq_u32_e32 vcc, 0, v2
	s_and_b64 vcc, s[26:27], vcc
	s_andn2_b64 s[26:27], s[26:27], exec
	s_and_b64 vcc, vcc, exec
	s_or_b64 s[26:27], s[26:27], vcc
.LBB2_8545:                             ;   in Loop: Header=BB2_8439 Depth=3
	s_or_b64 exec, exec, s[28:29]
	s_xor_b64 s[26:27], s[26:27], -1
	v_cndmask_b32_e64 v2, 0, 1, s[26:27]
	s_mov_b64 s[30:31], -1
	;;#ASMSTART
	;;#ASMEND
	v_cmp_ne_u32_e32 vcc, 0, v2
	v_mov_b32_e32 v9, 0
	v_mov_b32_e32 v12, v0
	;; [unrolled: 1-line block ×3, first 2 shown]
	v_accvgpr_read_b32 v5, a31
	s_cbranch_vccz .LBB2_8547
; %bb.8546:                             ;   in Loop: Header=BB2_8439 Depth=3
	s_and_saveexec_b64 s[26:27], s[30:31]
	s_cbranch_execnz .LBB2_8560
	s_branch .LBB2_8569
.LBB2_8547:                             ;   in Loop: Header=BB2_8439 Depth=3
	v_accvgpr_read_b32 v2, a24
	v_sub_u32_e32 v5, v0, v2
	v_ashrrev_i32_e32 v2, 31, v0
	v_lshrrev_b32_e32 v2, 22, v2
	v_add_u32_e32 v2, v0, v2
	v_and_b32_e32 v10, 0xfffffc00, v2
	v_accvgpr_read_b32 v3, a25
	v_sub_u32_e32 v15, v0, v10
	v_ashrrev_i32_e32 v3, 10, v2
	v_cmp_lt_i32_e32 vcc, 15, v15
	v_accvgpr_read_b32 v2, a41
	v_addc_co_u32_e64 v14, s[26:27], v3, v2, vcc
	v_cmp_lt_i32_e64 s[26:27], 15, v5
	s_and_saveexec_b64 s[28:29], s[26:27]
	s_cbranch_execz .LBB2_8551
; %bb.8548:                             ;   in Loop: Header=BB2_8439 Depth=3
	s_trap 2
	ds_read_b64 v[2:3], v0
	v_accvgpr_read_b32 v8, a24
	s_mov_b64 s[30:31], 0
	v_accvgpr_read_b32 v9, a25
	v_accvgpr_read_b32 v11, a28
	;; [unrolled: 1-line block ×4, first 2 shown]
.LBB2_8549:                             ;   Parent Loop BB2_47 Depth=1
                                        ;     Parent Loop BB2_8436 Depth=2
                                        ;       Parent Loop BB2_8439 Depth=3
                                        ; =>      This Inner Loop Header: Depth=4
	s_waitcnt lgkmcnt(0)
	v_add_co_u32_e64 v12, s[26:27], v2, v8
	v_addc_co_u32_e64 v13, s[26:27], v3, v9, s[26:27]
	global_load_dwordx4 v[18:21], v[12:13], off glc slc
	v_add_co_u32_e64 v8, s[26:27], v8, v17
	v_sub_u32_e32 v5, v5, v11
	v_addc_co_u32_e64 v9, s[26:27], v9, v22, s[26:27]
	v_cmp_gt_i32_e64 s[26:27], 16, v5
	v_sub_u32_e32 v14, v14, v44
	s_or_b64 s[30:31], s[26:27], s[30:31]
	s_waitcnt vmcnt(0)
	global_store_dwordx4 v[12:13], v[18:21], off glc slc
	s_andn2_b64 exec, exec, s[30:31]
	s_cbranch_execnz .LBB2_8549
; %bb.8550:                             ;   in Loop: Header=BB2_8439 Depth=3
	s_or_b64 exec, exec, s[30:31]
.LBB2_8551:                             ;   in Loop: Header=BB2_8439 Depth=3
	s_or_b64 exec, exec, s[28:29]
	v_and_b32_e32 v2, 15, v0
	v_cndmask_b32_e32 v11, v15, v2, vcc
	v_cmp_ne_u32_e64 s[26:27], 0, v11
	s_mov_b64 s[30:31], 0
	v_mov_b32_e32 v9, 0
                                        ; implicit-def: $vgpr12
                                        ; implicit-def: $vgpr13
                                        ; implicit-def: $vgpr5
	s_and_saveexec_b64 s[28:29], s[26:27]
	s_cbranch_execz .LBB2_8559
; %bb.8552:                             ;   in Loop: Header=BB2_8439 Depth=3
	v_sub_u32_e32 v2, v15, v2
	v_cndmask_b32_e32 v2, 0, v2, vcc
	v_cmp_lt_i32_e32 vcc, 0, v14
	v_add_u32_e32 v10, v2, v10
	v_cndmask_b32_e32 v2, 0, v44, vcc
	v_sub_u32_e32 v2, v2, v14
	v_accvgpr_read_b32 v3, a40
	v_lshl_add_u32 v2, v2, 6, v3
	v_ashrrev_i32_e32 v3, 31, v2
	v_lshrrev_b32_e32 v3, 26, v3
	v_add_u32_e32 v3, v2, v3
	v_ashrrev_i32_e32 v8, 6, v3
	v_and_b32_e32 v3, 0xffffffc0, v3
	v_sub_u32_e32 v14, v2, v3
	v_lshlrev_b32_e32 v2, 4, v14
	v_lshl_add_u32 v5, v8, 10, v2
	v_ashrrev_i32_e32 v2, 31, v11
	v_lshrrev_b32_e32 v2, 22, v2
	v_add_u32_e32 v2, v11, v2
	v_and_b32_e32 v15, 0xfffffc00, v2
	v_sub_u32_e32 v18, v11, v15
	v_ashrrev_i32_e32 v3, 10, v2
	v_cmp_lt_i32_e32 vcc, 15, v18
	v_sub_u32_e32 v9, v11, v5
	v_addc_co_u32_e64 v2, s[26:27], 0, v3, vcc
	v_sub_u32_e32 v17, v2, v8
	v_cmp_lt_i32_e64 s[26:27], 15, v9
	s_and_saveexec_b64 s[30:31], s[26:27]
	s_cbranch_execz .LBB2_8556
; %bb.8553:                             ;   in Loop: Header=BB2_8439 Depth=3
	s_trap 2
	ds_read_b64 v[2:3], v0
	v_add_u32_e32 v8, v5, v10
	v_ashrrev_i32_e32 v5, 31, v8
	s_mov_b64 s[34:35], 0
	v_accvgpr_read_b32 v19, a28
	v_accvgpr_read_b32 v24, a42
	;; [unrolled: 1-line block ×3, first 2 shown]
.LBB2_8554:                             ;   Parent Loop BB2_47 Depth=1
                                        ;     Parent Loop BB2_8436 Depth=2
                                        ;       Parent Loop BB2_8439 Depth=3
                                        ; =>      This Inner Loop Header: Depth=4
	s_waitcnt lgkmcnt(0)
	v_add_co_u32_e64 v12, s[26:27], v2, v8
	v_addc_co_u32_e64 v13, s[26:27], v3, v5, s[26:27]
	global_load_dwordx4 v[20:23], v[12:13], off glc slc
	v_add_co_u32_e64 v8, s[26:27], v8, v24
	v_sub_u32_e32 v9, v9, v19
	v_addc_co_u32_e64 v5, s[26:27], v5, v25, s[26:27]
	v_cmp_gt_i32_e64 s[26:27], 16, v9
	v_sub_u32_e32 v17, v17, v44
	s_or_b64 s[34:35], s[26:27], s[34:35]
	s_waitcnt vmcnt(0)
	global_store_dwordx4 v[12:13], v[20:23], off glc slc
	s_andn2_b64 exec, exec, s[34:35]
	s_cbranch_execnz .LBB2_8554
; %bb.8555:                             ;   in Loop: Header=BB2_8439 Depth=3
	s_or_b64 exec, exec, s[34:35]
.LBB2_8556:                             ;   in Loop: Header=BB2_8439 Depth=3
	s_or_b64 exec, exec, s[30:31]
	v_and_b32_e32 v2, 15, v11
	v_cndmask_b32_e32 v12, v18, v2, vcc
	v_cmp_ne_u32_e64 s[26:27], 0, v12
	s_mov_b64 s[30:31], 0
	v_mov_b32_e32 v9, 0
                                        ; implicit-def: $vgpr13
                                        ; implicit-def: $vgpr5
	s_and_saveexec_b64 s[34:35], s[26:27]
	s_cbranch_execz .LBB2_8558
; %bb.8557:                             ;   in Loop: Header=BB2_8439 Depth=3
	v_sub_u32_e32 v2, v18, v2
	v_cndmask_b32_e32 v2, 0, v2, vcc
	v_cmp_lt_i32_e32 vcc, 0, v17
	v_add3_u32 v9, v15, v10, v2
	v_cndmask_b32_e32 v2, 0, v44, vcc
	v_sub_u32_e32 v2, v2, v17
	v_lshl_add_u32 v13, v2, 6, v14
	v_ashrrev_i32_e32 v2, 31, v13
	v_lshrrev_b32_e32 v2, 26, v2
	v_add_u32_e32 v2, v13, v2
	s_mov_b64 s[30:31], exec
	v_ashrrev_i32_e32 v5, 6, v2
.LBB2_8558:                             ;   in Loop: Header=BB2_8439 Depth=3
	s_or_b64 exec, exec, s[34:35]
	s_and_b64 s[30:31], s[30:31], exec
.LBB2_8559:                             ;   in Loop: Header=BB2_8439 Depth=3
	s_or_b64 exec, exec, s[28:29]
	s_and_saveexec_b64 s[26:27], s[30:31]
	s_cbranch_execz .LBB2_8569
.LBB2_8560:                             ;   in Loop: Header=BB2_8439 Depth=3
	v_ashrrev_i32_e32 v2, 31, v12
	v_lshrrev_b32_e32 v2, 23, v2
	v_add_u32_e32 v2, v12, v2
	v_ashrrev_i32_e32 v17, 9, v2
	v_sub_u32_e32 v14, v17, v5
	v_ashrrev_i32_e32 v2, 31, v13
	v_cmp_lt_i32_e32 vcc, 0, v14
	v_lshrrev_b32_e32 v15, 26, v2
	s_and_saveexec_b64 s[28:29], vcc
	s_cbranch_execz .LBB2_8564
; %bb.8561:                             ;   in Loop: Header=BB2_8439 Depth=3
	s_trap 2
	ds_read_b64 v[2:3], v0
	v_add_u32_e32 v8, v13, v15
	v_and_b32_e32 v8, 0xffffffc0, v8
	v_sub_u32_e32 v8, v13, v8
	v_lshlrev_b32_e32 v5, 9, v5
	v_add3_u32 v8, v9, v8, v5
	v_ashrrev_i32_e32 v5, 31, v8
	s_mov_b64 s[30:31], 0
	s_waitcnt lgkmcnt(0)
	v_pk_mov_b32 v[10:11], v[2:3], v[2:3] op_sel:[0,1]
	v_accvgpr_read_b32 v28, a34
	v_accvgpr_read_b32 v29, a35
.LBB2_8562:                             ;   Parent Loop BB2_47 Depth=1
                                        ;     Parent Loop BB2_8436 Depth=2
                                        ;       Parent Loop BB2_8439 Depth=3
                                        ; =>      This Inner Loop Header: Depth=4
	v_add_co_u32_e32 v18, vcc, v8, v10
	v_addc_co_u32_e32 v19, vcc, v5, v11, vcc
	flat_load_ubyte v20, v[18:19] glc slc
	flat_load_ubyte v21, v[18:19] offset:64 glc slc
	flat_load_ubyte v22, v[18:19] offset:128 glc slc
	;; [unrolled: 1-line block ×7, first 2 shown]
	v_add_co_u32_e32 v18, vcc, v8, v2
	v_addc_co_u32_e32 v19, vcc, v5, v3, vcc
	v_add_co_u32_e32 v10, vcc, v10, v28
	v_addc_co_u32_e32 v11, vcc, v11, v29, vcc
	v_add_co_u32_e32 v2, vcc, v2, v28
	v_sub_u32_e32 v14, v14, v44
	v_addc_co_u32_e32 v3, vcc, v3, v29, vcc
	v_cmp_gt_i32_e32 vcc, 1, v14
	s_or_b64 s[30:31], vcc, s[30:31]
	s_waitcnt vmcnt(0) lgkmcnt(0)
	flat_store_byte v[18:19], v20 glc slc
	flat_store_byte v[18:19], v21 offset:64 glc slc
	flat_store_byte v[18:19], v22 offset:128 glc slc
	;; [unrolled: 1-line block ×7, first 2 shown]
	s_andn2_b64 exec, exec, s[30:31]
	s_cbranch_execnz .LBB2_8562
; %bb.8563:                             ;   in Loop: Header=BB2_8439 Depth=3
	s_or_b64 exec, exec, s[30:31]
.LBB2_8564:                             ;   in Loop: Header=BB2_8439 Depth=3
	s_or_b64 exec, exec, s[28:29]
	v_lshlrev_b32_e32 v2, 9, v17
	v_cmp_ne_u32_e32 vcc, v12, v2
	s_mov_b64 s[28:29], exec
	s_and_b64 vcc, s[28:29], vcc
	v_accvgpr_read_b32 v11, a36
	v_accvgpr_read_b32 v17, a37
	s_mov_b64 exec, vcc
	s_cbranch_execz .LBB2_8568
; %bb.8565:                             ;   in Loop: Header=BB2_8439 Depth=3
	v_add_u32_e32 v3, v13, v15
	v_and_b32_e32 v3, 0xffffffc0, v3
	v_sub_u32_e32 v3, v13, v3
	v_lshlrev_b32_e32 v5, 6, v14
	v_sub_u32_e32 v3, v3, v5
	v_add_u32_e32 v5, v2, v3
	v_sub_u32_e32 v10, v12, v5
	v_cmp_lt_i32_e32 vcc, 0, v10
	s_and_b64 exec, exec, vcc
	s_cbranch_execz .LBB2_8568
; %bb.8566:                             ;   in Loop: Header=BB2_8439 Depth=3
	s_trap 2
	ds_read_b64 v[2:3], v0
	v_add_u32_e32 v8, v5, v9
	v_ashrrev_i32_e32 v5, 31, v8
	s_mov_b64 s[30:31], 0
.LBB2_8567:                             ;   Parent Loop BB2_47 Depth=1
                                        ;     Parent Loop BB2_8436 Depth=2
                                        ;       Parent Loop BB2_8439 Depth=3
                                        ; =>      This Inner Loop Header: Depth=4
	s_waitcnt lgkmcnt(0)
	v_add_co_u32_e32 v12, vcc, v2, v8
	v_addc_co_u32_e32 v13, vcc, v3, v5, vcc
	flat_load_ubyte v9, v[12:13] glc slc
	v_add_co_u32_e32 v8, vcc, v8, v11
	v_sub_u32_e32 v10, v10, v41
	v_addc_co_u32_e32 v5, vcc, v5, v17, vcc
	v_cmp_gt_i32_e32 vcc, 1, v10
	s_or_b64 s[30:31], vcc, s[30:31]
	s_waitcnt vmcnt(0) lgkmcnt(0)
	flat_store_byte v[12:13], v9 glc slc
	s_andn2_b64 exec, exec, s[30:31]
	s_cbranch_execnz .LBB2_8567
.LBB2_8568:                             ;   in Loop: Header=BB2_8439 Depth=3
	s_or_b64 exec, exec, s[28:29]
.LBB2_8569:                             ;   in Loop: Header=BB2_8439 Depth=3
	s_or_b64 exec, exec, s[26:27]
.LBB2_8570:                             ;   in Loop: Header=BB2_8439 Depth=3
	s_and_saveexec_b64 s[26:27], s[10:11]
	s_cbranch_execz .LBB2_8589
; %bb.8571:                             ;   in Loop: Header=BB2_8439 Depth=3
	s_and_saveexec_b64 s[28:29], s[44:45]
	s_xor_b64 s[28:29], exec, s[28:29]
	s_cbranch_execz .LBB2_8586
; %bb.8572:                             ;   in Loop: Header=BB2_8439 Depth=3
	s_and_saveexec_b64 s[30:31], s[16:17]
	s_cbranch_execz .LBB2_8585
; %bb.8573:                             ;   in Loop: Header=BB2_8439 Depth=3
	s_mov_b64 s[64:65], exec
	v_mbcnt_lo_u32_b32 v2, s64, 0
	v_mbcnt_hi_u32_b32 v2, s65, v2
	v_cmp_eq_u32_e32 vcc, 0, v2
	s_waitcnt vmcnt(0) lgkmcnt(0)
	buffer_wbinvl1_vol
	s_and_saveexec_b64 s[34:35], vcc
	s_cbranch_execz .LBB2_8575
; %bb.8574:                             ;   in Loop: Header=BB2_8439 Depth=3
	s_bcnt1_i32_b64 vcc_lo, s[64:65]
	v_mov_b32_e32 v50, vcc_lo
	ds_add_u64 v0, v[50:51]
	s_trap 2
.LBB2_8575:                             ;   in Loop: Header=BB2_8439 Depth=3
	s_or_b64 exec, exec, s[34:35]
	s_trap 2
	ds_read_b64 v[2:3], v0
	v_accvgpr_read_b32 v8, a14
	v_accvgpr_read_b32 v9, a15
	v_add_co_u32_e32 v8, vcc, v8, v44
	v_addc_co_u32_e32 v9, vcc, 0, v9, vcc
	v_accvgpr_write_b32 a15, v9
	v_accvgpr_write_b32 a14, v8
	s_waitcnt lgkmcnt(0)
	v_cmp_lt_u64_e32 vcc, v[2:3], v[8:9]
	s_and_saveexec_b64 s[34:35], vcc
	s_cbranch_execz .LBB2_8584
; %bb.8576:                             ;   in Loop: Header=BB2_8439 Depth=3
	s_mov_b32 s75, 0
	s_mov_b64 s[64:65], 0
                                        ; implicit-def: $sgpr66_sgpr67
                                        ; implicit-def: $sgpr68_sgpr69
	s_branch .LBB2_8578
.LBB2_8577:                             ;   in Loop: Header=BB2_8578 Depth=4
	s_or_b64 exec, exec, s[72:73]
	s_and_b64 vcc, exec, vcc
	s_or_b64 s[64:65], vcc, s[64:65]
	s_andn2_b64 vcc, s[66:67], exec
	s_and_b64 s[46:47], s[68:69], exec
	s_or_b64 s[66:67], vcc, s[46:47]
	s_andn2_b64 exec, exec, s[64:65]
	s_cbranch_execz .LBB2_8582
.LBB2_8578:                             ;   Parent Loop BB2_47 Depth=1
                                        ;     Parent Loop BB2_8436 Depth=2
                                        ;       Parent Loop BB2_8439 Depth=3
                                        ; =>      This Inner Loop Header: Depth=4
	s_add_i32 s75, s75, 1
	s_cmpk_lg_i32 s75, 0x2710
	s_cselect_b64 s[70:71], -1, 0
	s_and_b64 vcc, exec, s[70:71]
                                        ; implicit-def: $sgpr72_sgpr73
	s_cbranch_vccnz .LBB2_8580
; %bb.8579:                             ;   in Loop: Header=BB2_8578 Depth=4
	s_trap 2
	ds_read_b64 v[2:3], v0
	s_andn2_b64 s[46:47], s[70:71], exec
	s_mov_b32 s75, 0
	s_mov_b64 s[72:73], -1
	s_waitcnt lgkmcnt(0)
	flat_load_dword v2, v[2:3] glc
	s_waitcnt vmcnt(0) lgkmcnt(0)
	buffer_invl2
	buffer_wbinvl1_vol
	v_cmp_eq_u32_e32 vcc, 0, v2
	s_and_b64 vcc, vcc, exec
	s_or_b64 s[70:71], s[46:47], vcc
.LBB2_8580:                             ;   in Loop: Header=BB2_8578 Depth=4
	s_andn2_b64 s[46:47], s[68:69], exec
	s_and_b64 s[68:69], s[72:73], exec
	s_mov_b64 vcc, -1
	s_or_b64 s[68:69], s[46:47], s[68:69]
	s_and_saveexec_b64 s[72:73], s[70:71]
	s_cbranch_execz .LBB2_8577
; %bb.8581:                             ;   in Loop: Header=BB2_8578 Depth=4
	s_sleep 1
	s_trap 2
	ds_read_b64 v[2:3], v0
	v_accvgpr_read_b32 v8, a14
	v_accvgpr_read_b32 v9, a15
	s_andn2_b64 s[68:69], s[68:69], exec
	s_waitcnt lgkmcnt(0)
	v_cmp_ge_u64_e32 vcc, v[2:3], v[8:9]
	s_orn2_b64 vcc, vcc, exec
	s_branch .LBB2_8577
.LBB2_8582:                             ;   in Loop: Header=BB2_8439 Depth=3
	s_or_b64 exec, exec, s[64:65]
	s_and_saveexec_b64 vcc, s[66:67]
	s_xor_b64 vcc, exec, vcc
	s_cbranch_execz .LBB2_8584
; %bb.8583:                             ;   in Loop: Header=BB2_8439 Depth=3
	v_mov_b32_e32 v2, 1
	ds_write_b32 v0, v2
	s_trap 2
.LBB2_8584:                             ;   in Loop: Header=BB2_8439 Depth=3
	s_or_b64 exec, exec, s[34:35]
	;;#ASMSTART
	s_wakeup
	;;#ASMEND
.LBB2_8585:                             ;   in Loop: Header=BB2_8439 Depth=3
	s_or_b64 exec, exec, s[30:31]
.LBB2_8586:                             ;   in Loop: Header=BB2_8439 Depth=3
	s_andn2_saveexec_b64 s[28:29], s[28:29]
	s_cbranch_execz .LBB2_8588
; %bb.8587:                             ;   in Loop: Header=BB2_8439 Depth=3
	s_waitcnt vmcnt(0) lgkmcnt(0)
	buffer_wbinvl1_vol
	s_barrier
.LBB2_8588:                             ;   in Loop: Header=BB2_8439 Depth=3
	s_or_b64 exec, exec, s[28:29]
.LBB2_8589:                             ;   in Loop: Header=BB2_8439 Depth=3
	s_or_b64 exec, exec, s[26:27]
                                        ; implicit-def: $vgpr2
	s_and_saveexec_b64 s[26:27], s[24:25]
	s_xor_b64 s[28:29], exec, s[26:27]
	s_cbranch_execz .LBB2_8593
; %bb.8590:                             ;   in Loop: Header=BB2_8439 Depth=3
	v_cmp_lt_i32_e32 vcc, 0, v0
	v_and_b32_e32 v0, 16, v60
	v_cmp_ne_u32_e64 s[26:27], 0, v0
	v_and_b32_e32 v2, 16, v60
	s_and_b64 vcc, s[26:27], vcc
	s_and_saveexec_b64 s[26:27], vcc
	s_cbranch_execz .LBB2_8592
; %bb.8591:                             ;   in Loop: Header=BB2_8439 Depth=3
	v_mov_b32_e32 v2, 1
	s_waitcnt vmcnt(0) lgkmcnt(0)
	buffer_wbinvl1_vol
.LBB2_8592:                             ;   in Loop: Header=BB2_8439 Depth=3
	s_or_b64 exec, exec, s[26:27]
	s_andn2_saveexec_b64 s[26:27], s[28:29]
	s_cbranch_execz .LBB2_8612
	s_branch .LBB2_8594
.LBB2_8593:                             ;   in Loop: Header=BB2_8439 Depth=3
	s_andn2_saveexec_b64 s[26:27], s[28:29]
	s_cbranch_execz .LBB2_8612
.LBB2_8594:                             ;   in Loop: Header=BB2_8439 Depth=3
	s_and_saveexec_b64 s[28:29], s[44:45]
	s_xor_b64 s[28:29], exec, s[28:29]
	s_cbranch_execz .LBB2_8609
; %bb.8595:                             ;   in Loop: Header=BB2_8439 Depth=3
	s_and_saveexec_b64 s[30:31], s[16:17]
	s_cbranch_execz .LBB2_8608
; %bb.8596:                             ;   in Loop: Header=BB2_8439 Depth=3
	s_mov_b64 s[64:65], exec
	v_mbcnt_lo_u32_b32 v0, s64, 0
	v_mbcnt_hi_u32_b32 v0, s65, v0
	v_cmp_eq_u32_e32 vcc, 0, v0
	;;#ASMSTART
	s_waitcnt lgkmcnt(0) vmcnt(0)
	;;#ASMEND
	s_and_saveexec_b64 s[34:35], vcc
	s_cbranch_execz .LBB2_8598
; %bb.8597:                             ;   in Loop: Header=BB2_8439 Depth=3
	s_bcnt1_i32_b64 vcc_lo, s[64:65]
	v_mov_b32_e32 v50, vcc_lo
	ds_add_u64 v0, v[50:51]
	s_trap 2
.LBB2_8598:                             ;   in Loop: Header=BB2_8439 Depth=3
	s_or_b64 exec, exec, s[34:35]
	s_trap 2
	ds_read_b64 v[2:3], v0
	v_accvgpr_read_b32 v8, a14
	v_accvgpr_read_b32 v9, a15
	v_add_co_u32_e32 v8, vcc, v8, v44
	v_addc_co_u32_e32 v9, vcc, 0, v9, vcc
	v_accvgpr_write_b32 a15, v9
	v_accvgpr_write_b32 a14, v8
	s_waitcnt lgkmcnt(0)
	v_cmp_lt_u64_e32 vcc, v[2:3], v[8:9]
	s_and_saveexec_b64 s[34:35], vcc
	s_cbranch_execz .LBB2_8607
; %bb.8599:                             ;   in Loop: Header=BB2_8439 Depth=3
	s_mov_b32 s75, 0
	s_mov_b64 s[64:65], 0
                                        ; implicit-def: $sgpr66_sgpr67
                                        ; implicit-def: $sgpr68_sgpr69
	s_branch .LBB2_8601
.LBB2_8600:                             ;   in Loop: Header=BB2_8601 Depth=4
	s_or_b64 exec, exec, s[72:73]
	s_and_b64 vcc, exec, vcc
	s_or_b64 s[64:65], vcc, s[64:65]
	s_andn2_b64 vcc, s[66:67], exec
	s_and_b64 s[46:47], s[68:69], exec
	s_or_b64 s[66:67], vcc, s[46:47]
	s_andn2_b64 exec, exec, s[64:65]
	s_cbranch_execz .LBB2_8605
.LBB2_8601:                             ;   Parent Loop BB2_47 Depth=1
                                        ;     Parent Loop BB2_8436 Depth=2
                                        ;       Parent Loop BB2_8439 Depth=3
                                        ; =>      This Inner Loop Header: Depth=4
	s_add_i32 s75, s75, 1
	s_cmpk_lg_i32 s75, 0x2710
	s_cselect_b64 s[70:71], -1, 0
	s_and_b64 vcc, exec, s[70:71]
                                        ; implicit-def: $sgpr72_sgpr73
	s_cbranch_vccnz .LBB2_8603
; %bb.8602:                             ;   in Loop: Header=BB2_8601 Depth=4
	s_trap 2
	ds_read_b64 v[2:3], v0
	s_andn2_b64 s[46:47], s[70:71], exec
	s_mov_b32 s75, 0
	s_mov_b64 s[72:73], -1
	s_waitcnt vmcnt(0) lgkmcnt(0)
	flat_load_dword v0, v[2:3] glc
	s_waitcnt vmcnt(0) lgkmcnt(0)
	buffer_invl2
	buffer_wbinvl1_vol
	v_cmp_eq_u32_e32 vcc, 0, v0
	s_and_b64 vcc, vcc, exec
	s_or_b64 s[70:71], s[46:47], vcc
.LBB2_8603:                             ;   in Loop: Header=BB2_8601 Depth=4
	s_andn2_b64 s[46:47], s[68:69], exec
	s_and_b64 s[68:69], s[72:73], exec
	s_mov_b64 vcc, -1
	s_or_b64 s[68:69], s[46:47], s[68:69]
	s_and_saveexec_b64 s[72:73], s[70:71]
	s_cbranch_execz .LBB2_8600
; %bb.8604:                             ;   in Loop: Header=BB2_8601 Depth=4
	s_sleep 1
	s_trap 2
	ds_read_b64 v[2:3], v0
	v_accvgpr_read_b32 v8, a14
	v_accvgpr_read_b32 v9, a15
	s_andn2_b64 s[68:69], s[68:69], exec
	s_waitcnt lgkmcnt(0)
	v_cmp_ge_u64_e32 vcc, v[2:3], v[8:9]
	s_orn2_b64 vcc, vcc, exec
	s_branch .LBB2_8600
.LBB2_8605:                             ;   in Loop: Header=BB2_8439 Depth=3
	s_or_b64 exec, exec, s[64:65]
	s_and_saveexec_b64 vcc, s[66:67]
	s_xor_b64 vcc, exec, vcc
	s_cbranch_execz .LBB2_8607
; %bb.8606:                             ;   in Loop: Header=BB2_8439 Depth=3
	v_mov_b32_e32 v0, 1
	ds_write_b32 v0, v0
	s_trap 2
.LBB2_8607:                             ;   in Loop: Header=BB2_8439 Depth=3
	s_or_b64 exec, exec, s[34:35]
	;;#ASMSTART
	s_wakeup
	;;#ASMEND
.LBB2_8608:                             ;   in Loop: Header=BB2_8439 Depth=3
	s_or_b64 exec, exec, s[30:31]
.LBB2_8609:                             ;   in Loop: Header=BB2_8439 Depth=3
	s_andn2_saveexec_b64 s[28:29], s[28:29]
	s_cbranch_execz .LBB2_8611
; %bb.8610:                             ;   in Loop: Header=BB2_8439 Depth=3
	;;#ASMSTART
	s_waitcnt lgkmcnt(0) vmcnt(0)
	;;#ASMEND
	s_barrier
.LBB2_8611:                             ;   in Loop: Header=BB2_8439 Depth=3
	s_or_b64 exec, exec, s[28:29]
	v_and_b32_e32 v2, 16, v60
.LBB2_8612:                             ;   in Loop: Header=BB2_8439 Depth=3
	s_or_b64 exec, exec, s[26:27]
	v_cmp_ne_u32_e32 vcc, 0, v2
	s_xor_b64 s[26:27], s[12:13], -1
	s_and_b64 s[28:29], vcc, s[26:27]
	s_and_saveexec_b64 s[26:27], s[28:29]
	s_cbranch_execz .LBB2_8614
; %bb.8613:                             ;   in Loop: Header=BB2_8439 Depth=3
	v_accvgpr_read_b32 v2, a20
	v_accvgpr_read_b32 v3, a21
	v_mov_b32_e32 v0, 1
	flat_store_dword v[2:3], v0
.LBB2_8614:                             ;   in Loop: Header=BB2_8439 Depth=3
	s_or_b64 exec, exec, s[26:27]
	v_and_b32_e32 v0, 48, v60
	v_cmp_ne_u32_e32 vcc, 0, v0
	s_and_saveexec_b64 s[26:27], vcc
	s_cbranch_execz .LBB2_8438
; %bb.8615:                             ;   in Loop: Header=BB2_8439 Depth=3
	v_add_co_u32_e32 v32, vcc, 2, v32
	v_addc_co_u32_e32 v33, vcc, 0, v33, vcc
	flat_store_dwordx2 v[34:35], v[32:33]
	s_branch .LBB2_8438
.LBB2_8616:                             ;   in Loop: Header=BB2_8436 Depth=2
	s_or_b64 exec, exec, s[58:59]
	v_cmp_gt_i32_e32 vcc, 2, v0
	s_and_saveexec_b64 s[28:29], vcc
	s_cbranch_execz .LBB2_8690
.LBB2_8617:                             ;   in Loop: Header=BB2_8436 Depth=2
	v_cmp_eq_u32_e64 s[26:27], 0, v0
	s_mov_b64 s[30:31], 0
	s_branch .LBB2_8619
.LBB2_8618:                             ;   in Loop: Header=BB2_8619 Depth=3
	s_or_b64 exec, exec, s[26:27]
	v_add_u32_e32 v6, v4, v6
	s_mov_b64 s[26:27], 0
	s_andn2_b64 exec, exec, s[30:31]
	s_cbranch_execz .LBB2_8691
.LBB2_8619:                             ;   Parent Loop BB2_47 Depth=1
                                        ;     Parent Loop BB2_8436 Depth=2
                                        ; =>    This Loop Header: Depth=3
                                        ;         Child Loop BB2_8625 Depth 4
                                        ;         Child Loop BB2_8655 Depth 4
	;; [unrolled: 1-line block ×3, first 2 shown]
	v_and_b32_e32 v0, 12, v60
	s_mov_b64 s[58:59], -1
	v_cmp_ne_u32_e32 vcc, 0, v0
	s_and_saveexec_b64 s[34:35], vcc
	s_cbranch_execz .LBB2_8631
; %bb.8620:                             ;   in Loop: Header=BB2_8619 Depth=3
	v_and_b32_e32 v2, 8, v60
	v_add_co_u32_e32 v10, vcc, v48, v2
	v_addc_co_u32_e32 v11, vcc, 0, v49, vcc
	v_add_co_u32_e32 v8, vcc, 2, v32
	v_addc_co_u32_e32 v9, vcc, 0, v33, vcc
	v_cmp_lt_u64_e32 vcc, v[10:11], v[8:9]
	v_mov_b32_e32 v0, 1
	s_and_saveexec_b64 s[58:59], vcc
	s_cbranch_execz .LBB2_8630
; %bb.8621:                             ;   in Loop: Header=BB2_8619 Depth=3
	s_mov_b64 s[60:61], 0
	v_mov_b32_e32 v0, 0
                                        ; implicit-def: $sgpr62_sgpr63
	s_branch .LBB2_8625
.LBB2_8622:                             ;   in Loop: Header=BB2_8625 Depth=4
	s_or_b64 exec, exec, s[70:71]
	v_mov_b32_e32 v3, 0
	s_orn2_b64 s[68:69], s[68:69], exec
.LBB2_8623:                             ;   in Loop: Header=BB2_8625 Depth=4
	s_or_b64 exec, exec, s[66:67]
	s_andn2_b64 vcc, s[62:63], exec
	s_and_b64 s[46:47], s[68:69], exec
	s_or_b64 s[62:63], vcc, s[46:47]
	v_mov_b32_e32 v0, v3
.LBB2_8624:                             ;   in Loop: Header=BB2_8625 Depth=4
	s_or_b64 exec, exec, s[64:65]
	s_waitcnt vmcnt(0) lgkmcnt(0)
	v_add_co_u32_e32 v10, vcc, v48, v2
	v_addc_co_u32_e32 v11, vcc, 0, v49, vcc
	v_cmp_ge_u64_e32 vcc, v[10:11], v[8:9]
	s_xor_b64 s[46:47], s[62:63], -1
	s_or_b64 vcc, s[46:47], vcc
	s_and_b64 vcc, exec, vcc
	s_or_b64 s[60:61], vcc, s[60:61]
	s_andn2_b64 exec, exec, s[60:61]
	s_cbranch_execz .LBB2_8629
.LBB2_8625:                             ;   Parent Loop BB2_47 Depth=1
                                        ;     Parent Loop BB2_8436 Depth=2
                                        ;       Parent Loop BB2_8619 Depth=3
                                        ; =>      This Inner Loop Header: Depth=4
	s_sleep 1
	flat_load_dwordx2 v[48:49], v[34:35] glc
	v_and_b32_e32 v3, 64, v60
	v_cmp_eq_u32_e32 vcc, 0, v3
	s_andn2_b64 s[62:63], s[62:63], exec
	s_and_saveexec_b64 s[64:65], vcc
	s_cbranch_execz .LBB2_8624
; %bb.8626:                             ;   in Loop: Header=BB2_8625 Depth=4
	v_add_u32_e32 v3, 1, v0
	v_cmp_lt_i32_e32 vcc, s91, v0
	s_mov_b64 s[68:69], -1
	s_and_saveexec_b64 s[66:67], vcc
	s_cbranch_execz .LBB2_8623
; %bb.8627:                             ;   in Loop: Header=BB2_8625 Depth=4
	s_trap 2
	ds_read_b64 v[10:11], v0
	s_waitcnt vmcnt(0) lgkmcnt(0)
	flat_load_dword v0, v[10:11] glc
	s_waitcnt vmcnt(0) lgkmcnt(0)
	buffer_invl2
	buffer_wbinvl1_vol
	v_cmp_ne_u32_e32 vcc, 0, v0
	s_and_saveexec_b64 s[70:71], vcc
	s_cbranch_execz .LBB2_8622
; %bb.8628:                             ;   in Loop: Header=BB2_8625 Depth=4
	v_or_b32_e32 v60, 64, v60
	s_xor_b64 s[68:69], exec, -1
	ds_write_b32 v0, v0
	s_trap 2
	s_branch .LBB2_8622
.LBB2_8629:                             ;   in Loop: Header=BB2_8619 Depth=3
	s_or_b64 exec, exec, s[60:61]
	v_and_b32_e32 v0, 12, v60
.LBB2_8630:                             ;   in Loop: Header=BB2_8619 Depth=3
	s_or_b64 exec, exec, s[58:59]
	v_cmp_eq_u32_e32 vcc, 0, v0
	s_orn2_b64 s[58:59], vcc, exec
	;;#ASMSTART
	s_wakeup
	;;#ASMEND
.LBB2_8631:                             ;   in Loop: Header=BB2_8619 Depth=3
	s_or_b64 exec, exec, s[34:35]
	s_xor_b64 s[26:27], s[26:27], -1
	s_and_b64 s[26:27], exec, s[26:27]
	s_or_b64 s[30:31], s[26:27], s[30:31]
	v_sub_u32_e32 v0, v1, v6
	s_xor_b64 s[26:27], s[58:59], -1
	v_min_i32_e32 v4, v4, v0
	s_and_saveexec_b64 s[34:35], s[26:27]
	s_cbranch_execz .LBB2_8647
; %bb.8632:                             ;   in Loop: Header=BB2_8619 Depth=3
	v_and_b32_e32 v0, 0x108, v60
	v_cmp_ne_u32_e32 vcc, s92, v0
	v_and_b32_e32 v2, 7, v32
	s_and_saveexec_b64 s[26:27], vcc
	s_xor_b64 s[26:27], exec, s[26:27]
	s_andn2_saveexec_b64 s[26:27], s[26:27]
	s_cbranch_execz .LBB2_8634
; %bb.8633:                             ;   in Loop: Header=BB2_8619 Depth=3
	v_accvgpr_read_b32 v8, a12
	v_accvgpr_read_b32 v9, a13
	v_mad_u64_u32 v[8:9], vcc, v2, 24, v[8:9]
	v_ashrrev_i32_e32 v5, 31, v4
	flat_store_dwordx2 v[8:9], v[4:5] offset:8
.LBB2_8634:                             ;   in Loop: Header=BB2_8619 Depth=3
	s_or_b64 exec, exec, s[26:27]
	v_and_b32_e32 v0, 0x100, v60
	v_cmp_ne_u32_e32 vcc, 0, v0
	s_mov_b64 s[26:27], -1
                                        ; implicit-def: $vgpr8_vgpr9
	s_and_saveexec_b64 s[58:59], vcc
	s_cbranch_execz .LBB2_8638
; %bb.8635:                             ;   in Loop: Header=BB2_8619 Depth=3
	v_accvgpr_read_b32 v8, a12
	v_accvgpr_read_b32 v9, a13
	v_mad_u64_u32 v[10:11], s[26:27], v2, 24, v[8:9]
	v_mov_b32_e32 v0, v11
	v_mad_u64_u32 v[8:9], s[26:27], v51, 24, v[0:1]
	v_mov_b32_e32 v11, v8
	flat_load_dword v0, v[10:11]
                                        ; implicit-def: $vgpr8_vgpr9
	s_waitcnt vmcnt(0) lgkmcnt(0)
	v_cmp_ne_u32_e32 vcc, 1, v0
	v_cmp_eq_u32_e64 s[26:27], 1, v0
	s_and_saveexec_b64 s[60:61], s[26:27]
	s_cbranch_execz .LBB2_8637
; %bb.8636:                             ;   in Loop: Header=BB2_8619 Depth=3
	flat_load_dword v8, v[10:11] offset:4 glc
	s_waitcnt vmcnt(0) lgkmcnt(0)
	v_ashrrev_i32_e32 v9, 31, v8
.LBB2_8637:                             ;   in Loop: Header=BB2_8619 Depth=3
	s_or_b64 exec, exec, s[60:61]
	s_orn2_b64 s[26:27], vcc, exec
.LBB2_8638:                             ;   in Loop: Header=BB2_8619 Depth=3
	s_or_b64 exec, exec, s[58:59]
	s_and_saveexec_b64 vcc, s[26:27]
; %bb.8639:                             ;   in Loop: Header=BB2_8619 Depth=3
	v_accvgpr_read_b32 v8, a16
	v_accvgpr_read_b32 v3, a17
	v_mul_lo_u32 v0, v51, v8
	v_mul_lo_u32 v3, v2, v3
	v_mad_u64_u32 v[8:9], s[26:27], v2, v8, 0
	v_add3_u32 v9, v9, v3, v0
; %bb.8640:                             ;   in Loop: Header=BB2_8619 Depth=3
	s_or_b64 exec, exec, vcc
	v_accvgpr_read_b32 v2, a18
	v_accvgpr_read_b32 v3, a19
	v_add_co_u32_e32 v2, vcc, v2, v8
	v_addc_co_u32_e32 v3, vcc, v3, v9, vcc
	s_trap 2
	ds_write_b64 v0, v[2:3]
	v_and_b32_e32 v0, 0x2000, v60
	v_cmp_ne_u32_e32 vcc, 0, v0
	s_and_saveexec_b64 s[26:27], vcc
	s_cbranch_execz .LBB2_8642
; %bb.8641:                             ;   in Loop: Header=BB2_8619 Depth=3
	ds_read_b64 v[2:3], v0 offset:584
	s_waitcnt lgkmcnt(0)
	v_add_co_u32_e32 v2, vcc, 1, v2
	v_addc_co_u32_e32 v3, vcc, 0, v3, vcc
	ds_write_b64 v0, v[2:3] offset:584
.LBB2_8642:                             ;   in Loop: Header=BB2_8619 Depth=3
	s_or_b64 exec, exec, s[26:27]
	v_add_co_u32_e32 v32, vcc, 2, v32
	v_addc_co_u32_e32 v33, vcc, 0, v33, vcc
	s_or_b64 exec, exec, s[34:35]
	s_and_saveexec_b64 s[26:27], s[10:11]
	s_cbranch_execnz .LBB2_8648
.LBB2_8643:                             ;   in Loop: Header=BB2_8619 Depth=3
	s_or_b64 exec, exec, s[26:27]
                                        ; implicit-def: $vgpr0
	s_and_saveexec_b64 s[26:27], s[24:25]
	s_xor_b64 s[26:27], exec, s[26:27]
	s_cbranch_execz .LBB2_8666
.LBB2_8644:                             ;   in Loop: Header=BB2_8619 Depth=3
	s_trap 2
	ds_read_b32 v2, v0
	v_cmp_lt_i32_e32 vcc, 0, v4
	v_and_b32_e32 v3, 16, v60
	v_and_b32_e32 v0, 16, v60
	s_waitcnt lgkmcnt(0)
	v_readfirstlane_b32 s34, v2
	s_cmp_eq_u32 s34, 0
	s_cselect_b64 s[34:35], -1, 0
	s_and_b64 s[34:35], vcc, s[34:35]
	v_cmp_ne_u32_e32 vcc, 0, v3
	s_and_b64 s[34:35], vcc, s[34:35]
	s_and_saveexec_b64 vcc, s[34:35]
	s_cbranch_execz .LBB2_8646
; %bb.8645:                             ;   in Loop: Header=BB2_8619 Depth=3
	v_mov_b32_e32 v0, 1
	s_waitcnt vmcnt(0)
	buffer_wbinvl1_vol
.LBB2_8646:                             ;   in Loop: Header=BB2_8619 Depth=3
	s_or_b64 exec, exec, vcc
	s_andn2_saveexec_b64 s[26:27], s[26:27]
	s_cbranch_execz .LBB2_8685
	s_branch .LBB2_8667
.LBB2_8647:                             ;   in Loop: Header=BB2_8619 Depth=3
	s_or_b64 exec, exec, s[34:35]
	s_and_saveexec_b64 s[26:27], s[10:11]
	s_cbranch_execz .LBB2_8643
.LBB2_8648:                             ;   in Loop: Header=BB2_8619 Depth=3
	s_and_saveexec_b64 vcc, s[44:45]
	s_xor_b64 s[34:35], exec, vcc
	s_cbranch_execz .LBB2_8663
; %bb.8649:                             ;   in Loop: Header=BB2_8619 Depth=3
	s_and_saveexec_b64 s[58:59], s[16:17]
	s_cbranch_execz .LBB2_8662
; %bb.8650:                             ;   in Loop: Header=BB2_8619 Depth=3
	s_mov_b64 s[62:63], exec
	v_mbcnt_lo_u32_b32 v0, s62, 0
	v_mbcnt_hi_u32_b32 v0, s63, v0
	v_cmp_eq_u32_e32 vcc, 0, v0
	s_waitcnt vmcnt(0) lgkmcnt(0)
	buffer_wbinvl1_vol
	s_and_saveexec_b64 s[60:61], vcc
	s_cbranch_execz .LBB2_8652
; %bb.8651:                             ;   in Loop: Header=BB2_8619 Depth=3
	s_bcnt1_i32_b64 vcc_lo, s[62:63]
	v_mov_b32_e32 v50, vcc_lo
	ds_add_u64 v0, v[50:51]
	s_trap 2
.LBB2_8652:                             ;   in Loop: Header=BB2_8619 Depth=3
	s_or_b64 exec, exec, s[60:61]
	s_trap 2
	ds_read_b64 v[2:3], v0
	v_accvgpr_read_b32 v8, a14
	v_accvgpr_read_b32 v9, a15
	v_add_co_u32_e32 v8, vcc, v8, v44
	v_addc_co_u32_e32 v9, vcc, 0, v9, vcc
	v_accvgpr_write_b32 a15, v9
	v_accvgpr_write_b32 a14, v8
	s_waitcnt lgkmcnt(0)
	v_cmp_lt_u64_e32 vcc, v[2:3], v[8:9]
	s_and_saveexec_b64 s[60:61], vcc
	s_cbranch_execz .LBB2_8661
; %bb.8653:                             ;   in Loop: Header=BB2_8619 Depth=3
	s_mov_b32 s72, 0
	s_mov_b64 s[62:63], 0
                                        ; implicit-def: $sgpr64_sgpr65
                                        ; implicit-def: $sgpr66_sgpr67
	s_branch .LBB2_8655
.LBB2_8654:                             ;   in Loop: Header=BB2_8655 Depth=4
	s_or_b64 exec, exec, s[70:71]
	s_and_b64 vcc, exec, vcc
	s_or_b64 s[62:63], vcc, s[62:63]
	s_andn2_b64 vcc, s[64:65], exec
	s_and_b64 s[46:47], s[66:67], exec
	s_or_b64 s[64:65], vcc, s[46:47]
	s_andn2_b64 exec, exec, s[62:63]
	s_cbranch_execz .LBB2_8659
.LBB2_8655:                             ;   Parent Loop BB2_47 Depth=1
                                        ;     Parent Loop BB2_8436 Depth=2
                                        ;       Parent Loop BB2_8619 Depth=3
                                        ; =>      This Inner Loop Header: Depth=4
	s_add_i32 s72, s72, 1
	s_cmpk_lg_i32 s72, 0x2710
	s_cselect_b64 s[68:69], -1, 0
	s_and_b64 vcc, exec, s[68:69]
                                        ; implicit-def: $sgpr70_sgpr71
	s_cbranch_vccnz .LBB2_8657
; %bb.8656:                             ;   in Loop: Header=BB2_8655 Depth=4
	s_trap 2
	ds_read_b64 v[2:3], v0
	s_andn2_b64 s[46:47], s[68:69], exec
	s_mov_b32 s72, 0
	s_mov_b64 s[70:71], -1
	s_waitcnt lgkmcnt(0)
	flat_load_dword v0, v[2:3] glc
	s_waitcnt vmcnt(0) lgkmcnt(0)
	buffer_invl2
	buffer_wbinvl1_vol
	v_cmp_eq_u32_e32 vcc, 0, v0
	s_and_b64 vcc, vcc, exec
	s_or_b64 s[68:69], s[46:47], vcc
.LBB2_8657:                             ;   in Loop: Header=BB2_8655 Depth=4
	s_andn2_b64 s[46:47], s[66:67], exec
	s_and_b64 s[66:67], s[70:71], exec
	s_mov_b64 vcc, -1
	s_or_b64 s[66:67], s[46:47], s[66:67]
	s_and_saveexec_b64 s[70:71], s[68:69]
	s_cbranch_execz .LBB2_8654
; %bb.8658:                             ;   in Loop: Header=BB2_8655 Depth=4
	s_sleep 1
	s_trap 2
	ds_read_b64 v[2:3], v0
	v_accvgpr_read_b32 v8, a14
	v_accvgpr_read_b32 v9, a15
	s_andn2_b64 s[66:67], s[66:67], exec
	s_waitcnt lgkmcnt(0)
	v_cmp_ge_u64_e32 vcc, v[2:3], v[8:9]
	s_orn2_b64 vcc, vcc, exec
	s_branch .LBB2_8654
.LBB2_8659:                             ;   in Loop: Header=BB2_8619 Depth=3
	s_or_b64 exec, exec, s[62:63]
	s_and_saveexec_b64 vcc, s[64:65]
	s_xor_b64 vcc, exec, vcc
	s_cbranch_execz .LBB2_8661
; %bb.8660:                             ;   in Loop: Header=BB2_8619 Depth=3
	v_mov_b32_e32 v0, 1
	ds_write_b32 v0, v0
	s_trap 2
.LBB2_8661:                             ;   in Loop: Header=BB2_8619 Depth=3
	s_or_b64 exec, exec, s[60:61]
	;;#ASMSTART
	s_wakeup
	;;#ASMEND
.LBB2_8662:                             ;   in Loop: Header=BB2_8619 Depth=3
	s_or_b64 exec, exec, s[58:59]
.LBB2_8663:                             ;   in Loop: Header=BB2_8619 Depth=3
	s_andn2_saveexec_b64 vcc, s[34:35]
	s_cbranch_execz .LBB2_8665
; %bb.8664:                             ;   in Loop: Header=BB2_8619 Depth=3
	s_waitcnt vmcnt(0) lgkmcnt(0)
	buffer_wbinvl1_vol
	s_barrier
.LBB2_8665:                             ;   in Loop: Header=BB2_8619 Depth=3
	s_or_b64 exec, exec, vcc
	s_or_b64 exec, exec, s[26:27]
                                        ; implicit-def: $vgpr0
	s_and_saveexec_b64 s[26:27], s[24:25]
	s_xor_b64 s[26:27], exec, s[26:27]
	s_cbranch_execnz .LBB2_8644
.LBB2_8666:                             ;   in Loop: Header=BB2_8619 Depth=3
	s_andn2_saveexec_b64 s[26:27], s[26:27]
	s_cbranch_execz .LBB2_8685
.LBB2_8667:                             ;   in Loop: Header=BB2_8619 Depth=3
	s_and_saveexec_b64 vcc, s[44:45]
	s_xor_b64 s[34:35], exec, vcc
	s_cbranch_execz .LBB2_8682
; %bb.8668:                             ;   in Loop: Header=BB2_8619 Depth=3
	s_and_saveexec_b64 s[58:59], s[16:17]
	s_cbranch_execz .LBB2_8681
; %bb.8669:                             ;   in Loop: Header=BB2_8619 Depth=3
	s_mov_b64 s[62:63], exec
	v_mbcnt_lo_u32_b32 v0, s62, 0
	v_mbcnt_hi_u32_b32 v0, s63, v0
	v_cmp_eq_u32_e32 vcc, 0, v0
	;;#ASMSTART
	s_waitcnt lgkmcnt(0) vmcnt(0)
	;;#ASMEND
	s_and_saveexec_b64 s[60:61], vcc
	s_cbranch_execz .LBB2_8671
; %bb.8670:                             ;   in Loop: Header=BB2_8619 Depth=3
	s_bcnt1_i32_b64 vcc_lo, s[62:63]
	v_mov_b32_e32 v50, vcc_lo
	ds_add_u64 v0, v[50:51]
	s_trap 2
.LBB2_8671:                             ;   in Loop: Header=BB2_8619 Depth=3
	s_or_b64 exec, exec, s[60:61]
	s_trap 2
	ds_read_b64 v[2:3], v0
	v_accvgpr_read_b32 v8, a14
	v_accvgpr_read_b32 v9, a15
	v_add_co_u32_e32 v8, vcc, v8, v44
	v_addc_co_u32_e32 v9, vcc, 0, v9, vcc
	v_accvgpr_write_b32 a15, v9
	v_accvgpr_write_b32 a14, v8
	s_waitcnt lgkmcnt(0)
	v_cmp_lt_u64_e32 vcc, v[2:3], v[8:9]
	s_and_saveexec_b64 s[60:61], vcc
	s_cbranch_execz .LBB2_8680
; %bb.8672:                             ;   in Loop: Header=BB2_8619 Depth=3
	s_mov_b32 s72, 0
	s_mov_b64 s[62:63], 0
                                        ; implicit-def: $sgpr64_sgpr65
                                        ; implicit-def: $sgpr66_sgpr67
	s_branch .LBB2_8674
.LBB2_8673:                             ;   in Loop: Header=BB2_8674 Depth=4
	s_or_b64 exec, exec, s[70:71]
	s_and_b64 vcc, exec, vcc
	s_or_b64 s[62:63], vcc, s[62:63]
	s_andn2_b64 vcc, s[64:65], exec
	s_and_b64 s[46:47], s[66:67], exec
	s_or_b64 s[64:65], vcc, s[46:47]
	s_andn2_b64 exec, exec, s[62:63]
	s_cbranch_execz .LBB2_8678
.LBB2_8674:                             ;   Parent Loop BB2_47 Depth=1
                                        ;     Parent Loop BB2_8436 Depth=2
                                        ;       Parent Loop BB2_8619 Depth=3
                                        ; =>      This Inner Loop Header: Depth=4
	s_add_i32 s72, s72, 1
	s_cmpk_lg_i32 s72, 0x2710
	s_cselect_b64 s[68:69], -1, 0
	s_and_b64 vcc, exec, s[68:69]
                                        ; implicit-def: $sgpr70_sgpr71
	s_cbranch_vccnz .LBB2_8676
; %bb.8675:                             ;   in Loop: Header=BB2_8674 Depth=4
	s_trap 2
	ds_read_b64 v[2:3], v0
	s_andn2_b64 s[46:47], s[68:69], exec
	s_mov_b32 s72, 0
	s_mov_b64 s[70:71], -1
	s_waitcnt vmcnt(0) lgkmcnt(0)
	flat_load_dword v0, v[2:3] glc
	s_waitcnt vmcnt(0) lgkmcnt(0)
	buffer_invl2
	buffer_wbinvl1_vol
	v_cmp_eq_u32_e32 vcc, 0, v0
	s_and_b64 vcc, vcc, exec
	s_or_b64 s[68:69], s[46:47], vcc
.LBB2_8676:                             ;   in Loop: Header=BB2_8674 Depth=4
	s_andn2_b64 s[46:47], s[66:67], exec
	s_and_b64 s[66:67], s[70:71], exec
	s_mov_b64 vcc, -1
	s_or_b64 s[66:67], s[46:47], s[66:67]
	s_and_saveexec_b64 s[70:71], s[68:69]
	s_cbranch_execz .LBB2_8673
; %bb.8677:                             ;   in Loop: Header=BB2_8674 Depth=4
	s_sleep 1
	s_trap 2
	ds_read_b64 v[2:3], v0
	v_accvgpr_read_b32 v8, a14
	v_accvgpr_read_b32 v9, a15
	s_andn2_b64 s[66:67], s[66:67], exec
	s_waitcnt lgkmcnt(0)
	v_cmp_ge_u64_e32 vcc, v[2:3], v[8:9]
	s_orn2_b64 vcc, vcc, exec
	s_branch .LBB2_8673
.LBB2_8678:                             ;   in Loop: Header=BB2_8619 Depth=3
	s_or_b64 exec, exec, s[62:63]
	s_and_saveexec_b64 vcc, s[64:65]
	s_xor_b64 vcc, exec, vcc
	s_cbranch_execz .LBB2_8680
; %bb.8679:                             ;   in Loop: Header=BB2_8619 Depth=3
	v_mov_b32_e32 v0, 1
	ds_write_b32 v0, v0
	s_trap 2
.LBB2_8680:                             ;   in Loop: Header=BB2_8619 Depth=3
	s_or_b64 exec, exec, s[60:61]
	;;#ASMSTART
	s_wakeup
	;;#ASMEND
.LBB2_8681:                             ;   in Loop: Header=BB2_8619 Depth=3
	s_or_b64 exec, exec, s[58:59]
.LBB2_8682:                             ;   in Loop: Header=BB2_8619 Depth=3
	s_andn2_saveexec_b64 vcc, s[34:35]
	s_cbranch_execz .LBB2_8684
; %bb.8683:                             ;   in Loop: Header=BB2_8619 Depth=3
	;;#ASMSTART
	s_waitcnt lgkmcnt(0) vmcnt(0)
	;;#ASMEND
	s_barrier
.LBB2_8684:                             ;   in Loop: Header=BB2_8619 Depth=3
	s_or_b64 exec, exec, vcc
	v_and_b32_e32 v0, 16, v60
.LBB2_8685:                             ;   in Loop: Header=BB2_8619 Depth=3
	s_or_b64 exec, exec, s[26:27]
	v_cmp_ne_u32_e32 vcc, 0, v0
	s_xor_b64 s[26:27], s[12:13], -1
	s_and_b64 vcc, vcc, s[26:27]
	s_and_saveexec_b64 s[26:27], vcc
	s_cbranch_execz .LBB2_8687
; %bb.8686:                             ;   in Loop: Header=BB2_8619 Depth=3
	v_accvgpr_read_b32 v2, a20
	v_accvgpr_read_b32 v3, a21
	v_mov_b32_e32 v0, 1
	flat_store_dword v[2:3], v0
.LBB2_8687:                             ;   in Loop: Header=BB2_8619 Depth=3
	s_or_b64 exec, exec, s[26:27]
	v_and_b32_e32 v0, 48, v60
	v_cmp_ne_u32_e32 vcc, 0, v0
	s_and_saveexec_b64 s[26:27], vcc
	s_cbranch_execz .LBB2_8618
; %bb.8688:                             ;   in Loop: Header=BB2_8619 Depth=3
	v_add_co_u32_e32 v32, vcc, 2, v32
	v_addc_co_u32_e32 v33, vcc, 0, v33, vcc
	flat_store_dwordx2 v[34:35], v[32:33]
	s_branch .LBB2_8618
.LBB2_8689:                             ;   in Loop: Header=BB2_8436 Depth=2
	s_or_b64 exec, exec, s[60:61]
	s_or_b64 exec, exec, s[58:59]
	v_cmp_gt_i32_e32 vcc, 2, v0
	s_and_saveexec_b64 s[28:29], vcc
	s_cbranch_execnz .LBB2_8617
.LBB2_8690:                             ;   in Loop: Header=BB2_8436 Depth=2
	s_or_b64 exec, exec, s[28:29]
	s_add_i32 s26, s8, 1
	s_cmp_eq_u32 s8, s90
	s_cbranch_scc0 .LBB2_8692
	s_branch .LBB2_8693
.LBB2_8691:                             ;   in Loop: Header=BB2_8436 Depth=2
	s_or_b64 exec, exec, s[30:31]
	s_or_b64 exec, exec, s[28:29]
	s_add_i32 s26, s8, 1
	s_cmp_eq_u32 s8, s90
	s_cbranch_scc1 .LBB2_8693
.LBB2_8692:                             ;   in Loop: Header=BB2_8436 Depth=2
	s_mov_b32 s8, s26
	s_branch .LBB2_8436
.LBB2_8693:                             ;   in Loop: Header=BB2_47 Depth=1
	v_accvgpr_read_b32 v4, a50
	v_accvgpr_read_b32 v5, a51
	v_mul_lo_u32 v0, v5, s88
	v_mul_lo_u32 v1, v4, s89
	v_mad_u64_u32 v[2:3], s[26:27], v4, s88, 0
	v_add3_u32 v3, v3, v1, v0
	v_accvgpr_read_b32 v0, a52
	v_accvgpr_read_b32 v1, a53
	v_sub_co_u32_e32 v0, vcc, v0, v2
	v_subb_co_u32_e32 v1, vcc, v1, v3, vcc
	v_cmp_lt_i64_e32 vcc, v[4:5], v[0:1]
	v_cndmask_b32_e32 v0, v0, v4, vcc
	v_max_i32_e32 v1, 0, v0
	v_add_u32_e32 v4, 31, v1
	v_lshrrev_b32_e32 v4, 1, v4
	v_and_b32_e32 v4, 0x3ffffff0, v4
	v_cmp_lt_i32_e32 vcc, 0, v0
	v_max_i32_e32 v6, s86, v4
	s_and_b64 s[26:27], s[50:51], vcc
	v_mov_b32_e32 v4, 0
	v_mov_b32_e32 v7, 0
	s_and_saveexec_b64 s[28:29], s[26:27]
	s_cbranch_execz .LBB2_8833
; %bb.8694:                             ;   in Loop: Header=BB2_47 Depth=1
	v_accvgpr_read_b32 v0, a54
	v_add_co_u32_e32 v0, vcc, v2, v0
	v_accvgpr_read_b32 v2, a55
	v_addc_co_u32_e32 v10, vcc, v3, v2, vcc
	s_mov_b32 s8, 1
	s_mov_b64 s[34:35], -1
	s_mov_b64 s[30:31], 0
	v_mov_b32_e32 v7, 0
	s_branch .LBB2_8696
.LBB2_8695:                             ;   in Loop: Header=BB2_8696 Depth=2
	s_or_b64 exec, exec, s[26:27]
	v_add_u32_e32 v7, v6, v7
	v_cmp_ge_i32_e32 vcc, v7, v1
	s_xor_b64 s[26:27], s[34:35], -1
	s_or_b64 s[26:27], s[26:27], vcc
	s_and_b64 s[26:27], exec, s[26:27]
	s_or_b64 s[30:31], s[26:27], s[30:31]
	s_mov_b64 s[34:35], 0
	v_mov_b32_e32 v4, s8
	s_mov_b32 s8, 2
	s_andn2_b64 exec, exec, s[30:31]
	s_cbranch_execz .LBB2_8832
.LBB2_8696:                             ;   Parent Loop BB2_47 Depth=1
                                        ; =>  This Loop Header: Depth=2
                                        ;       Child Loop BB2_8704 Depth 3
                                        ;       Child Loop BB2_8728 Depth 3
	;; [unrolled: 1-line block ×9, first 2 shown]
	s_and_saveexec_b64 s[26:27], s[4:5]
	s_cbranch_execz .LBB2_8698
; %bb.8697:                             ;   in Loop: Header=BB2_8696 Depth=2
	s_trap 2
	ds_read_b128 v[2:5], v0
	v_ashrrev_i32_e32 v8, 31, v7
	s_waitcnt lgkmcnt(0)
	v_add_co_u32_e32 v2, vcc, v2, v0
	v_addc_co_u32_e32 v3, vcc, v3, v10, vcc
	v_add_co_u32_e32 v2, vcc, v2, v7
	v_addc_co_u32_e32 v3, vcc, v3, v8, vcc
	ds_write_b64 v0, v[2:3]
	v_add_co_u32_e32 v2, vcc, v4, v0
	v_addc_co_u32_e32 v3, vcc, v5, v10, vcc
	v_add_co_u32_e32 v2, vcc, v2, v7
	v_addc_co_u32_e32 v3, vcc, v3, v8, vcc
	v_cmp_ne_u64_e32 vcc, 0, v[4:5]
	v_cndmask_b32_e32 v3, 0, v3, vcc
	v_cndmask_b32_e32 v2, 0, v2, vcc
	ds_write_b64 v0, v[2:3]
.LBB2_8698:                             ;   in Loop: Header=BB2_8696 Depth=2
	s_or_b64 exec, exec, s[26:27]
	v_and_b32_e32 v2, 4, v60
	v_cmp_ne_u32_e32 vcc, 0, v2
	s_mov_b64 s[58:59], -1
	s_and_saveexec_b64 s[26:27], vcc
	s_cbranch_execz .LBB2_8708
; %bb.8699:                             ;   in Loop: Header=BB2_8696 Depth=2
	v_add_co_u32_e32 v2, vcc, 2, v32
	v_addc_co_u32_e32 v3, vcc, 0, v33, vcc
	v_cmp_lt_u64_e32 vcc, v[48:49], v[2:3]
	v_mov_b32_e32 v4, 1
	s_and_saveexec_b64 s[58:59], vcc
	s_cbranch_execz .LBB2_8719
; %bb.8700:                             ;   in Loop: Header=BB2_8696 Depth=2
	s_mov_b64 s[60:61], 0
	v_mov_b32_e32 v4, 0
                                        ; implicit-def: $sgpr62_sgpr63
	s_branch .LBB2_8704
.LBB2_8701:                             ;   in Loop: Header=BB2_8704 Depth=3
	s_or_b64 exec, exec, s[70:71]
	v_mov_b32_e32 v5, 0
	s_orn2_b64 s[68:69], s[68:69], exec
.LBB2_8702:                             ;   in Loop: Header=BB2_8704 Depth=3
	s_or_b64 exec, exec, s[66:67]
	s_andn2_b64 vcc, s[62:63], exec
	s_and_b64 s[46:47], s[68:69], exec
	s_or_b64 s[62:63], vcc, s[46:47]
	v_mov_b32_e32 v4, v5
.LBB2_8703:                             ;   in Loop: Header=BB2_8704 Depth=3
	s_or_b64 exec, exec, s[64:65]
	s_waitcnt vmcnt(0) lgkmcnt(0)
	v_cmp_ge_u64_e32 vcc, v[48:49], v[2:3]
	s_xor_b64 s[46:47], s[62:63], -1
	s_or_b64 vcc, s[46:47], vcc
	s_and_b64 vcc, exec, vcc
	s_or_b64 s[60:61], vcc, s[60:61]
	s_andn2_b64 exec, exec, s[60:61]
	s_cbranch_execz .LBB2_8718
.LBB2_8704:                             ;   Parent Loop BB2_47 Depth=1
                                        ;     Parent Loop BB2_8696 Depth=2
                                        ; =>    This Inner Loop Header: Depth=3
	s_sleep 1
	flat_load_dwordx2 v[48:49], v[34:35] glc
	v_and_b32_e32 v5, 64, v60
	v_cmp_eq_u32_e32 vcc, 0, v5
	s_andn2_b64 s[62:63], s[62:63], exec
	s_and_saveexec_b64 s[64:65], vcc
	s_cbranch_execz .LBB2_8703
; %bb.8705:                             ;   in Loop: Header=BB2_8704 Depth=3
	v_add_u32_e32 v5, 1, v4
	v_cmp_lt_i32_e32 vcc, s91, v4
	s_mov_b64 s[68:69], -1
	s_and_saveexec_b64 s[66:67], vcc
	s_cbranch_execz .LBB2_8702
; %bb.8706:                             ;   in Loop: Header=BB2_8704 Depth=3
	s_trap 2
	ds_read_b64 v[4:5], v0
	s_waitcnt vmcnt(0) lgkmcnt(0)
	flat_load_dword v4, v[4:5] glc
	s_waitcnt vmcnt(0) lgkmcnt(0)
	buffer_invl2
	buffer_wbinvl1_vol
	v_cmp_ne_u32_e32 vcc, 0, v4
	s_and_saveexec_b64 s[70:71], vcc
	s_cbranch_execz .LBB2_8701
; %bb.8707:                             ;   in Loop: Header=BB2_8704 Depth=3
	v_or_b32_e32 v60, 64, v60
	s_xor_b64 s[68:69], exec, -1
	ds_write_b32 v0, v4
	s_trap 2
	s_branch .LBB2_8701
.LBB2_8708:                             ;   in Loop: Header=BB2_8696 Depth=2
	s_or_b64 exec, exec, s[26:27]
	s_xor_b64 s[26:27], s[58:59], -1
	s_and_saveexec_b64 s[58:59], s[26:27]
	s_cbranch_execz .LBB2_8720
.LBB2_8709:                             ;   in Loop: Header=BB2_8696 Depth=2
	v_and_b32_e32 v2, 0x100, v60
	v_cmp_ne_u32_e32 vcc, 0, v2
	v_and_b32_e32 v8, 7, v32
	s_mov_b64 s[26:27], -1
                                        ; implicit-def: $vgpr2_vgpr3
	s_and_saveexec_b64 s[60:61], vcc
	s_cbranch_execz .LBB2_8713
; %bb.8710:                             ;   in Loop: Header=BB2_8696 Depth=2
	v_accvgpr_read_b32 v2, a12
	v_accvgpr_read_b32 v3, a13
	v_mad_u64_u32 v[4:5], s[26:27], v8, 24, v[2:3]
	flat_load_dword v2, v[4:5]
	s_waitcnt vmcnt(0) lgkmcnt(0)
	v_cmp_ne_u32_e32 vcc, 1, v2
	v_cmp_eq_u32_e64 s[26:27], 1, v2
                                        ; implicit-def: $vgpr2_vgpr3
	s_and_saveexec_b64 s[62:63], s[26:27]
	s_cbranch_execz .LBB2_8712
; %bb.8711:                             ;   in Loop: Header=BB2_8696 Depth=2
	flat_load_dword v2, v[4:5] offset:4 glc
	s_waitcnt vmcnt(0) lgkmcnt(0)
	v_ashrrev_i32_e32 v3, 31, v2
.LBB2_8712:                             ;   in Loop: Header=BB2_8696 Depth=2
	s_or_b64 exec, exec, s[62:63]
	s_orn2_b64 s[26:27], vcc, exec
.LBB2_8713:                             ;   in Loop: Header=BB2_8696 Depth=2
	s_or_b64 exec, exec, s[60:61]
	s_and_saveexec_b64 vcc, s[26:27]
; %bb.8714:                             ;   in Loop: Header=BB2_8696 Depth=2
	v_accvgpr_read_b32 v2, a16
	v_mad_i64_i32 v[2:3], s[26:27], v8, v2, 0
; %bb.8715:                             ;   in Loop: Header=BB2_8696 Depth=2
	s_or_b64 exec, exec, vcc
	v_accvgpr_read_b32 v4, a18
	v_accvgpr_read_b32 v5, a19
	v_add_co_u32_e32 v2, vcc, v4, v2
	v_addc_co_u32_e32 v3, vcc, v5, v3, vcc
	ds_write_b64 v0, v[2:3] offset:720
	v_and_b32_e32 v2, 0x2000, v60
	v_cmp_ne_u32_e32 vcc, 0, v2
	s_and_saveexec_b64 s[26:27], vcc
	s_cbranch_execz .LBB2_8717
; %bb.8716:                             ;   in Loop: Header=BB2_8696 Depth=2
	ds_read_b64 v[2:3], v0 offset:584
	s_waitcnt lgkmcnt(0)
	v_add_co_u32_e32 v2, vcc, 1, v2
	v_addc_co_u32_e32 v3, vcc, 0, v3, vcc
	ds_write_b64 v0, v[2:3] offset:584
.LBB2_8717:                             ;   in Loop: Header=BB2_8696 Depth=2
	s_or_b64 exec, exec, s[26:27]
	v_add_co_u32_e32 v32, vcc, 2, v32
	v_addc_co_u32_e32 v33, vcc, 0, v33, vcc
	s_or_b64 exec, exec, s[58:59]
	s_and_saveexec_b64 s[26:27], s[10:11]
	s_cbranch_execz .LBB2_8739
	s_branch .LBB2_8721
.LBB2_8718:                             ;   in Loop: Header=BB2_8696 Depth=2
	s_or_b64 exec, exec, s[60:61]
	v_and_b32_e32 v4, 4, v60
.LBB2_8719:                             ;   in Loop: Header=BB2_8696 Depth=2
	s_or_b64 exec, exec, s[58:59]
	v_cmp_eq_u32_e32 vcc, 0, v4
	s_orn2_b64 s[58:59], vcc, exec
	;;#ASMSTART
	s_wakeup
	;;#ASMEND
	s_or_b64 exec, exec, s[26:27]
	s_xor_b64 s[26:27], s[58:59], -1
	s_and_saveexec_b64 s[58:59], s[26:27]
	s_cbranch_execnz .LBB2_8709
.LBB2_8720:                             ;   in Loop: Header=BB2_8696 Depth=2
	s_or_b64 exec, exec, s[58:59]
	s_and_saveexec_b64 s[26:27], s[10:11]
	s_cbranch_execz .LBB2_8739
.LBB2_8721:                             ;   in Loop: Header=BB2_8696 Depth=2
	s_and_saveexec_b64 vcc, s[44:45]
	s_xor_b64 s[58:59], exec, vcc
	s_cbranch_execz .LBB2_8736
; %bb.8722:                             ;   in Loop: Header=BB2_8696 Depth=2
	s_and_saveexec_b64 s[60:61], s[16:17]
	s_cbranch_execz .LBB2_8735
; %bb.8723:                             ;   in Loop: Header=BB2_8696 Depth=2
	s_mov_b64 s[64:65], exec
	v_mbcnt_lo_u32_b32 v2, s64, 0
	v_mbcnt_hi_u32_b32 v2, s65, v2
	v_cmp_eq_u32_e32 vcc, 0, v2
	s_waitcnt vmcnt(0) lgkmcnt(0)
	buffer_wbinvl1_vol
	s_and_saveexec_b64 s[62:63], vcc
	s_cbranch_execz .LBB2_8725
; %bb.8724:                             ;   in Loop: Header=BB2_8696 Depth=2
	s_bcnt1_i32_b64 vcc_lo, s[64:65]
	v_mov_b32_e32 v50, vcc_lo
	ds_add_u64 v0, v[50:51]
	s_trap 2
.LBB2_8725:                             ;   in Loop: Header=BB2_8696 Depth=2
	s_or_b64 exec, exec, s[62:63]
	s_trap 2
	ds_read_b64 v[2:3], v0
	v_accvgpr_read_b32 v4, a14
	v_accvgpr_read_b32 v5, a15
	v_add_co_u32_e32 v4, vcc, v4, v44
	v_addc_co_u32_e32 v5, vcc, 0, v5, vcc
	v_accvgpr_write_b32 a15, v5
	v_accvgpr_write_b32 a14, v4
	s_waitcnt lgkmcnt(0)
	v_cmp_lt_u64_e32 vcc, v[2:3], v[4:5]
	s_and_saveexec_b64 s[62:63], vcc
	s_cbranch_execz .LBB2_8734
; %bb.8726:                             ;   in Loop: Header=BB2_8696 Depth=2
	s_mov_b32 s74, 0
	s_mov_b64 s[64:65], 0
                                        ; implicit-def: $sgpr66_sgpr67
                                        ; implicit-def: $sgpr68_sgpr69
	s_branch .LBB2_8728
.LBB2_8727:                             ;   in Loop: Header=BB2_8728 Depth=3
	s_or_b64 exec, exec, s[72:73]
	s_and_b64 vcc, exec, vcc
	s_or_b64 s[64:65], vcc, s[64:65]
	s_andn2_b64 vcc, s[66:67], exec
	s_and_b64 s[46:47], s[68:69], exec
	s_or_b64 s[66:67], vcc, s[46:47]
	s_andn2_b64 exec, exec, s[64:65]
	s_cbranch_execz .LBB2_8732
.LBB2_8728:                             ;   Parent Loop BB2_47 Depth=1
                                        ;     Parent Loop BB2_8696 Depth=2
                                        ; =>    This Inner Loop Header: Depth=3
	s_add_i32 s74, s74, 1
	s_cmpk_lg_i32 s74, 0x2710
	s_cselect_b64 s[70:71], -1, 0
	s_and_b64 vcc, exec, s[70:71]
                                        ; implicit-def: $sgpr72_sgpr73
	s_cbranch_vccnz .LBB2_8730
; %bb.8729:                             ;   in Loop: Header=BB2_8728 Depth=3
	s_trap 2
	ds_read_b64 v[2:3], v0
	s_andn2_b64 s[46:47], s[70:71], exec
	s_mov_b32 s74, 0
	s_mov_b64 s[72:73], -1
	s_waitcnt lgkmcnt(0)
	flat_load_dword v2, v[2:3] glc
	s_waitcnt vmcnt(0) lgkmcnt(0)
	buffer_invl2
	buffer_wbinvl1_vol
	v_cmp_eq_u32_e32 vcc, 0, v2
	s_and_b64 vcc, vcc, exec
	s_or_b64 s[70:71], s[46:47], vcc
.LBB2_8730:                             ;   in Loop: Header=BB2_8728 Depth=3
	s_andn2_b64 s[46:47], s[68:69], exec
	s_and_b64 s[68:69], s[72:73], exec
	s_mov_b64 vcc, -1
	s_or_b64 s[68:69], s[46:47], s[68:69]
	s_and_saveexec_b64 s[72:73], s[70:71]
	s_cbranch_execz .LBB2_8727
; %bb.8731:                             ;   in Loop: Header=BB2_8728 Depth=3
	s_sleep 1
	s_trap 2
	ds_read_b64 v[2:3], v0
	v_accvgpr_read_b32 v4, a14
	v_accvgpr_read_b32 v5, a15
	s_andn2_b64 s[68:69], s[68:69], exec
	s_waitcnt lgkmcnt(0)
	v_cmp_ge_u64_e32 vcc, v[2:3], v[4:5]
	s_orn2_b64 vcc, vcc, exec
	s_branch .LBB2_8727
.LBB2_8732:                             ;   in Loop: Header=BB2_8696 Depth=2
	s_or_b64 exec, exec, s[64:65]
	s_and_saveexec_b64 vcc, s[66:67]
	s_xor_b64 vcc, exec, vcc
	s_cbranch_execz .LBB2_8734
; %bb.8733:                             ;   in Loop: Header=BB2_8696 Depth=2
	v_mov_b32_e32 v2, 1
	ds_write_b32 v0, v2
	s_trap 2
.LBB2_8734:                             ;   in Loop: Header=BB2_8696 Depth=2
	s_or_b64 exec, exec, s[62:63]
	;;#ASMSTART
	s_wakeup
	;;#ASMEND
.LBB2_8735:                             ;   in Loop: Header=BB2_8696 Depth=2
	s_or_b64 exec, exec, s[60:61]
.LBB2_8736:                             ;   in Loop: Header=BB2_8696 Depth=2
	s_andn2_saveexec_b64 vcc, s[58:59]
	s_cbranch_execz .LBB2_8738
; %bb.8737:                             ;   in Loop: Header=BB2_8696 Depth=2
	s_waitcnt vmcnt(0) lgkmcnt(0)
	buffer_wbinvl1_vol
	s_barrier
.LBB2_8738:                             ;   in Loop: Header=BB2_8696 Depth=2
	s_or_b64 exec, exec, vcc
.LBB2_8739:                             ;   in Loop: Header=BB2_8696 Depth=2
	s_or_b64 exec, exec, s[26:27]
	s_trap 2
	ds_read_b32 v2, v0
	v_and_b32_e32 v3, 0x4000, v60
	v_cmp_ne_u32_e32 vcc, 0, v3
	s_xor_b64 s[26:27], s[6:7], -1
	s_and_b64 vcc, s[26:27], vcc
	s_and_saveexec_b64 s[26:27], vcc
	s_cbranch_execz .LBB2_8758
; %bb.8740:                             ;   in Loop: Header=BB2_8696 Depth=2
	s_and_saveexec_b64 vcc, s[44:45]
	s_xor_b64 s[58:59], exec, vcc
	s_cbranch_execz .LBB2_8755
; %bb.8741:                             ;   in Loop: Header=BB2_8696 Depth=2
	s_and_saveexec_b64 s[60:61], s[16:17]
	s_cbranch_execz .LBB2_8754
; %bb.8742:                             ;   in Loop: Header=BB2_8696 Depth=2
	s_mov_b64 s[64:65], exec
	v_mbcnt_lo_u32_b32 v3, s64, 0
	v_mbcnt_hi_u32_b32 v3, s65, v3
	v_cmp_eq_u32_e32 vcc, 0, v3
	s_waitcnt vmcnt(0) lgkmcnt(0)
	buffer_wbinvl1_vol
	s_and_saveexec_b64 s[62:63], vcc
	s_cbranch_execz .LBB2_8744
; %bb.8743:                             ;   in Loop: Header=BB2_8696 Depth=2
	s_bcnt1_i32_b64 vcc_lo, s[64:65]
	v_mov_b32_e32 v50, vcc_lo
	ds_add_u64 v0, v[50:51]
	s_trap 2
.LBB2_8744:                             ;   in Loop: Header=BB2_8696 Depth=2
	s_or_b64 exec, exec, s[62:63]
	s_trap 2
	ds_read_b64 v[4:5], v0
	v_accvgpr_read_b32 v8, a14
	v_accvgpr_read_b32 v9, a15
	v_add_co_u32_e32 v8, vcc, v8, v44
	v_addc_co_u32_e32 v9, vcc, 0, v9, vcc
	v_accvgpr_write_b32 a15, v9
	v_accvgpr_write_b32 a14, v8
	s_waitcnt lgkmcnt(0)
	v_cmp_lt_u64_e32 vcc, v[4:5], v[8:9]
	s_and_saveexec_b64 s[62:63], vcc
	s_cbranch_execz .LBB2_8753
; %bb.8745:                             ;   in Loop: Header=BB2_8696 Depth=2
	s_mov_b32 s74, 0
	s_mov_b64 s[64:65], 0
                                        ; implicit-def: $sgpr66_sgpr67
                                        ; implicit-def: $sgpr68_sgpr69
	s_branch .LBB2_8747
.LBB2_8746:                             ;   in Loop: Header=BB2_8747 Depth=3
	s_or_b64 exec, exec, s[72:73]
	s_and_b64 vcc, exec, vcc
	s_or_b64 s[64:65], vcc, s[64:65]
	s_andn2_b64 vcc, s[66:67], exec
	s_and_b64 s[46:47], s[68:69], exec
	s_or_b64 s[66:67], vcc, s[46:47]
	s_andn2_b64 exec, exec, s[64:65]
	s_cbranch_execz .LBB2_8751
.LBB2_8747:                             ;   Parent Loop BB2_47 Depth=1
                                        ;     Parent Loop BB2_8696 Depth=2
                                        ; =>    This Inner Loop Header: Depth=3
	s_add_i32 s74, s74, 1
	s_cmpk_lg_i32 s74, 0x2710
	s_cselect_b64 s[70:71], -1, 0
	s_and_b64 vcc, exec, s[70:71]
                                        ; implicit-def: $sgpr72_sgpr73
	s_cbranch_vccnz .LBB2_8749
; %bb.8748:                             ;   in Loop: Header=BB2_8747 Depth=3
	s_trap 2
	ds_read_b64 v[4:5], v0
	s_andn2_b64 s[46:47], s[70:71], exec
	s_mov_b32 s74, 0
	s_mov_b64 s[72:73], -1
	s_waitcnt lgkmcnt(0)
	flat_load_dword v3, v[4:5] glc
	s_waitcnt vmcnt(0) lgkmcnt(0)
	buffer_invl2
	buffer_wbinvl1_vol
	v_cmp_eq_u32_e32 vcc, 0, v3
	s_and_b64 vcc, vcc, exec
	s_or_b64 s[70:71], s[46:47], vcc
.LBB2_8749:                             ;   in Loop: Header=BB2_8747 Depth=3
	s_andn2_b64 s[46:47], s[68:69], exec
	s_and_b64 s[68:69], s[72:73], exec
	s_mov_b64 vcc, -1
	s_or_b64 s[68:69], s[46:47], s[68:69]
	s_and_saveexec_b64 s[72:73], s[70:71]
	s_cbranch_execz .LBB2_8746
; %bb.8750:                             ;   in Loop: Header=BB2_8747 Depth=3
	s_sleep 1
	s_trap 2
	ds_read_b64 v[4:5], v0
	v_accvgpr_read_b32 v8, a14
	v_accvgpr_read_b32 v9, a15
	s_andn2_b64 s[68:69], s[68:69], exec
	s_waitcnt lgkmcnt(0)
	v_cmp_ge_u64_e32 vcc, v[4:5], v[8:9]
	s_orn2_b64 vcc, vcc, exec
	s_branch .LBB2_8746
.LBB2_8751:                             ;   in Loop: Header=BB2_8696 Depth=2
	s_or_b64 exec, exec, s[64:65]
	s_and_saveexec_b64 vcc, s[66:67]
	s_xor_b64 vcc, exec, vcc
	s_cbranch_execz .LBB2_8753
; %bb.8752:                             ;   in Loop: Header=BB2_8696 Depth=2
	v_mov_b32_e32 v3, 1
	ds_write_b32 v0, v3
	s_trap 2
.LBB2_8753:                             ;   in Loop: Header=BB2_8696 Depth=2
	s_or_b64 exec, exec, s[62:63]
	;;#ASMSTART
	s_wakeup
	;;#ASMEND
.LBB2_8754:                             ;   in Loop: Header=BB2_8696 Depth=2
	s_or_b64 exec, exec, s[60:61]
.LBB2_8755:                             ;   in Loop: Header=BB2_8696 Depth=2
	s_andn2_saveexec_b64 vcc, s[58:59]
	s_cbranch_execz .LBB2_8757
; %bb.8756:                             ;   in Loop: Header=BB2_8696 Depth=2
	s_waitcnt vmcnt(0) lgkmcnt(0)
	buffer_wbinvl1_vol
	s_barrier
.LBB2_8757:                             ;   in Loop: Header=BB2_8696 Depth=2
	s_or_b64 exec, exec, vcc
.LBB2_8758:                             ;   in Loop: Header=BB2_8696 Depth=2
	s_or_b64 exec, exec, s[26:27]
	s_trap 2
	ds_read_b64 v[4:5], v0
	v_sub_u32_e32 v3, v1, v7
	v_min_i32_e32 v6, v6, v3
	v_mov_b32_e32 v11, 0
	s_waitcnt lgkmcnt(0)
	v_readfirstlane_b32 s26, v4
	v_readfirstlane_b32 s27, v5
	s_cmp_eq_u64 s[26:27], 0
	s_cselect_b64 s[26:27], -1, 0
	s_or_b64 s[26:27], s[26:27], s[26:27]
	s_and_b64 vcc, exec, s[26:27]
	s_cbranch_vccnz .LBB2_8774
; %bb.8759:                             ;   in Loop: Header=BB2_8696 Depth=2
	s_mov_b64 s[26:27], -1
	s_and_saveexec_b64 s[58:59], s[20:21]
	s_cbranch_execz .LBB2_8761
; %bb.8760:                             ;   in Loop: Header=BB2_8696 Depth=2
	ds_read_b32 v3, v0 offset:720
	s_waitcnt lgkmcnt(0)
	v_and_b32_e32 v3, 15, v3
	v_cmp_eq_u32_e32 vcc, 0, v3
	s_orn2_b64 s[26:27], vcc, exec
.LBB2_8761:                             ;   in Loop: Header=BB2_8696 Depth=2
	s_or_b64 exec, exec, s[58:59]
	s_and_saveexec_b64 s[58:59], s[18:19]
	s_cbranch_execz .LBB2_8763
; %bb.8762:                             ;   in Loop: Header=BB2_8696 Depth=2
	ds_read_b32 v3, v0 offset:784
	s_waitcnt lgkmcnt(0)
	v_and_b32_e32 v3, 15, v3
	v_cmp_eq_u32_e32 vcc, 0, v3
	s_and_b64 vcc, s[26:27], vcc
	s_andn2_b64 s[26:27], s[26:27], exec
	s_and_b64 vcc, vcc, exec
	s_or_b64 s[26:27], s[26:27], vcc
.LBB2_8763:                             ;   in Loop: Header=BB2_8696 Depth=2
	s_or_b64 exec, exec, s[58:59]
	v_cmp_eq_u32_e32 vcc, 0, v2
	s_xor_b64 s[26:27], s[26:27], -1
	v_cndmask_b32_e32 v11, 0, v6, vcc
	v_cndmask_b32_e64 v2, 0, 1, s[26:27]
	v_mov_b32_e32 v12, 0
	s_mov_b64 s[60:61], -1
	;;#ASMSTART
	;;#ASMEND
	v_cmp_ne_u32_e32 vcc, 0, v2
	v_mov_b32_e32 v13, v11
	v_mov_b32_e32 v14, v40
	v_accvgpr_read_b32 v4, a31
	s_cbranch_vccz .LBB2_8786
; %bb.8764:                             ;   in Loop: Header=BB2_8696 Depth=2
	s_and_saveexec_b64 s[26:27], s[60:61]
	s_cbranch_execz .LBB2_8799
.LBB2_8765:                             ;   in Loop: Header=BB2_8696 Depth=2
	v_ashrrev_i32_e32 v2, 31, v13
	v_lshrrev_b32_e32 v2, 23, v2
	v_add_u32_e32 v2, v13, v2
	v_ashrrev_i32_e32 v17, 9, v2
	v_sub_u32_e32 v15, v17, v4
	v_ashrrev_i32_e32 v2, 31, v14
	v_cmp_lt_i32_e32 vcc, 0, v15
	v_lshrrev_b32_e32 v16, 26, v2
	s_and_saveexec_b64 s[58:59], vcc
	s_cbranch_execz .LBB2_8769
; %bb.8766:                             ;   in Loop: Header=BB2_8696 Depth=2
	s_trap 2
	ds_read_b64 v[2:3], v0
	v_add_u32_e32 v5, v14, v16
	v_and_b32_e32 v5, 0xffffffc0, v5
	v_sub_u32_e32 v5, v14, v5
	v_lshlrev_b32_e32 v4, 9, v4
	v_add3_u32 v4, v12, v5, v4
	v_ashrrev_i32_e32 v5, 31, v4
	s_mov_b64 s[60:61], 0
	s_waitcnt lgkmcnt(0)
	v_pk_mov_b32 v[8:9], v[2:3], v[2:3] op_sel:[0,1]
	v_accvgpr_read_b32 v28, a34
	v_accvgpr_read_b32 v29, a35
.LBB2_8767:                             ;   Parent Loop BB2_47 Depth=1
                                        ;     Parent Loop BB2_8696 Depth=2
                                        ; =>    This Inner Loop Header: Depth=3
	v_add_co_u32_e32 v18, vcc, v4, v8
	v_addc_co_u32_e32 v19, vcc, v5, v9, vcc
	flat_load_ubyte v20, v[18:19] glc slc
	flat_load_ubyte v21, v[18:19] offset:64 glc slc
	flat_load_ubyte v22, v[18:19] offset:128 glc slc
	;; [unrolled: 1-line block ×7, first 2 shown]
	v_add_co_u32_e32 v18, vcc, v4, v2
	v_addc_co_u32_e32 v19, vcc, v5, v3, vcc
	v_add_co_u32_e32 v8, vcc, v8, v28
	v_addc_co_u32_e32 v9, vcc, v9, v29, vcc
	v_add_co_u32_e32 v2, vcc, v2, v28
	v_sub_u32_e32 v15, v15, v44
	v_addc_co_u32_e32 v3, vcc, v3, v29, vcc
	v_cmp_gt_i32_e32 vcc, 1, v15
	s_or_b64 s[60:61], vcc, s[60:61]
	s_waitcnt vmcnt(0) lgkmcnt(0)
	flat_store_byte v[18:19], v20 glc slc
	flat_store_byte v[18:19], v21 offset:64 glc slc
	flat_store_byte v[18:19], v22 offset:128 glc slc
	;; [unrolled: 1-line block ×7, first 2 shown]
	s_andn2_b64 exec, exec, s[60:61]
	s_cbranch_execnz .LBB2_8767
; %bb.8768:                             ;   in Loop: Header=BB2_8696 Depth=2
	s_or_b64 exec, exec, s[60:61]
.LBB2_8769:                             ;   in Loop: Header=BB2_8696 Depth=2
	s_or_b64 exec, exec, s[58:59]
	v_lshlrev_b32_e32 v2, 9, v17
	v_cmp_ne_u32_e32 vcc, v13, v2
	s_mov_b64 s[58:59], exec
	s_and_b64 vcc, s[58:59], vcc
	v_accvgpr_read_b32 v17, a36
	v_accvgpr_read_b32 v18, a37
	s_mov_b64 exec, vcc
	s_cbranch_execz .LBB2_8773
; %bb.8770:                             ;   in Loop: Header=BB2_8696 Depth=2
	v_add_u32_e32 v3, v14, v16
	v_and_b32_e32 v3, 0xffffffc0, v3
	v_sub_u32_e32 v3, v14, v3
	v_lshlrev_b32_e32 v4, 6, v15
	v_sub_u32_e32 v3, v3, v4
	v_add_u32_e32 v4, v2, v3
	v_sub_u32_e32 v8, v13, v4
	v_cmp_lt_i32_e32 vcc, 0, v8
	s_and_b64 exec, exec, vcc
	s_cbranch_execz .LBB2_8773
; %bb.8771:                             ;   in Loop: Header=BB2_8696 Depth=2
	s_trap 2
	ds_read_b64 v[2:3], v0
	v_add_u32_e32 v4, v4, v12
	v_ashrrev_i32_e32 v5, 31, v4
	s_mov_b64 s[60:61], 0
.LBB2_8772:                             ;   Parent Loop BB2_47 Depth=1
                                        ;     Parent Loop BB2_8696 Depth=2
                                        ; =>    This Inner Loop Header: Depth=3
	s_waitcnt lgkmcnt(0)
	v_add_co_u32_e32 v12, vcc, v2, v4
	v_addc_co_u32_e32 v13, vcc, v3, v5, vcc
	flat_load_ubyte v9, v[12:13] glc slc
	v_add_co_u32_e32 v4, vcc, v4, v17
	v_sub_u32_e32 v8, v8, v41
	v_addc_co_u32_e32 v5, vcc, v5, v18, vcc
	v_cmp_gt_i32_e32 vcc, 1, v8
	s_or_b64 s[60:61], vcc, s[60:61]
	s_waitcnt vmcnt(0) lgkmcnt(0)
	flat_store_byte v[12:13], v9 glc slc
	s_andn2_b64 exec, exec, s[60:61]
	s_cbranch_execnz .LBB2_8772
.LBB2_8773:                             ;   in Loop: Header=BB2_8696 Depth=2
	s_or_b64 exec, exec, s[58:59]
	s_or_b64 exec, exec, s[26:27]
	s_and_saveexec_b64 s[26:27], s[10:11]
	s_cbranch_execz .LBB2_8800
	s_branch .LBB2_8775
.LBB2_8774:                             ;   in Loop: Header=BB2_8696 Depth=2
	s_and_saveexec_b64 s[26:27], s[10:11]
	s_cbranch_execz .LBB2_8800
.LBB2_8775:                             ;   in Loop: Header=BB2_8696 Depth=2
	s_and_saveexec_b64 vcc, s[44:45]
	s_xor_b64 s[58:59], exec, vcc
	s_cbranch_execz .LBB2_8808
; %bb.8776:                             ;   in Loop: Header=BB2_8696 Depth=2
	s_and_saveexec_b64 s[60:61], s[16:17]
	s_cbranch_execz .LBB2_8807
; %bb.8777:                             ;   in Loop: Header=BB2_8696 Depth=2
	s_mov_b64 s[64:65], exec
	v_mbcnt_lo_u32_b32 v2, s64, 0
	v_mbcnt_hi_u32_b32 v2, s65, v2
	v_cmp_eq_u32_e32 vcc, 0, v2
	s_waitcnt vmcnt(0) lgkmcnt(0)
	buffer_wbinvl1_vol
	s_and_saveexec_b64 s[62:63], vcc
	s_cbranch_execz .LBB2_8779
; %bb.8778:                             ;   in Loop: Header=BB2_8696 Depth=2
	s_bcnt1_i32_b64 vcc_lo, s[64:65]
	v_mov_b32_e32 v50, vcc_lo
	ds_add_u64 v0, v[50:51]
	s_trap 2
.LBB2_8779:                             ;   in Loop: Header=BB2_8696 Depth=2
	s_or_b64 exec, exec, s[62:63]
	s_trap 2
	ds_read_b64 v[2:3], v0
	v_accvgpr_read_b32 v4, a14
	v_accvgpr_read_b32 v5, a15
	v_add_co_u32_e32 v4, vcc, v4, v44
	v_addc_co_u32_e32 v5, vcc, 0, v5, vcc
	v_accvgpr_write_b32 a15, v5
	v_accvgpr_write_b32 a14, v4
	s_waitcnt lgkmcnt(0)
	v_cmp_lt_u64_e32 vcc, v[2:3], v[4:5]
	s_and_saveexec_b64 s[62:63], vcc
	s_cbranch_execz .LBB2_8806
; %bb.8780:                             ;   in Loop: Header=BB2_8696 Depth=2
	s_mov_b32 s74, 0
	s_mov_b64 s[64:65], 0
                                        ; implicit-def: $sgpr66_sgpr67
                                        ; implicit-def: $sgpr68_sgpr69
	s_branch .LBB2_8782
.LBB2_8781:                             ;   in Loop: Header=BB2_8782 Depth=3
	s_or_b64 exec, exec, s[72:73]
	s_and_b64 vcc, exec, vcc
	s_or_b64 s[64:65], vcc, s[64:65]
	s_andn2_b64 vcc, s[66:67], exec
	s_and_b64 s[46:47], s[68:69], exec
	s_or_b64 s[66:67], vcc, s[46:47]
	s_andn2_b64 exec, exec, s[64:65]
	s_cbranch_execz .LBB2_8804
.LBB2_8782:                             ;   Parent Loop BB2_47 Depth=1
                                        ;     Parent Loop BB2_8696 Depth=2
                                        ; =>    This Inner Loop Header: Depth=3
	s_add_i32 s74, s74, 1
	s_cmpk_lg_i32 s74, 0x2710
	s_cselect_b64 s[70:71], -1, 0
	s_and_b64 vcc, exec, s[70:71]
                                        ; implicit-def: $sgpr72_sgpr73
	s_cbranch_vccnz .LBB2_8784
; %bb.8783:                             ;   in Loop: Header=BB2_8782 Depth=3
	s_trap 2
	ds_read_b64 v[2:3], v0
	s_andn2_b64 s[46:47], s[70:71], exec
	s_mov_b32 s74, 0
	s_mov_b64 s[72:73], -1
	s_waitcnt lgkmcnt(0)
	flat_load_dword v2, v[2:3] glc
	s_waitcnt vmcnt(0) lgkmcnt(0)
	buffer_invl2
	buffer_wbinvl1_vol
	v_cmp_eq_u32_e32 vcc, 0, v2
	s_and_b64 vcc, vcc, exec
	s_or_b64 s[70:71], s[46:47], vcc
.LBB2_8784:                             ;   in Loop: Header=BB2_8782 Depth=3
	s_andn2_b64 s[46:47], s[68:69], exec
	s_and_b64 s[68:69], s[72:73], exec
	s_mov_b64 vcc, -1
	s_or_b64 s[68:69], s[46:47], s[68:69]
	s_and_saveexec_b64 s[72:73], s[70:71]
	s_cbranch_execz .LBB2_8781
; %bb.8785:                             ;   in Loop: Header=BB2_8782 Depth=3
	s_sleep 1
	s_trap 2
	ds_read_b64 v[2:3], v0
	v_accvgpr_read_b32 v4, a14
	v_accvgpr_read_b32 v5, a15
	s_andn2_b64 s[68:69], s[68:69], exec
	s_waitcnt lgkmcnt(0)
	v_cmp_ge_u64_e32 vcc, v[2:3], v[4:5]
	s_orn2_b64 vcc, vcc, exec
	s_branch .LBB2_8781
.LBB2_8786:                             ;   in Loop: Header=BB2_8696 Depth=2
	v_accvgpr_read_b32 v2, a24
	v_sub_u32_e32 v9, v11, v2
	v_ashrrev_i32_e32 v2, 31, v11
	v_lshrrev_b32_e32 v2, 22, v2
	v_add_u32_e32 v2, v11, v2
	v_and_b32_e32 v8, 0xfffffc00, v2
	v_accvgpr_read_b32 v3, a25
	v_sub_u32_e32 v16, v11, v8
	v_ashrrev_i32_e32 v3, 10, v2
	v_cmp_lt_i32_e32 vcc, 15, v16
	v_accvgpr_read_b32 v2, a41
	v_addc_co_u32_e64 v15, s[26:27], v3, v2, vcc
	v_cmp_lt_i32_e64 s[26:27], 15, v9
	s_and_saveexec_b64 s[58:59], s[26:27]
	s_cbranch_execz .LBB2_8790
; %bb.8787:                             ;   in Loop: Header=BB2_8696 Depth=2
	s_trap 2
	ds_read_b64 v[2:3], v0
	v_accvgpr_read_b32 v4, a24
	s_mov_b64 s[60:61], 0
	v_accvgpr_read_b32 v5, a25
	v_accvgpr_read_b32 v14, a28
	;; [unrolled: 1-line block ×4, first 2 shown]
.LBB2_8788:                             ;   Parent Loop BB2_47 Depth=1
                                        ;     Parent Loop BB2_8696 Depth=2
                                        ; =>    This Inner Loop Header: Depth=3
	s_waitcnt lgkmcnt(0)
	v_add_co_u32_e64 v12, s[26:27], v2, v4
	v_addc_co_u32_e64 v13, s[26:27], v3, v5, s[26:27]
	global_load_dwordx4 v[18:21], v[12:13], off glc slc
	v_add_co_u32_e64 v4, s[26:27], v4, v17
	v_sub_u32_e32 v9, v9, v14
	v_addc_co_u32_e64 v5, s[26:27], v5, v22, s[26:27]
	v_cmp_gt_i32_e64 s[26:27], 16, v9
	v_sub_u32_e32 v15, v15, v44
	s_or_b64 s[60:61], s[26:27], s[60:61]
	s_waitcnt vmcnt(0)
	global_store_dwordx4 v[12:13], v[18:21], off glc slc
	s_andn2_b64 exec, exec, s[60:61]
	s_cbranch_execnz .LBB2_8788
; %bb.8789:                             ;   in Loop: Header=BB2_8696 Depth=2
	s_or_b64 exec, exec, s[60:61]
.LBB2_8790:                             ;   in Loop: Header=BB2_8696 Depth=2
	s_or_b64 exec, exec, s[58:59]
	v_and_b32_e32 v2, 15, v11
	v_cndmask_b32_e32 v9, v16, v2, vcc
	v_cmp_ne_u32_e64 s[26:27], 0, v9
	s_mov_b64 s[60:61], 0
	v_mov_b32_e32 v12, 0
                                        ; implicit-def: $vgpr13
                                        ; implicit-def: $vgpr14
                                        ; implicit-def: $vgpr4
	s_and_saveexec_b64 s[58:59], s[26:27]
	s_cbranch_execz .LBB2_8798
; %bb.8791:                             ;   in Loop: Header=BB2_8696 Depth=2
	v_sub_u32_e32 v2, v16, v2
	v_cndmask_b32_e32 v2, 0, v2, vcc
	v_cmp_lt_i32_e32 vcc, 0, v15
	v_add_u32_e32 v8, v2, v8
	v_cndmask_b32_e32 v2, 0, v44, vcc
	v_sub_u32_e32 v2, v2, v15
	v_accvgpr_read_b32 v3, a40
	v_lshl_add_u32 v2, v2, 6, v3
	v_ashrrev_i32_e32 v3, 31, v2
	v_lshrrev_b32_e32 v3, 26, v3
	v_add_u32_e32 v3, v2, v3
	v_ashrrev_i32_e32 v5, 6, v3
	v_and_b32_e32 v3, 0xffffffc0, v3
	v_sub_u32_e32 v15, v2, v3
	v_lshlrev_b32_e32 v2, 4, v15
	v_lshl_add_u32 v4, v5, 10, v2
	v_ashrrev_i32_e32 v2, 31, v9
	v_lshrrev_b32_e32 v2, 22, v2
	v_add_u32_e32 v2, v9, v2
	v_and_b32_e32 v16, 0xfffffc00, v2
	v_sub_u32_e32 v18, v9, v16
	v_ashrrev_i32_e32 v3, 10, v2
	v_cmp_lt_i32_e32 vcc, 15, v18
	v_sub_u32_e32 v12, v9, v4
	v_addc_co_u32_e64 v2, s[26:27], 0, v3, vcc
	v_sub_u32_e32 v17, v2, v5
	v_cmp_lt_i32_e64 s[26:27], 15, v12
	s_and_saveexec_b64 s[60:61], s[26:27]
	s_cbranch_execz .LBB2_8795
; %bb.8792:                             ;   in Loop: Header=BB2_8696 Depth=2
	s_trap 2
	ds_read_b64 v[2:3], v0
	v_add_u32_e32 v4, v4, v8
	v_ashrrev_i32_e32 v5, 31, v4
	s_mov_b64 s[62:63], 0
	v_accvgpr_read_b32 v13, a28
	v_accvgpr_read_b32 v14, a42
	;; [unrolled: 1-line block ×3, first 2 shown]
.LBB2_8793:                             ;   Parent Loop BB2_47 Depth=1
                                        ;     Parent Loop BB2_8696 Depth=2
                                        ; =>    This Inner Loop Header: Depth=3
	s_waitcnt lgkmcnt(0)
	v_add_co_u32_e64 v24, s[26:27], v2, v4
	v_addc_co_u32_e64 v25, s[26:27], v3, v5, s[26:27]
	global_load_dwordx4 v[20:23], v[24:25], off glc slc
	v_add_co_u32_e64 v4, s[26:27], v4, v14
	v_sub_u32_e32 v12, v12, v13
	v_addc_co_u32_e64 v5, s[26:27], v5, v19, s[26:27]
	v_cmp_gt_i32_e64 s[26:27], 16, v12
	v_sub_u32_e32 v17, v17, v44
	s_or_b64 s[62:63], s[26:27], s[62:63]
	s_waitcnt vmcnt(0)
	global_store_dwordx4 v[24:25], v[20:23], off glc slc
	s_andn2_b64 exec, exec, s[62:63]
	s_cbranch_execnz .LBB2_8793
; %bb.8794:                             ;   in Loop: Header=BB2_8696 Depth=2
	s_or_b64 exec, exec, s[62:63]
.LBB2_8795:                             ;   in Loop: Header=BB2_8696 Depth=2
	s_or_b64 exec, exec, s[60:61]
	v_and_b32_e32 v2, 15, v9
	v_cndmask_b32_e32 v13, v18, v2, vcc
	v_cmp_ne_u32_e64 s[26:27], 0, v13
	s_mov_b64 s[60:61], 0
	v_mov_b32_e32 v12, 0
                                        ; implicit-def: $vgpr14
                                        ; implicit-def: $vgpr4
	s_and_saveexec_b64 s[62:63], s[26:27]
	s_cbranch_execz .LBB2_8797
; %bb.8796:                             ;   in Loop: Header=BB2_8696 Depth=2
	v_sub_u32_e32 v2, v18, v2
	v_cndmask_b32_e32 v2, 0, v2, vcc
	v_cmp_lt_i32_e32 vcc, 0, v17
	v_add3_u32 v12, v16, v8, v2
	v_cndmask_b32_e32 v2, 0, v44, vcc
	v_sub_u32_e32 v2, v2, v17
	v_lshl_add_u32 v14, v2, 6, v15
	v_ashrrev_i32_e32 v2, 31, v14
	v_lshrrev_b32_e32 v2, 26, v2
	v_add_u32_e32 v2, v14, v2
	s_mov_b64 s[60:61], exec
	v_ashrrev_i32_e32 v4, 6, v2
.LBB2_8797:                             ;   in Loop: Header=BB2_8696 Depth=2
	s_or_b64 exec, exec, s[62:63]
	s_and_b64 s[60:61], s[60:61], exec
.LBB2_8798:                             ;   in Loop: Header=BB2_8696 Depth=2
	s_or_b64 exec, exec, s[58:59]
	s_and_saveexec_b64 s[26:27], s[60:61]
	s_cbranch_execnz .LBB2_8765
.LBB2_8799:                             ;   in Loop: Header=BB2_8696 Depth=2
	s_or_b64 exec, exec, s[26:27]
	s_and_saveexec_b64 s[26:27], s[10:11]
	s_cbranch_execnz .LBB2_8775
.LBB2_8800:                             ;   in Loop: Header=BB2_8696 Depth=2
	s_or_b64 exec, exec, s[26:27]
	s_and_saveexec_b64 s[26:27], s[24:25]
	s_xor_b64 s[58:59], exec, s[26:27]
	s_cbranch_execz .LBB2_8811
.LBB2_8801:                             ;   in Loop: Header=BB2_8696 Depth=2
	v_and_b32_e32 v2, 16, v60
	v_cmp_lt_i32_e32 vcc, 0, v11
	v_cmp_ne_u32_e64 s[26:27], 0, v2
	s_and_b64 vcc, s[26:27], vcc
	s_and_saveexec_b64 s[26:27], vcc
	s_cbranch_execz .LBB2_8803
; %bb.8802:                             ;   in Loop: Header=BB2_8696 Depth=2
	s_waitcnt vmcnt(0) lgkmcnt(0)
	buffer_wbinvl1_vol
.LBB2_8803:                             ;   in Loop: Header=BB2_8696 Depth=2
	s_or_b64 exec, exec, s[26:27]
	s_andn2_saveexec_b64 s[26:27], s[58:59]
	s_cbranch_execz .LBB2_8830
	s_branch .LBB2_8812
.LBB2_8804:                             ;   in Loop: Header=BB2_8696 Depth=2
	s_or_b64 exec, exec, s[64:65]
	s_and_saveexec_b64 vcc, s[66:67]
	s_xor_b64 vcc, exec, vcc
	s_cbranch_execz .LBB2_8806
; %bb.8805:                             ;   in Loop: Header=BB2_8696 Depth=2
	v_mov_b32_e32 v2, 1
	ds_write_b32 v0, v2
	s_trap 2
.LBB2_8806:                             ;   in Loop: Header=BB2_8696 Depth=2
	s_or_b64 exec, exec, s[62:63]
	;;#ASMSTART
	s_wakeup
	;;#ASMEND
.LBB2_8807:                             ;   in Loop: Header=BB2_8696 Depth=2
	s_or_b64 exec, exec, s[60:61]
.LBB2_8808:                             ;   in Loop: Header=BB2_8696 Depth=2
	s_andn2_saveexec_b64 vcc, s[58:59]
	s_cbranch_execz .LBB2_8810
; %bb.8809:                             ;   in Loop: Header=BB2_8696 Depth=2
	s_waitcnt vmcnt(0) lgkmcnt(0)
	buffer_wbinvl1_vol
	s_barrier
.LBB2_8810:                             ;   in Loop: Header=BB2_8696 Depth=2
	s_or_b64 exec, exec, vcc
	s_or_b64 exec, exec, s[26:27]
	s_and_saveexec_b64 s[26:27], s[24:25]
	s_xor_b64 s[58:59], exec, s[26:27]
	s_cbranch_execnz .LBB2_8801
.LBB2_8811:                             ;   in Loop: Header=BB2_8696 Depth=2
	s_andn2_saveexec_b64 s[26:27], s[58:59]
	s_cbranch_execz .LBB2_8830
.LBB2_8812:                             ;   in Loop: Header=BB2_8696 Depth=2
	s_and_saveexec_b64 vcc, s[44:45]
	s_xor_b64 s[58:59], exec, vcc
	s_cbranch_execz .LBB2_8827
; %bb.8813:                             ;   in Loop: Header=BB2_8696 Depth=2
	s_and_saveexec_b64 s[60:61], s[16:17]
	s_cbranch_execz .LBB2_8826
; %bb.8814:                             ;   in Loop: Header=BB2_8696 Depth=2
	s_mov_b64 s[64:65], exec
	v_mbcnt_lo_u32_b32 v2, s64, 0
	v_mbcnt_hi_u32_b32 v2, s65, v2
	v_cmp_eq_u32_e32 vcc, 0, v2
	;;#ASMSTART
	s_waitcnt lgkmcnt(0) vmcnt(0)
	;;#ASMEND
	s_and_saveexec_b64 s[62:63], vcc
	s_cbranch_execz .LBB2_8816
; %bb.8815:                             ;   in Loop: Header=BB2_8696 Depth=2
	s_bcnt1_i32_b64 vcc_lo, s[64:65]
	v_mov_b32_e32 v50, vcc_lo
	ds_add_u64 v0, v[50:51]
	s_trap 2
.LBB2_8816:                             ;   in Loop: Header=BB2_8696 Depth=2
	s_or_b64 exec, exec, s[62:63]
	s_trap 2
	ds_read_b64 v[2:3], v0
	v_accvgpr_read_b32 v4, a14
	v_accvgpr_read_b32 v5, a15
	v_add_co_u32_e32 v4, vcc, v4, v44
	v_addc_co_u32_e32 v5, vcc, 0, v5, vcc
	v_accvgpr_write_b32 a15, v5
	v_accvgpr_write_b32 a14, v4
	s_waitcnt lgkmcnt(0)
	v_cmp_lt_u64_e32 vcc, v[2:3], v[4:5]
	s_and_saveexec_b64 s[62:63], vcc
	s_cbranch_execz .LBB2_8825
; %bb.8817:                             ;   in Loop: Header=BB2_8696 Depth=2
	s_mov_b32 s74, 0
	s_mov_b64 s[64:65], 0
                                        ; implicit-def: $sgpr66_sgpr67
                                        ; implicit-def: $sgpr68_sgpr69
	s_branch .LBB2_8819
.LBB2_8818:                             ;   in Loop: Header=BB2_8819 Depth=3
	s_or_b64 exec, exec, s[72:73]
	s_and_b64 vcc, exec, vcc
	s_or_b64 s[64:65], vcc, s[64:65]
	s_andn2_b64 vcc, s[66:67], exec
	s_and_b64 s[46:47], s[68:69], exec
	s_or_b64 s[66:67], vcc, s[46:47]
	s_andn2_b64 exec, exec, s[64:65]
	s_cbranch_execz .LBB2_8823
.LBB2_8819:                             ;   Parent Loop BB2_47 Depth=1
                                        ;     Parent Loop BB2_8696 Depth=2
                                        ; =>    This Inner Loop Header: Depth=3
	s_add_i32 s74, s74, 1
	s_cmpk_lg_i32 s74, 0x2710
	s_cselect_b64 s[70:71], -1, 0
	s_and_b64 vcc, exec, s[70:71]
                                        ; implicit-def: $sgpr72_sgpr73
	s_cbranch_vccnz .LBB2_8821
; %bb.8820:                             ;   in Loop: Header=BB2_8819 Depth=3
	s_trap 2
	ds_read_b64 v[2:3], v0
	s_andn2_b64 s[46:47], s[70:71], exec
	s_mov_b32 s74, 0
	s_mov_b64 s[72:73], -1
	s_waitcnt vmcnt(0) lgkmcnt(0)
	flat_load_dword v2, v[2:3] glc
	s_waitcnt vmcnt(0) lgkmcnt(0)
	buffer_invl2
	buffer_wbinvl1_vol
	v_cmp_eq_u32_e32 vcc, 0, v2
	s_and_b64 vcc, vcc, exec
	s_or_b64 s[70:71], s[46:47], vcc
.LBB2_8821:                             ;   in Loop: Header=BB2_8819 Depth=3
	s_andn2_b64 s[46:47], s[68:69], exec
	s_and_b64 s[68:69], s[72:73], exec
	s_mov_b64 vcc, -1
	s_or_b64 s[68:69], s[46:47], s[68:69]
	s_and_saveexec_b64 s[72:73], s[70:71]
	s_cbranch_execz .LBB2_8818
; %bb.8822:                             ;   in Loop: Header=BB2_8819 Depth=3
	s_sleep 1
	s_trap 2
	ds_read_b64 v[2:3], v0
	v_accvgpr_read_b32 v4, a14
	v_accvgpr_read_b32 v5, a15
	s_andn2_b64 s[68:69], s[68:69], exec
	s_waitcnt lgkmcnt(0)
	v_cmp_ge_u64_e32 vcc, v[2:3], v[4:5]
	s_orn2_b64 vcc, vcc, exec
	s_branch .LBB2_8818
.LBB2_8823:                             ;   in Loop: Header=BB2_8696 Depth=2
	s_or_b64 exec, exec, s[64:65]
	s_and_saveexec_b64 vcc, s[66:67]
	s_xor_b64 vcc, exec, vcc
	s_cbranch_execz .LBB2_8825
; %bb.8824:                             ;   in Loop: Header=BB2_8696 Depth=2
	v_mov_b32_e32 v2, 1
	ds_write_b32 v0, v2
	s_trap 2
.LBB2_8825:                             ;   in Loop: Header=BB2_8696 Depth=2
	s_or_b64 exec, exec, s[62:63]
	;;#ASMSTART
	s_wakeup
	;;#ASMEND
.LBB2_8826:                             ;   in Loop: Header=BB2_8696 Depth=2
	s_or_b64 exec, exec, s[60:61]
.LBB2_8827:                             ;   in Loop: Header=BB2_8696 Depth=2
	s_andn2_saveexec_b64 vcc, s[58:59]
	s_cbranch_execz .LBB2_8829
; %bb.8828:                             ;   in Loop: Header=BB2_8696 Depth=2
	;;#ASMSTART
	s_waitcnt lgkmcnt(0) vmcnt(0)
	;;#ASMEND
	s_barrier
.LBB2_8829:                             ;   in Loop: Header=BB2_8696 Depth=2
	s_or_b64 exec, exec, vcc
.LBB2_8830:                             ;   in Loop: Header=BB2_8696 Depth=2
	s_or_b64 exec, exec, s[26:27]
	v_and_b32_e32 v2, 32, v60
	v_cmp_ne_u32_e32 vcc, 0, v2
	s_and_saveexec_b64 s[26:27], vcc
	s_cbranch_execz .LBB2_8695
; %bb.8831:                             ;   in Loop: Header=BB2_8696 Depth=2
	v_add_co_u32_e32 v32, vcc, 2, v32
	v_addc_co_u32_e32 v33, vcc, 0, v33, vcc
	flat_store_dwordx2 v[34:35], v[32:33]
	s_branch .LBB2_8695
.LBB2_8832:                             ;   in Loop: Header=BB2_47 Depth=1
	s_or_b64 exec, exec, s[30:31]
.LBB2_8833:                             ;   in Loop: Header=BB2_47 Depth=1
	s_or_b64 exec, exec, s[28:29]
	v_cmp_gt_i32_e32 vcc, 2, v4
	s_and_saveexec_b64 s[28:29], vcc
	s_cbranch_execnz .LBB2_8834
; %bb.8954:                             ;   in Loop: Header=BB2_47 Depth=1
	s_getpc_b64 s[98:99]
.Lpost_getpc6:
	s_add_u32 s98, s98, (.LBB2_46-.Lpost_getpc6)&4294967295
	s_addc_u32 s99, s99, (.LBB2_46-.Lpost_getpc6)>>32
	s_setpc_b64 s[98:99]
.LBB2_8834:                             ;   in Loop: Header=BB2_47 Depth=1
	v_cmp_eq_u32_e64 s[26:27], 0, v4
	s_mov_b64 s[30:31], 0
	s_branch .LBB2_8836
.LBB2_8835:                             ;   in Loop: Header=BB2_8836 Depth=2
	s_or_b64 exec, exec, s[26:27]
	v_add_u32_e32 v7, v6, v7
	s_mov_b64 s[26:27], 0
	s_andn2_b64 exec, exec, s[30:31]
	s_cbranch_execnz .LBB2_8836
; %bb.8956:                             ;   in Loop: Header=BB2_47 Depth=1
	s_getpc_b64 s[98:99]
.Lpost_getpc7:
	s_add_u32 s98, s98, (.LBB2_45-.Lpost_getpc7)&4294967295
	s_addc_u32 s99, s99, (.LBB2_45-.Lpost_getpc7)>>32
	s_setpc_b64 s[98:99]
.LBB2_8836:                             ;   Parent Loop BB2_47 Depth=1
                                        ; =>  This Loop Header: Depth=2
                                        ;       Child Loop BB2_8842 Depth 3
                                        ;       Child Loop BB2_8866 Depth 3
	;; [unrolled: 1-line block ×3, first 2 shown]
	v_and_b32_e32 v0, 4, v60
	s_mov_b64 s[58:59], -1
	v_cmp_ne_u32_e32 vcc, 0, v0
	s_and_saveexec_b64 s[34:35], vcc
	s_cbranch_execz .LBB2_8848
; %bb.8837:                             ;   in Loop: Header=BB2_8836 Depth=2
	v_add_co_u32_e32 v2, vcc, 2, v32
	v_addc_co_u32_e32 v3, vcc, 0, v33, vcc
	v_cmp_lt_u64_e32 vcc, v[48:49], v[2:3]
	v_mov_b32_e32 v0, 1
	s_and_saveexec_b64 s[58:59], vcc
	s_cbranch_execz .LBB2_8847
; %bb.8838:                             ;   in Loop: Header=BB2_8836 Depth=2
	s_mov_b64 s[60:61], 0
	v_mov_b32_e32 v0, 0
                                        ; implicit-def: $sgpr62_sgpr63
	s_branch .LBB2_8842
.LBB2_8839:                             ;   in Loop: Header=BB2_8842 Depth=3
	s_or_b64 exec, exec, s[70:71]
	v_mov_b32_e32 v4, 0
	s_orn2_b64 s[68:69], s[68:69], exec
.LBB2_8840:                             ;   in Loop: Header=BB2_8842 Depth=3
	s_or_b64 exec, exec, s[66:67]
	s_andn2_b64 vcc, s[62:63], exec
	s_and_b64 s[46:47], s[68:69], exec
	s_or_b64 s[62:63], vcc, s[46:47]
	v_mov_b32_e32 v0, v4
.LBB2_8841:                             ;   in Loop: Header=BB2_8842 Depth=3
	s_or_b64 exec, exec, s[64:65]
	s_waitcnt vmcnt(0) lgkmcnt(0)
	v_cmp_ge_u64_e32 vcc, v[48:49], v[2:3]
	s_xor_b64 s[46:47], s[62:63], -1
	s_or_b64 vcc, s[46:47], vcc
	s_and_b64 vcc, exec, vcc
	s_or_b64 s[60:61], vcc, s[60:61]
	s_andn2_b64 exec, exec, s[60:61]
	s_cbranch_execz .LBB2_8846
.LBB2_8842:                             ;   Parent Loop BB2_47 Depth=1
                                        ;     Parent Loop BB2_8836 Depth=2
                                        ; =>    This Inner Loop Header: Depth=3
	s_sleep 1
	flat_load_dwordx2 v[48:49], v[34:35] glc
	v_and_b32_e32 v4, 64, v60
	v_cmp_eq_u32_e32 vcc, 0, v4
	s_andn2_b64 s[62:63], s[62:63], exec
	s_and_saveexec_b64 s[64:65], vcc
	s_cbranch_execz .LBB2_8841
; %bb.8843:                             ;   in Loop: Header=BB2_8842 Depth=3
	v_add_u32_e32 v4, 1, v0
	v_cmp_lt_i32_e32 vcc, s91, v0
	s_mov_b64 s[68:69], -1
	s_and_saveexec_b64 s[66:67], vcc
	s_cbranch_execz .LBB2_8840
; %bb.8844:                             ;   in Loop: Header=BB2_8842 Depth=3
	s_trap 2
	ds_read_b64 v[4:5], v0
	s_waitcnt vmcnt(0) lgkmcnt(0)
	flat_load_dword v0, v[4:5] glc
	s_waitcnt vmcnt(0) lgkmcnt(0)
	buffer_invl2
	buffer_wbinvl1_vol
	v_cmp_ne_u32_e32 vcc, 0, v0
	s_and_saveexec_b64 s[70:71], vcc
	s_cbranch_execz .LBB2_8839
; %bb.8845:                             ;   in Loop: Header=BB2_8842 Depth=3
	v_or_b32_e32 v60, 64, v60
	s_xor_b64 s[68:69], exec, -1
	ds_write_b32 v0, v0
	s_trap 2
	s_branch .LBB2_8839
.LBB2_8846:                             ;   in Loop: Header=BB2_8836 Depth=2
	s_or_b64 exec, exec, s[60:61]
	v_and_b32_e32 v0, 4, v60
.LBB2_8847:                             ;   in Loop: Header=BB2_8836 Depth=2
	s_or_b64 exec, exec, s[58:59]
	v_cmp_eq_u32_e32 vcc, 0, v0
	s_orn2_b64 s[58:59], vcc, exec
	;;#ASMSTART
	s_wakeup
	;;#ASMEND
.LBB2_8848:                             ;   in Loop: Header=BB2_8836 Depth=2
	s_or_b64 exec, exec, s[34:35]
	s_xor_b64 s[26:27], s[26:27], -1
	s_and_b64 s[26:27], exec, s[26:27]
	s_or_b64 s[30:31], s[26:27], s[30:31]
	s_xor_b64 s[26:27], s[58:59], -1
	s_and_saveexec_b64 s[34:35], s[26:27]
	s_cbranch_execz .LBB2_8858
; %bb.8849:                             ;   in Loop: Header=BB2_8836 Depth=2
	v_and_b32_e32 v0, 0x100, v60
	v_cmp_ne_u32_e32 vcc, 0, v0
	v_and_b32_e32 v0, 7, v32
	s_mov_b64 s[26:27], -1
                                        ; implicit-def: $vgpr2_vgpr3
	s_and_saveexec_b64 s[58:59], vcc
	s_cbranch_execz .LBB2_8853
; %bb.8850:                             ;   in Loop: Header=BB2_8836 Depth=2
	v_accvgpr_read_b32 v2, a12
	v_accvgpr_read_b32 v3, a13
	v_mad_u64_u32 v[4:5], s[26:27], v0, 24, v[2:3]
	flat_load_dword v2, v[4:5]
	s_waitcnt vmcnt(0) lgkmcnt(0)
	v_cmp_ne_u32_e32 vcc, 1, v2
	v_cmp_eq_u32_e64 s[26:27], 1, v2
                                        ; implicit-def: $vgpr2_vgpr3
	s_and_saveexec_b64 s[60:61], s[26:27]
	s_cbranch_execz .LBB2_8852
; %bb.8851:                             ;   in Loop: Header=BB2_8836 Depth=2
	flat_load_dword v2, v[4:5] offset:4 glc
	s_waitcnt vmcnt(0) lgkmcnt(0)
	v_ashrrev_i32_e32 v3, 31, v2
.LBB2_8852:                             ;   in Loop: Header=BB2_8836 Depth=2
	s_or_b64 exec, exec, s[60:61]
	s_orn2_b64 s[26:27], vcc, exec
.LBB2_8853:                             ;   in Loop: Header=BB2_8836 Depth=2
	s_or_b64 exec, exec, s[58:59]
	s_and_saveexec_b64 vcc, s[26:27]
; %bb.8854:                             ;   in Loop: Header=BB2_8836 Depth=2
	v_accvgpr_read_b32 v2, a16
	v_mad_i64_i32 v[2:3], s[26:27], v0, v2, 0
; %bb.8855:                             ;   in Loop: Header=BB2_8836 Depth=2
	s_or_b64 exec, exec, vcc
	v_accvgpr_read_b32 v4, a18
	v_accvgpr_read_b32 v5, a19
	v_add_co_u32_e32 v2, vcc, v4, v2
	v_addc_co_u32_e32 v3, vcc, v5, v3, vcc
	ds_write_b64 v0, v[2:3] offset:720
	v_and_b32_e32 v0, 0x2000, v60
	v_cmp_ne_u32_e32 vcc, 0, v0
	s_and_saveexec_b64 s[26:27], vcc
	s_cbranch_execz .LBB2_8857
; %bb.8856:                             ;   in Loop: Header=BB2_8836 Depth=2
	ds_read_b64 v[2:3], v0 offset:584
	s_waitcnt lgkmcnt(0)
	v_add_co_u32_e32 v2, vcc, 1, v2
	v_addc_co_u32_e32 v3, vcc, 0, v3, vcc
	ds_write_b64 v0, v[2:3] offset:584
.LBB2_8857:                             ;   in Loop: Header=BB2_8836 Depth=2
	s_or_b64 exec, exec, s[26:27]
	v_add_co_u32_e32 v32, vcc, 2, v32
	v_addc_co_u32_e32 v33, vcc, 0, v33, vcc
.LBB2_8858:                             ;   in Loop: Header=BB2_8836 Depth=2
	s_or_b64 exec, exec, s[34:35]
	s_and_saveexec_b64 s[26:27], s[10:11]
	s_cbranch_execz .LBB2_8877
; %bb.8859:                             ;   in Loop: Header=BB2_8836 Depth=2
	s_and_saveexec_b64 vcc, s[44:45]
	s_xor_b64 s[34:35], exec, vcc
	s_cbranch_execz .LBB2_8874
; %bb.8860:                             ;   in Loop: Header=BB2_8836 Depth=2
	s_and_saveexec_b64 s[58:59], s[16:17]
	s_cbranch_execz .LBB2_8873
; %bb.8861:                             ;   in Loop: Header=BB2_8836 Depth=2
	s_mov_b64 s[62:63], exec
	v_mbcnt_lo_u32_b32 v0, s62, 0
	v_mbcnt_hi_u32_b32 v0, s63, v0
	v_cmp_eq_u32_e32 vcc, 0, v0
	s_waitcnt vmcnt(0) lgkmcnt(0)
	buffer_wbinvl1_vol
	s_and_saveexec_b64 s[60:61], vcc
	s_cbranch_execz .LBB2_8863
; %bb.8862:                             ;   in Loop: Header=BB2_8836 Depth=2
	s_bcnt1_i32_b64 s8, s[62:63]
	v_mov_b32_e32 v50, s8
	ds_add_u64 v0, v[50:51]
	s_trap 2
.LBB2_8863:                             ;   in Loop: Header=BB2_8836 Depth=2
	s_or_b64 exec, exec, s[60:61]
	s_trap 2
	ds_read_b64 v[2:3], v0
	v_accvgpr_read_b32 v4, a14
	v_accvgpr_read_b32 v5, a15
	v_add_co_u32_e32 v4, vcc, v4, v44
	v_addc_co_u32_e32 v5, vcc, 0, v5, vcc
	v_accvgpr_write_b32 a15, v5
	v_accvgpr_write_b32 a14, v4
	s_waitcnt lgkmcnt(0)
	v_cmp_lt_u64_e32 vcc, v[2:3], v[4:5]
	s_and_saveexec_b64 s[60:61], vcc
	s_cbranch_execz .LBB2_8872
; %bb.8864:                             ;   in Loop: Header=BB2_8836 Depth=2
	s_mov_b32 s8, 0
	s_mov_b64 s[62:63], 0
                                        ; implicit-def: $sgpr64_sgpr65
                                        ; implicit-def: $sgpr66_sgpr67
	s_branch .LBB2_8866
.LBB2_8865:                             ;   in Loop: Header=BB2_8866 Depth=3
	s_or_b64 exec, exec, s[70:71]
	s_and_b64 vcc, exec, vcc
	s_or_b64 s[62:63], vcc, s[62:63]
	s_andn2_b64 vcc, s[64:65], exec
	s_and_b64 s[46:47], s[66:67], exec
	s_or_b64 s[64:65], vcc, s[46:47]
	s_andn2_b64 exec, exec, s[62:63]
	s_cbranch_execz .LBB2_8870
.LBB2_8866:                             ;   Parent Loop BB2_47 Depth=1
                                        ;     Parent Loop BB2_8836 Depth=2
                                        ; =>    This Inner Loop Header: Depth=3
	s_add_i32 s8, s8, 1
	s_cmpk_lg_i32 s8, 0x2710
	s_cselect_b64 s[68:69], -1, 0
	s_and_b64 vcc, exec, s[68:69]
                                        ; implicit-def: $sgpr70_sgpr71
	s_cbranch_vccnz .LBB2_8868
; %bb.8867:                             ;   in Loop: Header=BB2_8866 Depth=3
	s_trap 2
	ds_read_b64 v[2:3], v0
	s_andn2_b64 s[46:47], s[68:69], exec
	s_mov_b32 s8, 0
	s_mov_b64 s[70:71], -1
	s_waitcnt lgkmcnt(0)
	flat_load_dword v0, v[2:3] glc
	s_waitcnt vmcnt(0) lgkmcnt(0)
	buffer_invl2
	buffer_wbinvl1_vol
	v_cmp_eq_u32_e32 vcc, 0, v0
	s_and_b64 vcc, vcc, exec
	s_or_b64 s[68:69], s[46:47], vcc
.LBB2_8868:                             ;   in Loop: Header=BB2_8866 Depth=3
	s_andn2_b64 s[46:47], s[66:67], exec
	s_and_b64 s[66:67], s[70:71], exec
	s_mov_b64 vcc, -1
	s_or_b64 s[66:67], s[46:47], s[66:67]
	s_and_saveexec_b64 s[70:71], s[68:69]
	s_cbranch_execz .LBB2_8865
; %bb.8869:                             ;   in Loop: Header=BB2_8866 Depth=3
	s_sleep 1
	s_trap 2
	ds_read_b64 v[2:3], v0
	v_accvgpr_read_b32 v4, a14
	v_accvgpr_read_b32 v5, a15
	s_andn2_b64 s[66:67], s[66:67], exec
	s_waitcnt lgkmcnt(0)
	v_cmp_ge_u64_e32 vcc, v[2:3], v[4:5]
	s_orn2_b64 vcc, vcc, exec
	s_branch .LBB2_8865
.LBB2_8870:                             ;   in Loop: Header=BB2_8836 Depth=2
	s_or_b64 exec, exec, s[62:63]
	s_and_saveexec_b64 vcc, s[64:65]
	s_xor_b64 vcc, exec, vcc
	s_cbranch_execz .LBB2_8872
; %bb.8871:                             ;   in Loop: Header=BB2_8836 Depth=2
	v_mov_b32_e32 v0, 1
	ds_write_b32 v0, v0
	s_trap 2
.LBB2_8872:                             ;   in Loop: Header=BB2_8836 Depth=2
	s_or_b64 exec, exec, s[60:61]
	;;#ASMSTART
	s_wakeup
	;;#ASMEND
.LBB2_8873:                             ;   in Loop: Header=BB2_8836 Depth=2
	s_or_b64 exec, exec, s[58:59]
.LBB2_8874:                             ;   in Loop: Header=BB2_8836 Depth=2
	s_andn2_saveexec_b64 vcc, s[34:35]
	s_cbranch_execz .LBB2_8876
; %bb.8875:                             ;   in Loop: Header=BB2_8836 Depth=2
	s_waitcnt vmcnt(0) lgkmcnt(0)
	buffer_wbinvl1_vol
	s_barrier
.LBB2_8876:                             ;   in Loop: Header=BB2_8836 Depth=2
	s_or_b64 exec, exec, vcc
.LBB2_8877:                             ;   in Loop: Header=BB2_8836 Depth=2
	s_or_b64 exec, exec, s[26:27]
	v_sub_u32_e32 v0, v1, v7
	v_min_i32_e32 v6, v6, v0
	s_and_saveexec_b64 s[26:27], s[24:25]
	s_xor_b64 s[26:27], exec, s[26:27]
	s_cbranch_execz .LBB2_8881
; %bb.8878:                             ;   in Loop: Header=BB2_8836 Depth=2
	s_trap 2
	ds_read_b32 v0, v0
	v_cmp_lt_i32_e32 vcc, 0, v6
	v_and_b32_e32 v2, 16, v60
	s_waitcnt lgkmcnt(0)
	v_readfirstlane_b32 s8, v0
	s_cmp_eq_u32 s8, 0
	s_cselect_b64 s[34:35], -1, 0
	s_and_b64 s[34:35], vcc, s[34:35]
	v_cmp_ne_u32_e32 vcc, 0, v2
	s_and_b64 s[34:35], vcc, s[34:35]
	s_and_saveexec_b64 vcc, s[34:35]
	s_cbranch_execz .LBB2_8880
; %bb.8879:                             ;   in Loop: Header=BB2_8836 Depth=2
	s_waitcnt vmcnt(0)
	buffer_wbinvl1_vol
.LBB2_8880:                             ;   in Loop: Header=BB2_8836 Depth=2
	s_or_b64 exec, exec, vcc
.LBB2_8881:                             ;   in Loop: Header=BB2_8836 Depth=2
	s_andn2_saveexec_b64 s[26:27], s[26:27]
	s_cbranch_execz .LBB2_8900
; %bb.8882:                             ;   in Loop: Header=BB2_8836 Depth=2
	s_and_saveexec_b64 vcc, s[44:45]
	s_xor_b64 s[34:35], exec, vcc
	s_cbranch_execz .LBB2_8897
; %bb.8883:                             ;   in Loop: Header=BB2_8836 Depth=2
	s_and_saveexec_b64 s[58:59], s[16:17]
	s_cbranch_execz .LBB2_8896
; %bb.8884:                             ;   in Loop: Header=BB2_8836 Depth=2
	s_mov_b64 s[62:63], exec
	v_mbcnt_lo_u32_b32 v0, s62, 0
	v_mbcnt_hi_u32_b32 v0, s63, v0
	v_cmp_eq_u32_e32 vcc, 0, v0
	;;#ASMSTART
	s_waitcnt lgkmcnt(0) vmcnt(0)
	;;#ASMEND
	s_and_saveexec_b64 s[60:61], vcc
	s_cbranch_execz .LBB2_8886
; %bb.8885:                             ;   in Loop: Header=BB2_8836 Depth=2
	s_bcnt1_i32_b64 s8, s[62:63]
	v_mov_b32_e32 v50, s8
	ds_add_u64 v0, v[50:51]
	s_trap 2
.LBB2_8886:                             ;   in Loop: Header=BB2_8836 Depth=2
	s_or_b64 exec, exec, s[60:61]
	s_trap 2
	ds_read_b64 v[2:3], v0
	v_accvgpr_read_b32 v4, a14
	v_accvgpr_read_b32 v5, a15
	v_add_co_u32_e32 v4, vcc, v4, v44
	v_addc_co_u32_e32 v5, vcc, 0, v5, vcc
	v_accvgpr_write_b32 a15, v5
	v_accvgpr_write_b32 a14, v4
	s_waitcnt lgkmcnt(0)
	v_cmp_lt_u64_e32 vcc, v[2:3], v[4:5]
	s_and_saveexec_b64 s[60:61], vcc
	s_cbranch_execz .LBB2_8895
; %bb.8887:                             ;   in Loop: Header=BB2_8836 Depth=2
	s_mov_b32 s8, 0
	s_mov_b64 s[62:63], 0
                                        ; implicit-def: $sgpr64_sgpr65
                                        ; implicit-def: $sgpr66_sgpr67
	s_branch .LBB2_8889
.LBB2_8888:                             ;   in Loop: Header=BB2_8889 Depth=3
	s_or_b64 exec, exec, s[70:71]
	s_and_b64 vcc, exec, vcc
	s_or_b64 s[62:63], vcc, s[62:63]
	s_andn2_b64 vcc, s[64:65], exec
	s_and_b64 s[46:47], s[66:67], exec
	s_or_b64 s[64:65], vcc, s[46:47]
	s_andn2_b64 exec, exec, s[62:63]
	s_cbranch_execz .LBB2_8893
.LBB2_8889:                             ;   Parent Loop BB2_47 Depth=1
                                        ;     Parent Loop BB2_8836 Depth=2
                                        ; =>    This Inner Loop Header: Depth=3
	s_add_i32 s8, s8, 1
	s_cmpk_lg_i32 s8, 0x2710
	s_cselect_b64 s[68:69], -1, 0
	s_and_b64 vcc, exec, s[68:69]
                                        ; implicit-def: $sgpr70_sgpr71
	s_cbranch_vccnz .LBB2_8891
; %bb.8890:                             ;   in Loop: Header=BB2_8889 Depth=3
	s_trap 2
	ds_read_b64 v[2:3], v0
	s_andn2_b64 s[46:47], s[68:69], exec
	s_mov_b32 s8, 0
	s_mov_b64 s[70:71], -1
	s_waitcnt vmcnt(0) lgkmcnt(0)
	flat_load_dword v0, v[2:3] glc
	s_waitcnt vmcnt(0) lgkmcnt(0)
	buffer_invl2
	buffer_wbinvl1_vol
	v_cmp_eq_u32_e32 vcc, 0, v0
	s_and_b64 vcc, vcc, exec
	s_or_b64 s[68:69], s[46:47], vcc
.LBB2_8891:                             ;   in Loop: Header=BB2_8889 Depth=3
	s_andn2_b64 s[46:47], s[66:67], exec
	s_and_b64 s[66:67], s[70:71], exec
	s_mov_b64 vcc, -1
	s_or_b64 s[66:67], s[46:47], s[66:67]
	s_and_saveexec_b64 s[70:71], s[68:69]
	s_cbranch_execz .LBB2_8888
; %bb.8892:                             ;   in Loop: Header=BB2_8889 Depth=3
	s_sleep 1
	s_trap 2
	ds_read_b64 v[2:3], v0
	v_accvgpr_read_b32 v4, a14
	v_accvgpr_read_b32 v5, a15
	s_andn2_b64 s[66:67], s[66:67], exec
	s_waitcnt lgkmcnt(0)
	v_cmp_ge_u64_e32 vcc, v[2:3], v[4:5]
	s_orn2_b64 vcc, vcc, exec
	s_branch .LBB2_8888
.LBB2_8893:                             ;   in Loop: Header=BB2_8836 Depth=2
	s_or_b64 exec, exec, s[62:63]
	s_and_saveexec_b64 vcc, s[64:65]
	s_xor_b64 vcc, exec, vcc
	s_cbranch_execz .LBB2_8895
; %bb.8894:                             ;   in Loop: Header=BB2_8836 Depth=2
	v_mov_b32_e32 v0, 1
	ds_write_b32 v0, v0
	s_trap 2
.LBB2_8895:                             ;   in Loop: Header=BB2_8836 Depth=2
	s_or_b64 exec, exec, s[60:61]
	;;#ASMSTART
	s_wakeup
	;;#ASMEND
.LBB2_8896:                             ;   in Loop: Header=BB2_8836 Depth=2
	s_or_b64 exec, exec, s[58:59]
.LBB2_8897:                             ;   in Loop: Header=BB2_8836 Depth=2
	s_andn2_saveexec_b64 vcc, s[34:35]
	s_cbranch_execz .LBB2_8899
; %bb.8898:                             ;   in Loop: Header=BB2_8836 Depth=2
	;;#ASMSTART
	s_waitcnt lgkmcnt(0) vmcnt(0)
	;;#ASMEND
	s_barrier
.LBB2_8899:                             ;   in Loop: Header=BB2_8836 Depth=2
	s_or_b64 exec, exec, vcc
.LBB2_8900:                             ;   in Loop: Header=BB2_8836 Depth=2
	s_or_b64 exec, exec, s[26:27]
	v_and_b32_e32 v0, 32, v60
	v_cmp_ne_u32_e32 vcc, 0, v0
	s_and_saveexec_b64 s[26:27], vcc
	s_cbranch_execz .LBB2_8835
; %bb.8901:                             ;   in Loop: Header=BB2_8836 Depth=2
	v_add_co_u32_e32 v32, vcc, 2, v32
	v_addc_co_u32_e32 v33, vcc, 0, v33, vcc
	flat_store_dwordx2 v[34:35], v[32:33]
	s_branch .LBB2_8835
.LBB2_8902:
	s_or_b64 exec, exec, s[40:41]
	v_readlane_b32 s28, v61, 4
	v_readlane_b32 s29, v61, 5
	v_accvgpr_read_b32 v18, a0
	v_accvgpr_read_b32 v31, a1
.LBB2_8903:
	v_readlane_b32 s4, v61, 2
	v_readlane_b32 s5, v61, 3
	s_or_b64 exec, exec, s[4:5]
	v_and_b32_e32 v0, 0x800, v60
	v_cmp_eq_u32_e32 vcc, 0, v0
	s_and_saveexec_b64 s[4:5], vcc
	s_cbranch_execz .LBB2_8938
; %bb.8904:
	v_and_b32_e32 v0, 48, v60
	v_cmp_ne_u32_e32 vcc, 0, v0
	s_and_saveexec_b64 s[6:7], vcc
	s_cbranch_execz .LBB2_8906
; %bb.8905:
	v_accvgpr_read_b32 v0, a10
	v_accvgpr_read_b32 v1, a11
	flat_store_dwordx2 v[0:1], v[32:33] offset:104
.LBB2_8906:
	s_or_b64 exec, exec, s[6:7]
	s_movk_i32 s6, 0x88
	v_and_b32_e32 v0, 0x88, v60
	v_cmp_eq_u32_e32 vcc, s6, v0
	s_and_saveexec_b64 s[6:7], vcc
	s_cbranch_execz .LBB2_8918
; %bb.8907:
	v_add_u32_e32 v0, 6, v32
	v_accvgpr_read_b32 v2, a12
	v_and_b32_e32 v0, 7, v0
	v_accvgpr_read_b32 v3, a13
	v_mad_u64_u32 v[0:1], s[8:9], v0, 24, v[2:3]
	v_add_co_u32_e32 v2, vcc, 8, v0
	v_addc_co_u32_e32 v3, vcc, 0, v1, vcc
	s_mov_b64 s[10:11], 0
	v_mov_b32_e32 v0, 0
	s_movk_i32 s8, 0x270e
                                        ; implicit-def: $sgpr12_sgpr13
	s_branch .LBB2_8912
.LBB2_8908:                             ;   in Loop: Header=BB2_8912 Depth=1
	s_or_b64 exec, exec, s[22:23]
	v_mov_b32_e32 v1, 0
	s_orn2_b64 s[20:21], s[20:21], exec
.LBB2_8909:                             ;   in Loop: Header=BB2_8912 Depth=1
	s_or_b64 exec, exec, s[18:19]
	s_and_b64 s[18:19], s[20:21], exec
	v_mov_b32_e32 v0, v1
.LBB2_8910:                             ;   in Loop: Header=BB2_8912 Depth=1
	s_or_b64 exec, exec, s[16:17]
	s_xor_b64 s[16:17], s[18:19], -1
	s_andn2_b64 s[12:13], s[12:13], exec
	s_and_b64 s[16:17], s[16:17], exec
	s_or_b64 s[12:13], s[12:13], s[16:17]
.LBB2_8911:                             ;   in Loop: Header=BB2_8912 Depth=1
	s_or_b64 exec, exec, s[14:15]
	s_and_b64 s[14:15], exec, s[12:13]
	s_or_b64 s[10:11], s[14:15], s[10:11]
	s_andn2_b64 exec, exec, s[10:11]
	s_cbranch_execz .LBB2_8917
.LBB2_8912:                             ; =>This Inner Loop Header: Depth=1
	flat_load_dwordx2 v[4:5], v[2:3] glc
	s_waitcnt vmcnt(0)
	s_or_b64 s[12:13], s[12:13], exec
	s_waitcnt lgkmcnt(0)
	v_cmp_ne_u64_e32 vcc, -1, v[4:5]
	s_and_saveexec_b64 s[14:15], vcc
	s_cbranch_execz .LBB2_8911
; %bb.8913:                             ;   in Loop: Header=BB2_8912 Depth=1
	v_and_b32_e32 v1, 64, v60
	v_cmp_eq_u32_e32 vcc, 0, v1
	s_mov_b64 s[18:19], 0
	s_and_saveexec_b64 s[16:17], vcc
	s_cbranch_execz .LBB2_8910
; %bb.8914:                             ;   in Loop: Header=BB2_8912 Depth=1
	v_add_u32_e32 v1, 1, v0
	v_cmp_lt_i32_e32 vcc, s8, v0
	s_mov_b64 s[20:21], -1
	s_and_saveexec_b64 s[18:19], vcc
	s_cbranch_execz .LBB2_8909
; %bb.8915:                             ;   in Loop: Header=BB2_8912 Depth=1
	s_trap 2
	ds_read_b64 v[0:1], v0
	s_waitcnt lgkmcnt(0)
	flat_load_dword v0, v[0:1] glc
	s_waitcnt vmcnt(0) lgkmcnt(0)
	buffer_invl2
	buffer_wbinvl1_vol
	v_cmp_ne_u32_e32 vcc, 0, v0
	s_and_saveexec_b64 s[22:23], vcc
	s_cbranch_execz .LBB2_8908
; %bb.8916:                             ;   in Loop: Header=BB2_8912 Depth=1
	v_or_b32_e32 v60, 64, v60
	s_xor_b64 s[20:21], exec, -1
	ds_write_b32 v0, v0
	s_trap 2
	s_branch .LBB2_8908
.LBB2_8917:
	s_or_b64 exec, exec, s[10:11]
.LBB2_8918:
	s_or_b64 exec, exec, s[6:7]
	v_and_b32_e32 v0, 0x2000, v60
	v_cmp_ne_u32_e32 vcc, 0, v0
	s_and_saveexec_b64 s[6:7], vcc
	s_cbranch_execz .LBB2_8920
; %bb.8919:
	s_trap 2
	ds_read_b64 v[0:1], v0
	v_accvgpr_read_b32 v2, a8
	v_accvgpr_read_b32 v3, a9
	s_waitcnt lgkmcnt(0)
	flat_store_dwordx2 v[2:3], v[0:1] offset:16
.LBB2_8920:
	s_or_b64 exec, exec, s[6:7]
	v_cmp_ne_u32_e32 vcc, 64, v18
	s_and_b64 exec, exec, vcc
	s_cbranch_execz .LBB2_8938
; %bb.8921:
	v_accvgpr_read_b32 v0, a2
	v_cmp_ne_u32_sdwa s[6:7], v0, v18 src0_sel:WORD_0 src1_sel:DWORD
	s_and_saveexec_b64 s[8:9], s[6:7]
	s_xor_b64 s[6:7], exec, s[8:9]
	s_cbranch_execz .LBB2_8936
; %bb.8922:
	v_and_b32_e32 v0, 63, v31
	v_cmp_eq_u32_e32 vcc, 0, v0
	s_and_saveexec_b64 s[10:11], vcc
	s_cbranch_execz .LBB2_8935
; %bb.8923:
	s_mov_b64 s[14:15], exec
	v_mbcnt_lo_u32_b32 v0, s14, 0
	v_mbcnt_hi_u32_b32 v0, s15, v0
	v_cmp_eq_u32_e32 vcc, 0, v0
	s_waitcnt vmcnt(0) lgkmcnt(0)
	buffer_wbinvl1_vol
	s_and_saveexec_b64 s[12:13], vcc
	s_cbranch_execz .LBB2_8925
; %bb.8924:
	s_bcnt1_i32_b64 s8, s[14:15]
	v_mov_b32_e32 v0, s8
	v_mov_b32_e32 v1, 0
	ds_add_u64 v0, v[0:1]
	s_trap 2
.LBB2_8925:
	s_or_b64 exec, exec, s[12:13]
	v_ashrrev_i32_e32 v0, 31, v18
	v_lshrrev_b32_e32 v0, 26, v0
	v_add_u32_e32 v0, v18, v0
	v_ashrrev_i32_e32 v0, 6, v0
	s_trap 2
	ds_read_b64 v[2:3], v0
	v_accvgpr_read_b32 v4, a14
	v_ashrrev_i32_e32 v1, 31, v0
	v_accvgpr_read_b32 v5, a15
	v_add_co_u32_e32 v0, vcc, v4, v0
	v_addc_co_u32_e32 v1, vcc, v5, v1, vcc
	s_waitcnt lgkmcnt(0)
	v_cmp_lt_u64_e32 vcc, v[2:3], v[0:1]
	s_and_saveexec_b64 s[12:13], vcc
	s_cbranch_execz .LBB2_8934
; %bb.8926:
	s_mov_b32 s8, 0
	s_mov_b64 s[14:15], 0
                                        ; implicit-def: $sgpr16_sgpr17
                                        ; implicit-def: $sgpr18_sgpr19
	s_branch .LBB2_8928
.LBB2_8927:                             ;   in Loop: Header=BB2_8928 Depth=1
	s_or_b64 exec, exec, s[24:25]
	s_and_b64 s[20:21], exec, s[22:23]
	s_or_b64 s[14:15], s[20:21], s[14:15]
	s_andn2_b64 s[16:17], s[16:17], exec
	s_and_b64 s[20:21], s[18:19], exec
	s_or_b64 s[16:17], s[16:17], s[20:21]
	s_andn2_b64 exec, exec, s[14:15]
	s_cbranch_execz .LBB2_8932
.LBB2_8928:                             ; =>This Inner Loop Header: Depth=1
	s_add_i32 s8, s8, 1
	s_cmpk_lg_i32 s8, 0x2710
	s_cselect_b64 s[20:21], -1, 0
	s_and_b64 vcc, exec, s[20:21]
                                        ; implicit-def: $sgpr24_sgpr25
	s_cbranch_vccnz .LBB2_8930
; %bb.8929:                             ;   in Loop: Header=BB2_8928 Depth=1
	s_trap 2
	ds_read_b64 v[2:3], v0
	s_andn2_b64 s[20:21], s[20:21], exec
	s_mov_b32 s8, 0
	s_mov_b64 s[24:25], -1
	s_waitcnt lgkmcnt(0)
	flat_load_dword v2, v[2:3] glc
	s_waitcnt vmcnt(0) lgkmcnt(0)
	buffer_invl2
	buffer_wbinvl1_vol
	v_cmp_eq_u32_e32 vcc, 0, v2
	s_and_b64 s[22:23], vcc, exec
	s_or_b64 s[20:21], s[20:21], s[22:23]
.LBB2_8930:                             ;   in Loop: Header=BB2_8928 Depth=1
	s_andn2_b64 s[18:19], s[18:19], exec
	s_and_b64 s[24:25], s[24:25], exec
	s_mov_b64 s[22:23], -1
	s_or_b64 s[18:19], s[18:19], s[24:25]
	s_and_saveexec_b64 s[24:25], s[20:21]
	s_cbranch_execz .LBB2_8927
; %bb.8931:                             ;   in Loop: Header=BB2_8928 Depth=1
	s_sleep 1
	s_trap 2
	ds_read_b64 v[2:3], v0
	s_andn2_b64 s[18:19], s[18:19], exec
	s_waitcnt lgkmcnt(0)
	v_cmp_ge_u64_e32 vcc, v[2:3], v[0:1]
	s_orn2_b64 s[22:23], vcc, exec
	s_branch .LBB2_8927
.LBB2_8932:
	s_or_b64 exec, exec, s[14:15]
	s_and_saveexec_b64 s[8:9], s[16:17]
	s_xor_b64 s[8:9], exec, s[8:9]
	s_cbranch_execz .LBB2_8934
; %bb.8933:
	v_mov_b32_e32 v0, 1
	ds_write_b32 v0, v0
	s_trap 2
.LBB2_8934:
	s_or_b64 exec, exec, s[12:13]
	;;#ASMSTART
	s_wakeup
	;;#ASMEND
.LBB2_8935:
	s_or_b64 exec, exec, s[10:11]
.LBB2_8936:
	s_andn2_saveexec_b64 s[6:7], s[6:7]
	s_cbranch_execz .LBB2_8938
; %bb.8937:
	s_waitcnt vmcnt(0) lgkmcnt(0)
	buffer_wbinvl1_vol
	s_barrier
.LBB2_8938:
	s_or_b64 exec, exec, s[4:5]
.LBB2_8939:
	v_readlane_b32 s4, v61, 0
	v_readlane_b32 s5, v61, 1
	s_andn2_saveexec_b64 s[26:27], s[4:5]
	s_cbranch_execz .LBB2_8941
; %bb.8940:
	s_getpc_b64 s[4:5]
	s_add_u32 s4, s4, __PRETTY_FUNCTION__._ZN10PrimitivesI14__hip_fp8_e5m210FuncMinMaxIS0_E12FanSymmetricILi1EELi0E11ProtoSimpleILi2ELi2ELi0ELi1ELi0ELi0EELi0ELb0ELi0ELi0ELi0EEC2EiiPKiS9_PKvPvmhhhP15ncclDevWorkCollP14ncclDevWorkP2pii@rel32@lo+4
	s_addc_u32 s5, s5, __PRETTY_FUNCTION__._ZN10PrimitivesI14__hip_fp8_e5m210FuncMinMaxIS0_E12FanSymmetricILi1EELi0E11ProtoSimpleILi2ELi2ELi0ELi1ELi0ELi0EELi0ELb0ELi0ELi0ELi0EEC2EiiPKiS9_PKvPvmhhhP15ncclDevWorkCollP14ncclDevWorkP2pii@rel32@hi+12
	s_mov_b64 s[8:9], s[28:29]
	v_mov_b32_e32 v0, s4
	v_mov_b32_e32 v1, s5
	s_getpc_b64 s[6:7]
	s_add_u32 s6, s6, __assert_fail@rel32@lo+4
	s_addc_u32 s7, s7, __assert_fail@rel32@hi+12
	s_swappc_b64 s[30:31], s[6:7]
	; divergent unreachable
.LBB2_8941:
	s_or_b64 exec, exec, s[26:27]
	buffer_load_dword a61, off, s[0:3], s33 ; 4-byte Folded Reload
	buffer_load_dword a60, off, s[0:3], s33 offset:4 ; 4-byte Folded Reload
	buffer_load_dword a59, off, s[0:3], s33 offset:8 ; 4-byte Folded Reload
	buffer_load_dword a58, off, s[0:3], s33 offset:12 ; 4-byte Folded Reload
	buffer_load_dword a57, off, s[0:3], s33 offset:16 ; 4-byte Folded Reload
	buffer_load_dword a56, off, s[0:3], s33 offset:20 ; 4-byte Folded Reload
	buffer_load_dword a55, off, s[0:3], s33 offset:24 ; 4-byte Folded Reload
	buffer_load_dword a54, off, s[0:3], s33 offset:28 ; 4-byte Folded Reload
	buffer_load_dword a53, off, s[0:3], s33 offset:32 ; 4-byte Folded Reload
	buffer_load_dword a52, off, s[0:3], s33 offset:36 ; 4-byte Folded Reload
	buffer_load_dword a51, off, s[0:3], s33 offset:40 ; 4-byte Folded Reload
	buffer_load_dword a50, off, s[0:3], s33 offset:44 ; 4-byte Folded Reload
	buffer_load_dword a49, off, s[0:3], s33 offset:48 ; 4-byte Folded Reload
	buffer_load_dword a48, off, s[0:3], s33 offset:52 ; 4-byte Folded Reload
	buffer_load_dword a47, off, s[0:3], s33 offset:56 ; 4-byte Folded Reload
	buffer_load_dword a46, off, s[0:3], s33 offset:60 ; 4-byte Folded Reload
	buffer_load_dword a45, off, s[0:3], s33 offset:64 ; 4-byte Folded Reload
	buffer_load_dword a44, off, s[0:3], s33 offset:68 ; 4-byte Folded Reload
	buffer_load_dword a43, off, s[0:3], s33 offset:72 ; 4-byte Folded Reload
	buffer_load_dword a42, off, s[0:3], s33 offset:76 ; 4-byte Folded Reload
	buffer_load_dword a41, off, s[0:3], s33 offset:80 ; 4-byte Folded Reload
	buffer_load_dword a40, off, s[0:3], s33 offset:84 ; 4-byte Folded Reload
	buffer_load_dword a39, off, s[0:3], s33 offset:88 ; 4-byte Folded Reload
	buffer_load_dword a38, off, s[0:3], s33 offset:92 ; 4-byte Folded Reload
	buffer_load_dword a37, off, s[0:3], s33 offset:96 ; 4-byte Folded Reload
	buffer_load_dword a36, off, s[0:3], s33 offset:100 ; 4-byte Folded Reload
	buffer_load_dword a35, off, s[0:3], s33 offset:104 ; 4-byte Folded Reload
	buffer_load_dword a34, off, s[0:3], s33 offset:108 ; 4-byte Folded Reload
	buffer_load_dword a33, off, s[0:3], s33 offset:112 ; 4-byte Folded Reload
	buffer_load_dword a32, off, s[0:3], s33 offset:116 ; 4-byte Folded Reload
	buffer_load_dword v60, off, s[0:3], s33 offset:120 ; 4-byte Folded Reload
	buffer_load_dword v59, off, s[0:3], s33 offset:124 ; 4-byte Folded Reload
	buffer_load_dword v58, off, s[0:3], s33 offset:128 ; 4-byte Folded Reload
	buffer_load_dword v57, off, s[0:3], s33 offset:132 ; 4-byte Folded Reload
	buffer_load_dword v56, off, s[0:3], s33 offset:136 ; 4-byte Folded Reload
	buffer_load_dword v47, off, s[0:3], s33 offset:140 ; 4-byte Folded Reload
	buffer_load_dword v46, off, s[0:3], s33 offset:144 ; 4-byte Folded Reload
	buffer_load_dword v45, off, s[0:3], s33 offset:148 ; 4-byte Folded Reload
	buffer_load_dword v44, off, s[0:3], s33 offset:152 ; 4-byte Folded Reload
	buffer_load_dword v43, off, s[0:3], s33 offset:156 ; 4-byte Folded Reload
	buffer_load_dword v42, off, s[0:3], s33 offset:160 ; 4-byte Folded Reload
	buffer_load_dword v41, off, s[0:3], s33 offset:164 ; 4-byte Folded Reload
	buffer_load_dword v40, off, s[0:3], s33 offset:168 ; 4-byte Folded Reload
	v_readlane_b32 s30, v62, 0
	v_readlane_b32 s31, v62, 1
	;; [unrolled: 1-line block ×67, first 2 shown]
	s_or_saveexec_b64 s[6:7], -1
	buffer_load_dword v63, off, s[0:3], s33 offset:176 ; 4-byte Folded Reload
	buffer_load_dword v62, off, s[0:3], s33 offset:180 ; 4-byte Folded Reload
	;; [unrolled: 1-line block ×3, first 2 shown]
	s_mov_b64 exec, s[6:7]
	s_addk_i32 s32, 0xd000
	s_mov_b32 s33, s4
	s_waitcnt vmcnt(0) lgkmcnt(0)
	s_setpc_b64 s[30:31]
.Lfunc_end2:
	.size	_ZN12_GLOBAL__N_17runRingI14__hip_fp8_e5m210FuncMinMaxIS1_E11ProtoSimpleILi2ELi2ELi0ELi1ELi0ELi0EELi0ELi0ELi1ELi0EEEviiP15ncclDevWorkColl, .Lfunc_end2-_ZN12_GLOBAL__N_17runRingI14__hip_fp8_e5m210FuncMinMaxIS1_E11ProtoSimpleILi2ELi2ELi0ELi1ELi0ELi0EELi0ELi0ELi1ELi0EEEviiP15ncclDevWorkColl
                                        ; -- End function
	.section	.AMDGPU.csdata,"",@progbits
; Function info:
; codeLenInByte = 249336
; NumSgprs: 104
; NumVgprs: 64
; NumAgprs: 62
; TotalNumVgprs: 126
; ScratchSize: 256
; MemoryBound: 1
	.text
	.p2align	2                               ; -- Begin function _Z53ncclDevFunc_AllReduce_RING_SIMPLE_MinMax_f8e5m2_0_0_1v
	.type	_Z53ncclDevFunc_AllReduce_RING_SIMPLE_MinMax_f8e5m2_0_0_1v,@function
_Z53ncclDevFunc_AllReduce_RING_SIMPLE_MinMax_f8e5m2_0_0_1v: ; @_Z53ncclDevFunc_AllReduce_RING_SIMPLE_MinMax_f8e5m2_0_0_1v
; %bb.0:
	s_waitcnt vmcnt(0) expcnt(0) lgkmcnt(0)
	s_mov_b32 s4, s33
	s_mov_b32 s33, s32
	s_or_saveexec_b64 s[6:7], -1
	buffer_store_dword a32, off, s[0:3], s33 offset:20 ; 4-byte Folded Spill
	buffer_store_dword v63, off, s[0:3], s33 offset:24 ; 4-byte Folded Spill
	buffer_store_dword v43, off, s[0:3], s33 offset:28 ; 4-byte Folded Spill
	buffer_store_dword v44, off, s[0:3], s33 offset:32 ; 4-byte Folded Spill
	buffer_store_dword v45, off, s[0:3], s33 offset:36 ; 4-byte Folded Spill
	s_mov_b64 exec, s[6:7]
	v_writelane_b32 v45, s4, 6
	v_writelane_b32 v45, s100, 4
	;; [unrolled: 1-line block ×3, first 2 shown]
	s_addk_i32 s32, 0xc00
	buffer_store_dword v40, off, s[0:3], s33 offset:16 ; 4-byte Folded Spill
	buffer_store_dword v41, off, s[0:3], s33 offset:12 ; 4-byte Folded Spill
	;; [unrolled: 1-line block ×4, first 2 shown]
	buffer_store_dword v62, off, s[0:3], s33 ; 4-byte Folded Spill
	v_writelane_b32 v44, s34, 0
	v_writelane_b32 v44, s35, 1
	;; [unrolled: 1-line block ×68, first 2 shown]
	s_trap 2
	ds_read_b32 v0, v0
	v_mov_b32_e32 v40, v31
                                        ; implicit-def: $vgpr43 : SGPR spill to VGPR lane
	v_and_b32_e32 v41, 0x3ff, v40
	v_writelane_b32 v43, s12, 0
	v_writelane_b32 v43, s8, 1
	s_waitcnt lgkmcnt(0)
	v_cmp_lt_i32_e32 vcc, v41, v0
	v_writelane_b32 v43, s9, 2
	s_and_saveexec_b64 s[4:5], vcc
	s_cbranch_execz .LBB3_5
; %bb.1:
	v_readlane_b32 s8, v43, 1
	v_readlane_b32 s9, v43, 2
	s_load_dword s6, s[8:9], 0x0
	v_readlane_b32 s7, v43, 0
	v_mov_b32_e32 v1, 0
	s_mov_b32 s10, 0
	v_mov_b32_e32 v4, v41
	s_waitcnt lgkmcnt(0)
	s_cmp_lt_u32 s7, s6
	s_cselect_b32 s6, 12, 18
	s_add_u32 s6, s8, s6
	s_addc_u32 s7, s9, 0
	global_load_ushort v1, v1, s[6:7]
	s_trap 2
	ds_read_b32 v3, v0
	s_mov_b64 s[6:7], 0
                                        ; implicit-def: $vgpr2
	s_waitcnt vmcnt(0) lgkmcnt(0)
	v_mul_lo_u32 v3, v3, v1
	s_branch .LBB3_3
.LBB3_2:                                ;   in Loop: Header=BB3_3 Depth=1
	s_or_b64 exec, exec, s[8:9]
	v_add_u32_e32 v4, v4, v1
	v_cmp_ge_i32_e32 vcc, v4, v0
	s_or_b64 s[6:7], vcc, s[6:7]
	v_add_u32_e32 v2, v2, v3
	s_andn2_b64 exec, exec, s[6:7]
	s_cbranch_execz .LBB3_5
.LBB3_3:                                ; =>This Inner Loop Header: Depth=1
	ds_read_b32 v5, v2
	s_waitcnt lgkmcnt(0)
	v_and_b32_e32 v5, 0x1000000, v5
	v_cmp_ne_u32_e32 vcc, 0, v5
	s_and_saveexec_b64 s[8:9], vcc
	s_cbranch_execz .LBB3_2
; %bb.4:                                ;   in Loop: Header=BB3_3 Depth=1
	ds_read_b64 v[6:7], v2 offset:104
	s_waitcnt lgkmcnt(0)
	flat_load_ubyte v5, v[6:7]
	v_mov_b32_e32 v7, s10
	s_waitcnt vmcnt(0) lgkmcnt(0)
	v_and_b32_e32 v6, 0xffff, v5
	ds_write_b64 v2, v[6:7] offset:104
	s_branch .LBB3_2
.LBB3_5:
	s_or_b64 exec, exec, s[4:5]
	s_waitcnt lgkmcnt(0)
	s_barrier
	s_trap 2
	ds_read_b32 v0, v0
	s_waitcnt lgkmcnt(0)
	v_cmp_gt_i32_e32 vcc, 1, v0
	s_cbranch_vccnz .LBB3_13
; %bb.6:
	s_mov_b32 s6, 0
	v_mov_b32_e32 v42, 6
	s_branch .LBB3_8
.LBB3_7:                                ;   in Loop: Header=BB3_8 Depth=1
	s_or_b64 exec, exec, s[8:9]
	s_trap 2
	ds_read_b32 v0, v0
	s_add_i32 s6, s6, 1
	s_waitcnt lgkmcnt(0)
	v_cmp_lt_i32_e32 vcc, s6, v0
	s_cbranch_vccz .LBB3_13
.LBB3_8:                                ; =>This Inner Loop Header: Depth=1
	s_trap 2
	ds_read_b32 v0, v0
	s_cmp_eq_u32 s6, 0
	s_cbranch_scc1 .LBB3_11
; %bb.9:                                ;   in Loop: Header=BB3_8 Depth=1
	s_trap 2
	s_waitcnt lgkmcnt(0)
	ds_read_b32 v1, v0
	s_waitcnt lgkmcnt(0)
	v_xor_b32_e32 v1, v1, v0
	v_and_b32_e32 v1, 0xff0000, v1
	v_cmp_eq_u32_e32 vcc, 0, v1
	s_cbranch_vccnz .LBB3_11
; %bb.10:                               ;   in Loop: Header=BB3_8 Depth=1
	s_barrier
	ds_read_b32 v0, v0
.LBB3_11:                               ;   in Loop: Header=BB3_8 Depth=1
	s_waitcnt lgkmcnt(0)
	v_lshlrev_b32_sdwa v1, v42, v0 dst_sel:DWORD dst_unused:UNUSED_PAD src0_sel:DWORD src1_sel:BYTE_2
	v_cmp_lt_u32_e32 vcc, v41, v1
	s_and_saveexec_b64 s[8:9], vcc
	s_cbranch_execz .LBB3_7
; %bb.12:                               ;   in Loop: Header=BB3_8 Depth=1
	v_writelane_b32 v43, s8, 3
	v_writelane_b32 v43, s9, 4
	v_readlane_b32 s8, v43, 1
	v_readlane_b32 s9, v43, 2
	s_mov_b64 s[10:11], src_shared_base
	s_getpc_b64 s[4:5]
	s_add_u32 s4, s4, _ZN12_GLOBAL__N_17runRingI14__hip_fp8_e5m210FuncMinMaxIS1_E11ProtoSimpleILi2ELi2ELi0ELi1ELi0ELi0EELi0ELi0ELi1ELi0EEEviiP15ncclDevWorkColl@rel32@lo+4
	s_addc_u32 s5, s5, _ZN12_GLOBAL__N_17runRingI14__hip_fp8_e5m210FuncMinMaxIS1_E11ProtoSimpleILi2ELi2ELi0ELi1ELi0ELi0EELi0ELi0ELi1ELi0EEEviiP15ncclDevWorkColl@rel32@hi+12
	v_readlane_b32 s12, v43, 0
	v_mov_b32_e32 v31, v40
	v_mov_b32_e32 v0, v41
	;; [unrolled: 1-line block ×3, first 2 shown]
	v_writelane_b32 v43, s6, 5
	s_or_saveexec_b64 s[100:101], -1
	v_accvgpr_write_b32 a32, v43
	s_mov_b64 exec, s[100:101]
	s_swappc_b64 s[30:31], s[4:5]
	s_or_saveexec_b64 s[100:101], -1
	v_accvgpr_read_b32 v43, a32
	s_mov_b64 exec, s[100:101]
	v_readlane_b32 s8, v43, 3
	v_readlane_b32 s9, v43, 4
	;; [unrolled: 1-line block ×3, first 2 shown]
	s_branch .LBB3_7
.LBB3_13:
	buffer_load_dword v62, off, s[0:3], s33 ; 4-byte Folded Reload
	buffer_load_dword v61, off, s[0:3], s33 offset:4 ; 4-byte Folded Reload
	buffer_load_dword v42, off, s[0:3], s33 offset:8 ; 4-byte Folded Reload
	;; [unrolled: 1-line block ×4, first 2 shown]
	v_readlane_b32 s30, v45, 2
	v_readlane_b32 s31, v45, 3
	v_readlane_b32 s99, v45, 1
	v_readlane_b32 s98, v45, 0
	v_readlane_b32 s97, v44, 63
	v_readlane_b32 s96, v44, 62
	v_readlane_b32 s95, v44, 61
	v_readlane_b32 s94, v44, 60
	v_readlane_b32 s93, v44, 59
	v_readlane_b32 s92, v44, 58
	v_readlane_b32 s91, v44, 57
	v_readlane_b32 s90, v44, 56
	v_readlane_b32 s89, v44, 55
	v_readlane_b32 s88, v44, 54
	v_readlane_b32 s87, v44, 53
	v_readlane_b32 s86, v44, 52
	v_readlane_b32 s85, v44, 51
	v_readlane_b32 s84, v44, 50
	v_readlane_b32 s83, v44, 49
	v_readlane_b32 s82, v44, 48
	v_readlane_b32 s81, v44, 47
	v_readlane_b32 s80, v44, 46
	v_readlane_b32 s79, v44, 45
	v_readlane_b32 s78, v44, 44
	v_readlane_b32 s77, v44, 43
	v_readlane_b32 s76, v44, 42
	v_readlane_b32 s75, v44, 41
	v_readlane_b32 s74, v44, 40
	v_readlane_b32 s73, v44, 39
	v_readlane_b32 s72, v44, 38
	v_readlane_b32 s71, v44, 37
	v_readlane_b32 s70, v44, 36
	v_readlane_b32 s69, v44, 35
	v_readlane_b32 s68, v44, 34
	v_readlane_b32 s67, v44, 33
	v_readlane_b32 s66, v44, 32
	v_readlane_b32 s65, v44, 31
	v_readlane_b32 s64, v44, 30
	v_readlane_b32 s63, v44, 29
	v_readlane_b32 s62, v44, 28
	v_readlane_b32 s61, v44, 27
	v_readlane_b32 s60, v44, 26
	v_readlane_b32 s59, v44, 25
	v_readlane_b32 s58, v44, 24
	v_readlane_b32 s57, v44, 23
	v_readlane_b32 s56, v44, 22
	v_readlane_b32 s55, v44, 21
	v_readlane_b32 s54, v44, 20
	v_readlane_b32 s53, v44, 19
	v_readlane_b32 s52, v44, 18
	v_readlane_b32 s51, v44, 17
	v_readlane_b32 s50, v44, 16
	v_readlane_b32 s49, v44, 15
	v_readlane_b32 s48, v44, 14
	v_readlane_b32 s47, v44, 13
	v_readlane_b32 s46, v44, 12
	v_readlane_b32 s45, v44, 11
	v_readlane_b32 s44, v44, 10
	v_readlane_b32 s43, v44, 9
	v_readlane_b32 s42, v44, 8
	v_readlane_b32 s41, v44, 7
	v_readlane_b32 s40, v44, 6
	v_readlane_b32 s39, v44, 5
	v_readlane_b32 s38, v44, 4
	v_readlane_b32 s37, v44, 3
	v_readlane_b32 s36, v44, 2
	v_readlane_b32 s35, v44, 1
	v_readlane_b32 s34, v44, 0
	v_readlane_b32 s4, v45, 6
	v_readlane_b32 s100, v45, 4
	v_readlane_b32 s101, v45, 5
	s_or_saveexec_b64 s[6:7], -1
	buffer_load_dword a32, off, s[0:3], s33 offset:20 ; 4-byte Folded Reload
	buffer_load_dword v63, off, s[0:3], s33 offset:24 ; 4-byte Folded Reload
	;; [unrolled: 1-line block ×5, first 2 shown]
	s_mov_b64 exec, s[6:7]
	s_addk_i32 s32, 0xf400
	s_mov_b32 s33, s4
	s_waitcnt vmcnt(0)
	s_setpc_b64 s[30:31]
.Lfunc_end3:
	.size	_Z53ncclDevFunc_AllReduce_RING_SIMPLE_MinMax_f8e5m2_0_0_1v, .Lfunc_end3-_Z53ncclDevFunc_AllReduce_RING_SIMPLE_MinMax_f8e5m2_0_0_1v
                                        ; -- End function
	.section	.AMDGPU.csdata,"",@progbits
; Function info:
; codeLenInByte = 1944
; NumSgprs: 106
; NumVgprs: 64
; NumAgprs: 62
; TotalNumVgprs: 126
; ScratchSize: 304
; MemoryBound: 0
	.text
	.p2align	2                               ; -- Begin function _ZN12_GLOBAL__N_17runRingI14__hip_fp8_e5m210FuncMinMaxIS1_E11ProtoSimpleILi2ELi2ELi0ELi2ELi0ELi0EELi0ELi0ELi2ELi0EEEviiP15ncclDevWorkColl
	.type	_ZN12_GLOBAL__N_17runRingI14__hip_fp8_e5m210FuncMinMaxIS1_E11ProtoSimpleILi2ELi2ELi0ELi2ELi0ELi0EELi0ELi0ELi2ELi0EEEviiP15ncclDevWorkColl,@function
_ZN12_GLOBAL__N_17runRingI14__hip_fp8_e5m210FuncMinMaxIS1_E11ProtoSimpleILi2ELi2ELi0ELi2ELi0ELi0EELi0ELi0ELi2ELi0EEEviiP15ncclDevWorkColl: ; @_ZN12_GLOBAL__N_17runRingI14__hip_fp8_e5m210FuncMinMaxIS1_E11ProtoSimpleILi2ELi2ELi0ELi2ELi0ELi0EELi0ELi0ELi2ELi0EEEviiP15ncclDevWorkColl
; %bb.0:
	s_waitcnt vmcnt(0) expcnt(0) lgkmcnt(0)
	s_mov_b32 s4, s33
	s_mov_b32 s33, s32
	s_or_saveexec_b64 s[6:7], -1
	buffer_store_dword v63, off, s[0:3], s33 offset:168 ; 4-byte Folded Spill
	buffer_store_dword v62, off, s[0:3], s33 offset:172 ; 4-byte Folded Spill
	;; [unrolled: 1-line block ×3, first 2 shown]
	s_mov_b64 exec, s[6:7]
	v_writelane_b32 v62, s4, 2
	s_addk_i32 s32, 0x3000
	buffer_store_dword v40, off, s[0:3], s33 offset:164 ; 4-byte Folded Spill
	buffer_store_dword v41, off, s[0:3], s33 offset:160 ; 4-byte Folded Spill
	;; [unrolled: 1-line block ×41, first 2 shown]
	buffer_store_dword a60, off, s[0:3], s33 ; 4-byte Folded Spill
	v_writelane_b32 v63, s34, 0
	v_writelane_b32 v63, s35, 1
	;; [unrolled: 1-line block ×66, first 2 shown]
	v_mov_b32_e32 v18, v1
	s_trap 2
	flat_load_dword v1, v[2:3]
	ds_read_b32 v6, v0
	v_accvgpr_write_b32 a1, v0
	s_mov_b64 s[28:29], s[8:9]
                                        ; implicit-def: $vgpr4_vgpr5
                                        ; implicit-def: $agpr2_agpr3
                                        ; implicit-def: $vgpr8_vgpr9
	s_waitcnt lgkmcnt(0)
	v_readfirstlane_b32 s78, v6
	s_waitcnt vmcnt(0)
	v_cmp_ne_u32_sdwa s[4:5], v1, v6 src0_sel:BYTE_0 src1_sel:DWORD
	s_and_saveexec_b64 s[6:7], s[4:5]
	s_xor_b64 s[4:5], exec, s[6:7]
	s_cbranch_execz .LBB4_6
; %bb.1:
	v_not_b32_sdwa v0, v1 dst_sel:DWORD dst_unused:UNUSED_PAD src0_sel:BYTE_0
	v_cmp_ne_u32_sdwa s[6:7], v1, v6 src0_sel:BYTE_1 src1_sel:DWORD
                                        ; implicit-def: $vgpr4_vgpr5
                                        ; implicit-def: $agpr2_agpr3
                                        ; implicit-def: $vgpr8_vgpr9
	s_and_saveexec_b64 s[8:9], s[6:7]
	s_xor_b64 s[6:7], exec, s[8:9]
	s_cbranch_execz .LBB4_3
; %bb.2:
	flat_load_dwordx4 v[8:11], v[2:3] offset:72
	flat_load_dwordx2 v[4:5], v[2:3] offset:96
	v_add_u32_e32 v0, v6, v0
	v_ashrrev_i32_e32 v1, 31, v0
	s_waitcnt vmcnt(0) lgkmcnt(0)
	v_mul_lo_u32 v1, v10, v1
	v_mad_u64_u32 v[6:7], s[8:9], v10, v0, v[8:9]
	v_mul_lo_u32 v0, v11, v0
	v_add3_u32 v7, v0, v7, v1
	v_accvgpr_write_b32 a2, v6
	v_lshrrev_b64 v[4:5], 12, v[4:5]
	v_accvgpr_write_b32 a3, v7
	v_pk_mov_b32 v[8:9], v[10:11], v[10:11] op_sel:[0,1]
                                        ; implicit-def: $vgpr1
                                        ; implicit-def: $vgpr0
.LBB4_3:
	s_andn2_saveexec_b64 s[6:7], s[6:7]
	s_cbranch_execz .LBB4_5
; %bb.4:
	flat_load_dwordx4 v[4:7], v[2:3] offset:72
	flat_load_dwordx4 v[8:11], v[2:3] offset:88
	v_add_u32_sdwa v0, v1, v0 dst_sel:DWORD dst_unused:UNUSED_PAD src0_sel:BYTE_1 src1_sel:DWORD
	v_ashrrev_i32_e32 v1, 31, v0
	s_waitcnt vmcnt(0) lgkmcnt(0)
	v_mul_lo_u32 v1, v6, v1
	v_mad_u64_u32 v[4:5], s[8:9], v6, v0, v[4:5]
	v_mul_lo_u32 v0, v7, v0
	v_add3_u32 v5, v0, v5, v1
	v_accvgpr_write_b32 a2, v4
	v_accvgpr_write_b32 a3, v5
	v_lshrrev_b32_e32 v4, 1, v11
.LBB4_5:
	s_or_b64 exec, exec, s[6:7]
.LBB4_6:
	s_andn2_saveexec_b64 s[4:5], s[4:5]
	s_cbranch_execz .LBB4_8
; %bb.7:
	flat_load_dwordx2 v[0:1], v[2:3] offset:96
	flat_load_dwordx2 v[8:9], v[2:3] offset:72
	s_waitcnt vmcnt(0) lgkmcnt(0)
	v_lshlrev_b64 v[4:5], 9, v[0:1]
	v_pk_mov_b32 v[0:1], 0, 0
	v_accvgpr_write_b32 a3, v1
	v_accvgpr_write_b32 a2, v0
.LBB4_8:
	s_or_b64 exec, exec, s[4:5]
	s_trap 2
	ds_read_b64 v[0:1], v0
	s_waitcnt lgkmcnt(0)
	v_cmp_ne_u32_e32 vcc, -1, v0
	v_cndmask_b32_e64 v5, 0, 1, vcc
	v_cmp_ne_u32_e32 vcc, -1, v1
	v_addc_co_u32_e64 v6, s[4:5], 0, v5, vcc
	v_lshlrev_b32_e32 v0, 1, v6
	v_cmp_le_i32_e64 s[4:5], v0, v18
	s_and_saveexec_b64 s[6:7], s[4:5]
	s_xor_b64 s[26:27], exec, s[6:7]
	s_cbranch_execnz .LBB4_9
; %bb.9564:
	s_getpc_b64 s[98:99]
.Lpost_getpc8:
	s_add_u32 s98, s98, (.LBB4_9561-.Lpost_getpc8)&4294967295
	s_addc_u32 s99, s99, (.LBB4_9561-.Lpost_getpc8)>>32
	s_setpc_b64 s[98:99]
.LBB4_9:
	flat_load_dwordx2 v[14:15], v[2:3] offset:104
	flat_load_dwordx4 v[10:13], v[2:3] offset:16
	flat_load_ushort v1, v[2:3] offset:8
	flat_load_dword v0, v[2:3] offset:4
	s_trap 2
	s_load_dword s4, s[28:29], 0x0
	v_mov_b32_e32 v7, 0
	v_accvgpr_write_b32 a4, v8
	v_accvgpr_write_b32 a5, v9
	v_mov_b32_e32 v34, 4
	s_waitcnt lgkmcnt(0)
	s_cmp_lt_u32 s12, s4
	s_cselect_b32 s4, 12, 18
	s_add_u32 s4, s28, s4
	s_addc_u32 s5, s29, 0
	global_load_ushort v19, v7, s[4:5]
	s_waitcnt vmcnt(0)
	ds_read_b32 v7, v0
	s_waitcnt lgkmcnt(0)
	v_readfirstlane_b32 s8, v7
	v_accvgpr_read_b32 v7, a1
	v_cmp_ge_i32_e64 s[4:5], v7, v5
	s_and_saveexec_b64 s[6:7], s[4:5]
	s_cbranch_execz .LBB4_19
; %bb.10:
	v_accvgpr_read_b32 v7, a1
	v_cmp_le_u32_e64 s[4:5], v6, v7
                                        ; implicit-def: $vgpr34
	s_and_saveexec_b64 s[10:11], s[4:5]
	s_xor_b64 s[4:5], exec, s[10:11]
	s_cbranch_execz .LBB4_16
; %bb.11:
	v_cndmask_b32_e64 v7, 0, 1, vcc
	v_sub_u32_e32 v7, v18, v7
	v_accvgpr_read_b32 v8, a1
	v_cmp_ge_u32_e32 vcc, v8, v7
                                        ; implicit-def: $sgpr9
	s_and_saveexec_b64 s[10:11], vcc
	s_xor_b64 s[10:11], exec, s[10:11]
; %bb.12:
	s_mov_b32 s9, 16
                                        ; implicit-def: $vgpr6
; %bb.13:
	s_or_saveexec_b64 s[10:11], s[10:11]
	v_mov_b32_e32 v34, s9
	s_xor_b64 exec, exec, s[10:11]
; %bb.14:
	v_sub_u32_e32 v6, v18, v6
	v_accvgpr_read_b32 v7, a1
	v_cmp_ge_i32_e32 vcc, v7, v6
	v_cndmask_b32_e64 v6, 0, 1, vcc
	v_lshlrev_b32_e32 v34, 5, v6
; %bb.15:
	s_or_b64 exec, exec, s[10:11]
.LBB4_16:
	s_andn2_saveexec_b64 s[4:5], s[4:5]
; %bb.17:
	v_mov_b32_e32 v34, 8
; %bb.18:
	s_or_b64 exec, exec, s[4:5]
.LBB4_19:
	s_or_b64 exec, exec, s[6:7]
	v_and_b32_e32 v6, 36, v34
	v_cmp_ne_u32_e32 vcc, 0, v6
	v_mov_b32_e32 v8, -1
	s_and_saveexec_b64 s[4:5], vcc
	s_cbranch_execz .LBB4_21
; %bb.20:
	s_trap 2
	ds_read_b32 v8, v0
.LBB4_21:
	s_or_b64 exec, exec, s[4:5]
	v_and_b32_e32 v6, 24, v34
	v_cmp_ne_u32_e64 s[4:5], 0, v6
	s_and_saveexec_b64 s[6:7], s[4:5]
	s_cbranch_execz .LBB4_23
; %bb.22:
	s_trap 2
	s_waitcnt lgkmcnt(0)
	ds_read_b32 v8, v0
.LBB4_23:
	s_or_b64 exec, exec, s[6:7]
	v_pk_mov_b32 v[28:29], 0, 0
	v_lshrrev_b64 v[0:1], 31, v[0:1]
	v_accvgpr_write_b32 a12, v28
	v_and_b32_e32 v0, 3, v0
	v_accvgpr_write_b32 a13, v29
                                        ; implicit-def: $agpr6_agpr7
                                        ; implicit-def: $agpr18
                                        ; implicit-def: $agpr10_agpr11
                                        ; implicit-def: $agpr20_agpr21
                                        ; implicit-def: $vgpr48_vgpr49
                                        ; implicit-def: $agpr16_agpr17
	s_and_saveexec_b64 s[4:5], vcc
	s_cbranch_execz .LBB4_33
; %bb.24:
	s_trap 2
	ds_read_b64 v[6:7], v0
	s_waitcnt lgkmcnt(1)
	v_ashrrev_i32_e32 v9, 31, v8
	v_lshlrev_b64 v[16:17], 3, v[8:9]
	v_and_b32_e32 v1, 0xffff, v0
	s_movk_i32 s6, 0xa8
	s_waitcnt lgkmcnt(0)
	v_add_co_u32_e32 v6, vcc, v6, v16
	v_addc_co_u32_e32 v7, vcc, v7, v17, vcc
	flat_load_dwordx2 v[6:7], v[6:7]
                                        ; implicit-def: $agpr6_agpr7
	s_waitcnt vmcnt(0) lgkmcnt(0)
	v_mad_u64_u32 v[6:7], s[6:7], v1, s6, v[6:7]
	flat_load_dword v1, v[6:7] offset:640
	v_add_co_u32_e32 v28, vcc, 0x1f8, v6
	v_addc_co_u32_e32 v29, vcc, 0, v7, vcc
	s_waitcnt vmcnt(0) lgkmcnt(0)
	v_cmp_eq_u32_e32 vcc, 1, v1
	s_and_saveexec_b64 s[6:7], vcc
	s_cbranch_execz .LBB4_26
; %bb.25:
	flat_load_dwordx2 v[16:17], v[28:29] offset:144
	v_or_b32_e32 v34, 0x2000, v34
	s_waitcnt vmcnt(0) lgkmcnt(0)
	flat_load_dwordx2 v[6:7], v[16:17]
	s_trap 2
	v_accvgpr_write_b32 a6, v16
	v_accvgpr_write_b32 a7, v17
	s_waitcnt vmcnt(0) lgkmcnt(0)
	ds_write_b64 v0, v[6:7]
	flat_load_dwordx2 v[6:7], v[16:17] offset:8
	s_waitcnt vmcnt(0) lgkmcnt(0)
	ds_write_b64 v0, v[6:7]
	flat_load_dwordx2 v[6:7], v[16:17] offset:16
	s_waitcnt vmcnt(0) lgkmcnt(0)
	ds_write_b64 v0, v[6:7]
.LBB4_26:
	s_or_b64 exec, exec, s[6:7]
	flat_load_dwordx2 v[6:7], v[28:29] offset:104
	v_and_b32_e32 v1, 32, v34
                                        ; implicit-def: $agpr16_agpr17
	s_waitcnt vmcnt(0) lgkmcnt(0)
	v_add_co_u32_e32 v6, vcc, 3, v6
	v_addc_co_u32_e32 v7, vcc, 0, v7, vcc
	v_and_b32_e32 v6, -4, v6
	v_accvgpr_write_b32 a11, v7
	v_accvgpr_write_b32 a10, v6
	v_cmp_ne_u32_e32 vcc, 0, v1
	s_and_saveexec_b64 s[6:7], vcc
	s_cbranch_execz .LBB4_28
; %bb.27:
	flat_load_dwordx2 v[16:17], v[28:29] offset:56
	s_waitcnt vmcnt(0) lgkmcnt(0)
	v_accvgpr_write_b32 a16, v16
	v_accvgpr_write_b32 a17, v17
	flat_store_dwordx2 v[16:17], a[10:11]
.LBB4_28:
	s_or_b64 exec, exec, s[6:7]
	v_pk_mov_b32 v[6:7], 0, 0
	v_and_b32_e32 v1, 4, v34
	v_accvgpr_write_b32 a13, v7
	v_cmp_ne_u32_e32 vcc, 0, v1
	v_accvgpr_write_b32 a12, v6
                                        ; implicit-def: $agpr18
                                        ; implicit-def: $agpr20_agpr21
                                        ; implicit-def: $vgpr48_vgpr49
	s_and_saveexec_b64 s[6:7], vcc
	s_cbranch_execz .LBB4_32
; %bb.29:
	v_and_b32_e32 v1, 0x800, v34
	v_cmp_eq_u32_e32 vcc, 0, v1
	s_and_saveexec_b64 s[10:11], vcc
	s_cbranch_execz .LBB4_31
; %bb.30:
	s_trap 2
	ds_write_b64 v0, v[28:29]
.LBB4_31:
	s_or_b64 exec, exec, s[10:11]
	flat_load_dwordx2 v[6:7], v[28:29] offset:48
	v_or_b32_e32 v1, 0x100, v34
	s_waitcnt vmcnt(0) lgkmcnt(0)
	v_accvgpr_write_b32 a17, v7
	v_accvgpr_write_b32 a16, v6
	flat_load_dwordx2 v[48:49], v[6:7] glc
	s_nop 0
	flat_load_dwordx2 v[6:7], v[28:29] offset:96
	flat_load_dword a18, v[28:29] offset:72
	flat_load_dwordx2 a[20:21], v[28:29] offset:16
	s_waitcnt vmcnt(0) lgkmcnt(0)
	v_accvgpr_write_b32 a13, v7
	v_cmp_eq_u64_e32 vcc, 0, v[6:7]
	v_accvgpr_write_b32 a12, v6
	v_cndmask_b32_e32 v34, v1, v34, vcc
.LBB4_32:
	s_or_b64 exec, exec, s[6:7]
.LBB4_33:
	s_or_b64 exec, exec, s[4:5]
	v_and_b32_e32 v1, 24, v34
	v_cmp_ne_u32_e32 vcc, 0, v1
                                        ; implicit-def: $agpr22_agpr23
	s_and_saveexec_b64 s[4:5], vcc
	s_cbranch_execz .LBB4_41
; %bb.34:
	s_trap 2
	ds_read_b64 v[6:7], v0
	s_waitcnt lgkmcnt(0)
	v_ashrrev_i32_e32 v9, 31, v8
	v_lshlrev_b64 v[8:9], 3, v[8:9]
	v_and_b32_e32 v0, 0xffff, v0
	s_movk_i32 s6, 0xa8
	v_add_co_u32_e32 v6, vcc, v6, v8
	v_addc_co_u32_e32 v7, vcc, v7, v9, vcc
	flat_load_dwordx2 v[6:7], v[6:7]
                                        ; implicit-def: $agpr22_agpr23
	s_waitcnt vmcnt(0) lgkmcnt(0)
	v_mad_u64_u32 v[28:29], s[6:7], v0, s6, v[6:7]
	flat_load_dwordx4 v[6:9], v[28:29] offset:96
	v_or_b32_e32 v0, 0x100, v34
	s_waitcnt vmcnt(0) lgkmcnt(0)
	v_cmp_eq_u64_e32 vcc, 0, v[6:7]
	v_cndmask_b32_e32 v34, v0, v34, vcc
	v_accvgpr_write_b32 a15, v9
	v_and_b32_e32 v0, 16, v34
	v_accvgpr_write_b32 a14, v8
	v_accvgpr_write_b32 a13, v7
	;; [unrolled: 1-line block ×3, first 2 shown]
	v_cmp_ne_u32_e32 vcc, 0, v0
	s_and_saveexec_b64 s[6:7], vcc
	s_cbranch_execz .LBB4_36
; %bb.35:
	flat_load_dwordx2 a[22:23], v[28:29] offset:120
	flat_load_dwordx2 a[16:17], v[28:29] offset:48
	flat_load_dwordx2 a[20:21], v[28:29] offset:16
.LBB4_36:
	s_or_b64 exec, exec, s[6:7]
	v_accvgpr_read_b32 v6, a12
	v_accvgpr_read_b32 v8, a14
	;; [unrolled: 1-line block ×3, first 2 shown]
	v_add_co_u32_e32 v0, vcc, 3, v8
	v_addc_co_u32_e32 v1, vcc, 0, v9, vcc
	v_and_b32_e32 v0, -4, v0
	v_accvgpr_write_b32 a11, v1
	v_accvgpr_write_b32 a10, v0
	v_and_b32_e32 v0, 8, v34
	v_cmp_ne_u32_e32 vcc, 0, v0
	v_accvgpr_read_b32 v7, a13
	s_and_saveexec_b64 s[6:7], vcc
	s_cbranch_execz .LBB4_40
; %bb.37:
	v_and_b32_e32 v0, 0x800, v34
	v_cmp_eq_u32_e32 vcc, 0, v0
	s_and_saveexec_b64 s[10:11], vcc
	s_cbranch_execz .LBB4_39
; %bb.38:
	s_trap 2
	ds_write_b64 v0, v[28:29]
.LBB4_39:
	s_or_b64 exec, exec, s[10:11]
	flat_load_dwordx2 v[0:1], v[28:29] offset:56
	s_waitcnt vmcnt(0) lgkmcnt(0)
	flat_load_dwordx2 v[48:49], v[0:1] glc
	flat_load_dword a18, v[28:29] offset:72
	flat_load_dwordx2 a[20:21], v[28:29] offset:16
	v_accvgpr_write_b32 a17, v1
	v_accvgpr_write_b32 a16, v0
.LBB4_40:
	s_or_b64 exec, exec, s[6:7]
.LBB4_41:
	s_or_b64 exec, exec, s[4:5]
	v_accvgpr_read_b32 v0, a1
	v_cmp_eq_u32_e64 s[4:5], 0, v0
	s_and_saveexec_b64 s[6:7], s[4:5]
	s_cbranch_execz .LBB4_43
; %bb.42:
	flat_load_dwordx2 v[0:1], v[2:3] offset:32
	v_mov_b32_e32 v6, v12
	v_mov_b32_e32 v7, v13
	s_waitcnt lgkmcnt(0)
	v_mov_b32_e32 v8, v10
	v_mov_b32_e32 v9, v11
	s_waitcnt vmcnt(0)
	ds_write2_b64 v0, v[6:7], v[8:9] offset1:1
	s_trap 2
	ds_write_b64 v0, v[0:1]
	ds_write_b64 v0, v[14:15]
.LBB4_43:
	s_or_b64 exec, exec, s[6:7]
	v_accvgpr_read_b32 v0, a4
	v_accvgpr_read_b32 v1, a5
	v_cmp_lt_i64_e32 vcc, 0, v[0:1]
	v_pk_mov_b32 v[0:1], 0, 0
	v_accvgpr_write_b32 a15, v1
	s_mov_b64 s[40:41], 0
	v_accvgpr_write_b32 a14, v0
	s_mov_b64 s[6:7], exec
                                        ; implicit-def: $vgpr61 : SGPR spill to VGPR lane
	v_writelane_b32 v61, s6, 0
	v_writelane_b32 v61, s7, 1
	s_and_b64 s[6:7], s[6:7], vcc
	s_mov_b64 exec, s[6:7]
	s_cbranch_execnz .LBB4_44
; %bb.9566:
	s_getpc_b64 s[98:99]
.Lpost_getpc9:
	s_add_u32 s98, s98, (.LBB4_9525-.Lpost_getpc9)&4294967295
	s_addc_u32 s99, s99, (.LBB4_9525-.Lpost_getpc9)>>32
	s_setpc_b64 s[98:99]
.LBB4_44:
	flat_load_dword v0, v[2:3] offset:4
	v_writelane_b32 v61, s26, 2
	s_waitcnt vmcnt(0) lgkmcnt(0)
	v_accvgpr_read_b32 v8, a22
	v_writelane_b32 v61, s27, 3
	v_and_b32_e32 v42, 0x3ffffe00, v4
	v_accvgpr_read_b32 v2, a18
	v_accvgpr_read_b32 v9, a23
	v_writelane_b32 v61, s28, 4
	v_mov_b32_e32 v1, v31
	s_ashr_i32 s79, s78, 31
	v_accvgpr_read_b32 v7, a1
	v_ashrrev_i32_e32 v3, 31, v2
	v_cmp_eq_u64_e64 s[12:13], 0, v[8:9]
	v_cmp_ne_u64_e64 s[14:15], 0, v[8:9]
	v_mad_i64_i32 v[8:9], s[16:17], v42, s78, 0
	v_writelane_b32 v61, s29, 5
	v_and_b32_e32 v1, 63, v1
	v_accvgpr_write_b32 a19, v3
	v_lshrrev_b32_e32 v46, 6, v18
	v_ashrrev_i32_e32 v2, 31, v7
	v_mov_b32_e32 v3, 0xfffff800
	s_add_u32 s16, s78, -1
	s_movk_i32 s9, 0x800
	v_mov_b32_e32 v4, 0xfffffe00
	v_writelane_b32 v61, s16, 6
	v_cmp_eq_u32_e64 s[16:17], 0, v1
	v_lshrrev_b32_e32 v1, 26, v2
	v_lshl_add_u32 v2, v46, 11, v3
	s_addc_u32 s18, s79, -1
	v_and_b32_e32 v41, 0xffffffc0, v18
	v_lshl_add_u32 v3, v46, 9, v4
	v_writelane_b32 v61, s18, 7
	v_ashrrev_i32_e32 v4, 31, v2
	v_add_co_u32_e64 v58, s[18:19], s9, v2
	v_subrev_u32_e32 v10, 64, v41
	v_addc_co_u32_e64 v55, s[18:19], 0, v4, s[18:19]
	s_add_i32 s84, s78, s78
	s_not_b32 s22, s78
	v_ashrrev_i32_e32 v11, 31, v10
	v_add_co_u32_e64 v2, s[18:19], 64, v10
	s_movk_i32 s21, 0x200
	s_cmp_gt_i32 s78, 0
	v_accvgpr_write_b32 a36, v2
	v_addc_co_u32_e64 v2, s[18:19], 0, v11, s[18:19]
	v_accvgpr_write_b32 a37, v2
	v_add_co_u32_e64 v2, s[18:19], s21, v3
	s_cselect_b32 s9, s22, -1
	s_ashr_i32 s21, s8, 31
	s_add_i32 s24, s9, s84
	s_lshr_b32 s9, s21, 25
	s_add_i32 s8, s8, s9
	v_lshlrev_b32_e32 v6, 10, v46
	v_writelane_b32 v61, s24, 8
	s_ashr_i32 s24, s24, 31
	s_ashr_i32 s87, s8, 7
	v_add_u32_e32 v1, v7, v1
	v_accvgpr_write_b32 a28, v6
	v_add_u32_e32 v12, 0xfffffc00, v6
	v_ashrrev_i32_e32 v6, 31, v3
	s_cmp_gt_i32 s78, 2
	v_ashrrev_i32_e32 v13, 6, v1
	v_and_b32_e32 v1, 0xffffffc0, v1
	v_accvgpr_write_b32 a38, v2
	v_addc_co_u32_e64 v2, s[18:19], 0, v6, s[18:19]
	v_writelane_b32 v61, s24, 9
	s_cselect_b64 s[8:9], -1, 0
	v_accvgpr_write_b32 a39, v2
	v_sub_u32_e32 v2, v7, v1
	v_lshlrev_b32_e32 v1, 11, v13
	v_writelane_b32 v61, s8, 10
	s_movk_i32 s20, 0x400
	v_lshl_add_u32 v4, v2, 4, v1
	v_writelane_b32 v61, s9, 11
	v_and_b32_e32 v0, 1, v0
	v_cmp_eq_u32_e64 s[24:25], 1, v0
	s_add_i32 s8, s78, 1
	s_xor_b64 s[48:49], s[24:25], -1
	v_add_co_u32_e64 v3, s[18:19], s20, v12
	v_cmp_lt_i32_e64 s[20:21], v2, v5
	v_cmp_le_i32_e64 s[22:23], v2, v5
	v_ashrrev_i32_e32 v5, 31, v4
	s_cmp_le_i32 s78, s8
	v_ashrrev_i32_e32 v15, 31, v12
	v_accvgpr_write_b32 a45, v5
	s_cselect_b32 s9, s78, 0
	v_mov_b32_e32 v43, 0
	v_accvgpr_write_b32 a41, v3
	v_addc_co_u32_e64 v3, s[18:19], 0, v15, s[18:19]
	v_accvgpr_write_b32 a44, v4
	s_sub_i32 s89, s8, s9
	v_pk_mov_b32 v[4:5], 0, 0
	s_mov_b32 s42, -1
	v_cmp_ge_i32_e32 vcc, v7, v18
	v_accvgpr_write_b32 a42, v3
	v_cmp_gt_i32_e64 s[18:19], 1, v2
	v_accvgpr_write_b32 a40, v2
	s_ashr_i32 s8, s89, 31
	v_accvgpr_write_b32 a49, v43
	v_accvgpr_write_b32 a15, v5
	v_accvgpr_read_b32 v2, a4
	v_accvgpr_write_b32 a8, v28
	s_mov_b32 s43, 0xffffff
	v_accvgpr_write_b32 a58, v31
	v_cmp_eq_u32_e64 s[6:7], 64, v18
	v_cmp_ne_u32_e64 s[10:11], 64, v18
	v_accvgpr_write_b32 a55, v19
	v_cmp_ne_u32_sdwa s[44:45], v19, v18 src0_sel:WORD_0 src1_sel:DWORD
	s_movk_i32 s80, 0xffc0
	v_accvgpr_write_b32 a0, v18
	s_movk_i32 s81, 0xfe00
	v_accvgpr_write_b32 a30, v10
	v_accvgpr_write_b32 a29, v11
	v_accvgpr_write_b32 a31, v13
	v_accvgpr_write_b32 a32, v12
	v_accvgpr_write_b32 a35, v15
	s_add_i32 s88, s78, -2
	v_writelane_b32 v61, s8, 12
	s_xor_b64 s[50:51], vcc, -1
	s_movk_i32 s91, 0x270e
	s_movk_i32 s92, 0x108
	;; [unrolled: 1-line block ×5, first 2 shown]
	s_brev_b32 s96, 1
	s_movk_i32 s97, 0x80
	s_mov_b64 s[52:53], 0x7f800000
	s_mov_b64 s[54:55], 0x47600001
	s_movk_i32 s38, 0x72
	s_mov_b64 s[56:57], 0xffffff
	s_movk_i32 s39, 0x7f
	s_mov_b32 s36, 0x7c0000
	s_brev_b32 s37, 62
	s_mov_b32 s82, 0x4020c0c
	s_mov_b32 s9, 0xc0c0500
	s_movk_i32 s8, 0xfe40
	s_movk_i32 s83, 0xfe80
	;; [unrolled: 1-line block ×5, first 2 shown]
	v_mov_b32_e32 v6, 0xc7600000
	v_mov_b32_e32 v1, 0x47600000
	v_accvgpr_write_b32 a48, v42
	v_accvgpr_write_b32 a14, v4
	v_accvgpr_read_b32 v3, a5
	v_accvgpr_write_b32 a9, v29
	v_accvgpr_write_b32 a24, v46
	;; [unrolled: 1-line block ×5, first 2 shown]
	s_trap 2
	s_branch .LBB4_47
.LBB4_45:                               ;   in Loop: Header=BB4_47 Depth=1
	s_or_b64 exec, exec, s[30:31]
.LBB4_46:                               ;   in Loop: Header=BB4_47 Depth=1
	s_or_b64 exec, exec, s[28:29]
	v_accvgpr_read_b32 v8, a26
	v_accvgpr_read_b32 v4, a46
	v_accvgpr_read_b32 v9, a27
	v_accvgpr_read_b32 v5, a47
	v_add_co_u32_e32 v4, vcc, v4, v8
	v_accvgpr_read_b32 v2, a4
	v_addc_co_u32_e32 v5, vcc, v5, v9, vcc
	v_accvgpr_read_b32 v3, a5
	v_cmp_ge_i64_e32 vcc, v[4:5], v[2:3]
	s_or_b64 s[40:41], vcc, s[40:41]
	s_andn2_b64 exec, exec, s[40:41]
	s_cbranch_execnz .LBB4_47
; %bb.9568:
	s_getpc_b64 s[98:99]
.Lpost_getpc10:
	s_add_u32 s98, s98, (.LBB4_9524-.Lpost_getpc10)&4294967295
	s_addc_u32 s99, s99, (.LBB4_9524-.Lpost_getpc10)>>32
	s_setpc_b64 s[98:99]
.LBB4_47:                               ; =>This Loop Header: Depth=1
                                        ;     Child Loop BB4_57 Depth 2
                                        ;       Child Loop BB4_65 Depth 3
                                        ;       Child Loop BB4_89 Depth 3
	;; [unrolled: 1-line block ×9, first 2 shown]
                                        ;     Child Loop BB4_199 Depth 2
                                        ;       Child Loop BB4_205 Depth 3
                                        ;       Child Loop BB4_234 Depth 3
                                        ;       Child Loop BB4_253 Depth 3
                                        ;     Child Loop BB4_271 Depth 2
                                        ;       Child Loop BB4_274 Depth 3
                                        ;         Child Loop BB4_282 Depth 4
                                        ;         Child Loop BB4_308 Depth 4
	;; [unrolled: 1-line block ×9, first 2 shown]
                                        ;       Child Loop BB4_3190 Depth 3
                                        ;         Child Loop BB4_3196 Depth 4
                                        ;         Child Loop BB4_3234 Depth 4
	;; [unrolled: 1-line block ×3, first 2 shown]
                                        ;     Child Loop BB4_3264 Depth 2
                                        ;       Child Loop BB4_3272 Depth 3
                                        ;       Child Loop BB4_3298 Depth 3
	;; [unrolled: 1-line block ×9, first 2 shown]
                                        ;         Child Loop BB4_5696 Depth 4
                                        ;       Child Loop BB4_5706 Depth 3
                                        ;       Child Loop BB4_6126 Depth 3
                                        ;         Child Loop BB4_6179 Depth 4
                                        ;       Child Loop BB4_3345 Depth 3
                                        ;       Child Loop BB4_4908 Depth 3
                                        ;     Child Loop BB4_8987 Depth 2
                                        ;       Child Loop BB4_8993 Depth 3
                                        ;       Child Loop BB4_9023 Depth 3
	;; [unrolled: 1-line block ×3, first 2 shown]
                                        ;     Child Loop BB4_9060 Depth 2
                                        ;       Child Loop BB4_9063 Depth 3
                                        ;         Child Loop BB4_9071 Depth 4
                                        ;         Child Loop BB4_9097 Depth 4
	;; [unrolled: 1-line block ×9, first 2 shown]
                                        ;           Child Loop BB4_9157 Depth 5
                                        ;         Child Loop BB4_9166 Depth 4
                                        ;         Child Loop BB4_9171 Depth 4
                                        ;           Child Loop BB4_9172 Depth 5
                                        ;         Child Loop BB4_9144 Depth 4
                                        ;         Child Loop BB4_9223 Depth 4
                                        ;       Child Loop BB4_9241 Depth 3
                                        ;         Child Loop BB4_9247 Depth 4
                                        ;         Child Loop BB4_9277 Depth 4
	;; [unrolled: 1-line block ×3, first 2 shown]
                                        ;     Child Loop BB4_9318 Depth 2
                                        ;       Child Loop BB4_9326 Depth 3
                                        ;       Child Loop BB4_9350 Depth 3
	;; [unrolled: 1-line block ×9, first 2 shown]
                                        ;     Child Loop BB4_9458 Depth 2
                                        ;       Child Loop BB4_9464 Depth 3
                                        ;       Child Loop BB4_9488 Depth 3
	;; [unrolled: 1-line block ×3, first 2 shown]
	v_sub_co_u32_e32 v2, vcc, v2, v4
	v_subb_co_u32_e32 v3, vcc, v3, v5, vcc
	v_accvgpr_write_b32 a47, v5
	v_accvgpr_write_b32 a27, v9
	;; [unrolled: 1-line block ×6, first 2 shown]
	v_cmp_lt_i64_e32 vcc, v[2:3], v[8:9]
	s_and_saveexec_b64 s[28:29], vcc
	s_cbranch_execz .LBB4_53
; %bb.48:                               ;   in Loop: Header=BB4_47 Depth=1
	v_readlane_b32 s26, v61, 7
	v_mov_b32_e32 v2, s26
	v_readlane_b32 s26, v61, 6
	v_accvgpr_read_b32 v4, a50
	v_accvgpr_read_b32 v5, a51
	v_add_co_u32_e32 v0, vcc, s26, v4
	v_addc_co_u32_e32 v4, vcc, v2, v5, vcc
	v_or_b32_e32 v3, s79, v4
	v_mov_b32_e32 v2, v43
	v_cmp_ne_u64_e32 vcc, 0, v[2:3]
                                        ; implicit-def: $vgpr2_vgpr3
	s_and_saveexec_b64 s[26:27], vcc
	s_xor_b64 s[30:31], exec, s[26:27]
	s_cbranch_execz .LBB4_50
; %bb.49:                               ;   in Loop: Header=BB4_47 Depth=1
	s_add_u32 s26, s78, s79
	s_mov_b32 s34, s79
	s_mov_b32 s35, s79
	s_addc_u32 s27, s79, s79
	s_xor_b64 s[58:59], s[26:27], s[34:35]
	v_cvt_f32_u32_e32 v2, s58
	v_cvt_f32_u32_e32 v3, s59
	s_sub_u32 s26, 0, s58
	s_subb_u32 s27, 0, s59
	v_mac_f32_e32 v2, 0x4f800000, v3
	v_rcp_f32_e32 v2, v2
	v_mul_f32_e32 v2, 0x5f7ffffc, v2
	v_mul_f32_e32 v3, 0x2f800000, v2
	v_trunc_f32_e32 v3, v3
	v_mac_f32_e32 v2, 0xcf800000, v3
	v_cvt_u32_f32_e32 v3, v3
	v_cvt_u32_f32_e32 v2, v2
	v_mul_lo_u32 v5, s26, v3
	v_mul_hi_u32 v8, s26, v2
	v_mul_lo_u32 v7, s27, v2
	v_add_u32_e32 v5, v8, v5
	v_mul_lo_u32 v9, s26, v2
	v_add_u32_e32 v5, v5, v7
	v_mul_lo_u32 v8, v2, v5
	v_mul_hi_u32 v10, v2, v9
	v_mul_hi_u32 v7, v2, v5
	v_add_co_u32_e32 v8, vcc, v10, v8
	v_addc_co_u32_e32 v7, vcc, 0, v7, vcc
	v_mul_hi_u32 v11, v3, v9
	v_mul_lo_u32 v9, v3, v9
	v_add_co_u32_e32 v8, vcc, v8, v9
	v_mul_hi_u32 v10, v3, v5
	v_addc_co_u32_e32 v7, vcc, v7, v11, vcc
	v_addc_co_u32_e32 v8, vcc, 0, v10, vcc
	v_mul_lo_u32 v5, v3, v5
	v_add_co_u32_e32 v5, vcc, v7, v5
	v_addc_co_u32_e32 v7, vcc, 0, v8, vcc
	v_add_co_u32_e32 v2, vcc, v2, v5
	v_addc_co_u32_e32 v3, vcc, v3, v7, vcc
	v_mul_lo_u32 v5, s26, v3
	v_mul_hi_u32 v7, s26, v2
	v_add_u32_e32 v5, v7, v5
	v_mul_lo_u32 v7, s27, v2
	v_add_u32_e32 v5, v5, v7
	v_mul_lo_u32 v8, s26, v2
	v_mul_hi_u32 v9, v3, v8
	v_mul_lo_u32 v10, v3, v8
	v_mul_lo_u32 v12, v2, v5
	v_mul_hi_u32 v8, v2, v8
	v_mul_hi_u32 v11, v2, v5
	v_add_co_u32_e32 v8, vcc, v8, v12
	v_addc_co_u32_e32 v11, vcc, 0, v11, vcc
	v_add_co_u32_e32 v8, vcc, v8, v10
	v_mul_hi_u32 v7, v3, v5
	v_addc_co_u32_e32 v8, vcc, v11, v9, vcc
	v_addc_co_u32_e32 v7, vcc, 0, v7, vcc
	v_mul_lo_u32 v5, v3, v5
	v_add_co_u32_e32 v5, vcc, v8, v5
	v_addc_co_u32_e32 v7, vcc, 0, v7, vcc
	v_add_co_u32_e32 v5, vcc, v2, v5
	v_addc_co_u32_e32 v7, vcc, v3, v7, vcc
	v_ashrrev_i32_e32 v8, 31, v4
	v_add_co_u32_e32 v0, vcc, v0, v8
	v_addc_co_u32_e32 v2, vcc, v4, v8, vcc
	v_xor_b32_e32 v0, v0, v8
	v_xor_b32_e32 v9, v2, v8
	v_mad_u64_u32 v[2:3], s[26:27], v0, v7, 0
	v_mul_hi_u32 v4, v0, v5
	v_add_co_u32_e32 v10, vcc, v4, v2
	v_addc_co_u32_e32 v11, vcc, 0, v3, vcc
	v_mad_u64_u32 v[4:5], s[26:27], v9, v5, 0
	v_add_co_u32_e32 v4, vcc, v10, v4
	v_mad_u64_u32 v[2:3], s[26:27], v9, v7, 0
	v_addc_co_u32_e32 v4, vcc, v11, v5, vcc
	v_addc_co_u32_e32 v3, vcc, 0, v3, vcc
	v_add_co_u32_e32 v4, vcc, v4, v2
	v_addc_co_u32_e32 v5, vcc, 0, v3, vcc
	v_mul_lo_u32 v7, s59, v4
	v_mul_lo_u32 v10, s58, v5
	v_mad_u64_u32 v[2:3], s[26:27], s58, v4, 0
	v_add3_u32 v3, v3, v10, v7
	v_sub_u32_e32 v7, v9, v3
	v_mov_b32_e32 v10, s59
	v_sub_co_u32_e32 v0, vcc, v0, v2
	v_subb_co_u32_e64 v2, s[26:27], v7, v10, vcc
	v_subrev_co_u32_e64 v7, s[26:27], s58, v0
	v_subbrev_co_u32_e64 v2, s[26:27], 0, v2, s[26:27]
	v_cmp_le_u32_e64 s[26:27], s59, v2
	v_cndmask_b32_e64 v10, 0, -1, s[26:27]
	v_cmp_le_u32_e64 s[26:27], s58, v7
	v_cndmask_b32_e64 v7, 0, -1, s[26:27]
	v_cmp_eq_u32_e64 s[26:27], s59, v2
	v_cndmask_b32_e64 v2, v10, v7, s[26:27]
	v_add_co_u32_e64 v7, s[26:27], 2, v4
	v_subb_co_u32_e32 v3, vcc, v9, v3, vcc
	v_addc_co_u32_e64 v10, s[26:27], 0, v5, s[26:27]
	v_cmp_le_u32_e32 vcc, s59, v3
	v_add_co_u32_e64 v11, s[26:27], 1, v4
	v_cndmask_b32_e64 v9, 0, -1, vcc
	v_cmp_le_u32_e32 vcc, s58, v0
	v_addc_co_u32_e64 v12, s[26:27], 0, v5, s[26:27]
	v_cndmask_b32_e64 v0, 0, -1, vcc
	v_cmp_eq_u32_e32 vcc, s59, v3
	v_cmp_ne_u32_e64 s[26:27], 0, v2
	v_cndmask_b32_e32 v0, v9, v0, vcc
	v_cndmask_b32_e64 v2, v12, v10, s[26:27]
	v_cmp_ne_u32_e32 vcc, 0, v0
	v_cndmask_b32_e32 v0, v5, v2, vcc
	v_cndmask_b32_e64 v2, v11, v7, s[26:27]
	v_cndmask_b32_e32 v2, v4, v2, vcc
	v_xor_b32_e32 v4, s34, v8
	v_xor_b32_e32 v3, s35, v8
	;; [unrolled: 1-line block ×4, first 2 shown]
	v_sub_co_u32_e32 v2, vcc, v2, v4
	v_subb_co_u32_e32 v3, vcc, v0, v3, vcc
                                        ; implicit-def: $vgpr0
.LBB4_50:                               ;   in Loop: Header=BB4_47 Depth=1
	s_andn2_saveexec_b64 s[26:27], s[30:31]
	s_cbranch_execz .LBB4_52
; %bb.51:                               ;   in Loop: Header=BB4_47 Depth=1
	v_cvt_f32_u32_e32 v2, s78
	s_sub_i32 vcc_lo, 0, s78
	v_rcp_iflag_f32_e32 v2, v2
	v_mul_f32_e32 v2, 0x4f7ffffe, v2
	v_cvt_u32_f32_e32 v2, v2
	v_mul_lo_u32 v3, vcc_lo, v2
	v_mul_hi_u32 v3, v2, v3
	v_add_u32_e32 v2, v2, v3
	v_mul_hi_u32 v2, v0, v2
	v_mul_lo_u32 v3, v2, s78
	v_sub_u32_e32 v0, v0, v3
	v_add_u32_e32 v4, 1, v2
	v_subrev_u32_e32 v3, s78, v0
	v_cmp_le_u32_e32 vcc, s78, v0
	v_cndmask_b32_e32 v0, v0, v3, vcc
	v_cndmask_b32_e32 v2, v2, v4, vcc
	v_add_u32_e32 v3, 1, v2
	v_cmp_le_u32_e32 vcc, s78, v0
	v_cndmask_b32_e32 v42, v2, v3, vcc
	v_pk_mov_b32 v[2:3], v[42:43], v[42:43] op_sel:[0,1]
.LBB4_52:                               ;   in Loop: Header=BB4_47 Depth=1
	s_or_b64 exec, exec, s[26:27]
	v_add_co_u32_e32 v0, vcc, 15, v2
	v_addc_co_u32_e32 v3, vcc, 0, v3, vcc
	v_and_b32_e32 v2, -16, v0
	v_accvgpr_write_b32 a49, v3
	v_accvgpr_write_b32 a48, v2
.LBB4_53:                               ;   in Loop: Header=BB4_47 Depth=1
	s_or_b64 exec, exec, s[28:29]
	v_accvgpr_read_b32 v10, a48
	v_readlane_b32 s26, v61, 8
	v_accvgpr_read_b32 v11, a49
	v_readlane_b32 s27, v61, 9
	v_mul_lo_u32 v0, v11, s26
	v_mul_lo_u32 v2, v10, s27
	v_mad_u64_u32 v[4:5], s[26:27], v10, s26, 0
	v_add3_u32 v5, v5, v2, v0
	v_accvgpr_read_b32 v2, a2
	v_accvgpr_read_b32 v8, a46
	;; [unrolled: 1-line block ×4, first 2 shown]
	v_add_co_u32_e32 v0, vcc, v8, v2
	v_accvgpr_write_b32 a43, v0
	v_addc_co_u32_e32 v0, vcc, v9, v3, vcc
	v_accvgpr_read_b32 v2, a50
	v_accvgpr_read_b32 v3, a51
	v_sub_co_u32_e32 v2, vcc, v2, v4
	v_subb_co_u32_e32 v3, vcc, v3, v5, vcc
	v_cmp_lt_i64_e32 vcc, v[10:11], v[2:3]
	v_cndmask_b32_e32 v3, v2, v10, vcc
	v_accvgpr_write_b32 a52, v0
	v_max_i32_e32 v0, 0, v3
	v_add_u32_e32 v2, 31, v0
	v_lshrrev_b32_e32 v2, 1, v2
	v_and_b32_e32 v2, 0x3ffffff0, v2
	v_cmp_lt_i32_e32 vcc, 0, v3
	v_max_i32_e32 v2, s87, v2
	s_and_b64 s[26:27], s[50:51], vcc
	v_mov_b32_e32 v3, 0
	v_mov_b32_e32 v7, 0
	s_and_saveexec_b64 s[28:29], s[26:27]
	s_cbranch_execz .LBB4_195
; %bb.54:                               ;   in Loop: Header=BB4_47 Depth=1
	s_mov_b32 s47, 1
	s_mov_b64 s[34:35], -1
	s_mov_b64 s[30:31], 0
	v_mov_b32_e32 v7, 0
	s_branch .LBB4_57
.LBB4_55:                               ;   in Loop: Header=BB4_57 Depth=2
	s_or_b64 exec, exec, vcc
	v_accvgpr_read_b32 v8, a10
	v_accvgpr_read_b32 v9, a11
	v_add_co_u32_e32 v8, vcc, 2, v8
	v_addc_co_u32_e32 v9, vcc, 0, v9, vcc
	v_accvgpr_write_b32 a11, v9
	v_accvgpr_read_b32 v10, a16
	v_accvgpr_write_b32 a10, v8
	v_accvgpr_read_b32 v11, a17
	flat_store_dwordx2 v[10:11], v[8:9]
.LBB4_56:                               ;   in Loop: Header=BB4_57 Depth=2
	s_or_b64 exec, exec, s[26:27]
	v_add_u32_e32 v7, v2, v7
	v_cmp_ge_i32_e32 vcc, v7, v0
	s_xor_b64 s[26:27], s[34:35], -1
	s_or_b64 s[26:27], s[26:27], vcc
	s_and_b64 s[26:27], exec, s[26:27]
	s_or_b64 s[30:31], s[26:27], s[30:31]
	s_mov_b64 s[34:35], 0
	v_mov_b32_e32 v3, s47
	s_mov_b32 s47, 2
	s_andn2_b64 exec, exec, s[30:31]
	s_cbranch_execz .LBB4_194
.LBB4_57:                               ;   Parent Loop BB4_47 Depth=1
                                        ; =>  This Loop Header: Depth=2
                                        ;       Child Loop BB4_65 Depth 3
                                        ;       Child Loop BB4_89 Depth 3
	;; [unrolled: 1-line block ×9, first 2 shown]
	s_and_saveexec_b64 s[26:27], s[4:5]
	s_cbranch_execz .LBB4_59
; %bb.58:                               ;   in Loop: Header=BB4_57 Depth=2
	s_trap 2
	ds_read_b64 v[8:9], v0
	v_accvgpr_read_b32 v3, a43
	v_ashrrev_i32_e32 v10, 31, v7
	v_mov_b32_e32 v42, v43
	ds_write_b64 v0, v[42:43]
	s_waitcnt lgkmcnt(0)
	v_add_co_u32_e32 v3, vcc, v8, v3
	v_accvgpr_read_b32 v8, a52
	v_addc_co_u32_e32 v8, vcc, v9, v8, vcc
	v_add_co_u32_e32 v3, vcc, v3, v4
	v_addc_co_u32_e32 v9, vcc, v8, v5, vcc
	v_add_co_u32_e32 v8, vcc, v3, v7
	v_addc_co_u32_e32 v9, vcc, v9, v10, vcc
	ds_write_b64 v0, v[8:9]
.LBB4_59:                               ;   in Loop: Header=BB4_57 Depth=2
	s_or_b64 exec, exec, s[26:27]
	v_and_b32_e32 v3, 8, v34
	v_cmp_ne_u32_e32 vcc, 0, v3
	s_mov_b64 s[58:59], -1
	s_and_saveexec_b64 s[26:27], vcc
	s_cbranch_execz .LBB4_71
; %bb.60:                               ;   in Loop: Header=BB4_57 Depth=2
	v_add_co_u32_e32 v10, vcc, 8, v48
	v_addc_co_u32_e32 v11, vcc, 0, v49, vcc
	v_accvgpr_read_b32 v8, a10
	v_accvgpr_read_b32 v9, a11
	v_add_co_u32_e32 v8, vcc, 2, v8
	v_addc_co_u32_e32 v9, vcc, 0, v9, vcc
	v_cmp_lt_u64_e32 vcc, v[10:11], v[8:9]
	v_mov_b32_e32 v3, 1
	s_and_saveexec_b64 s[58:59], vcc
	s_cbranch_execz .LBB4_70
; %bb.61:                               ;   in Loop: Header=BB4_57 Depth=2
	s_mov_b64 s[60:61], 0
	v_mov_b32_e32 v3, 0
                                        ; implicit-def: $sgpr62_sgpr63
	s_branch .LBB4_65
.LBB4_62:                               ;   in Loop: Header=BB4_65 Depth=3
	s_or_b64 exec, exec, s[70:71]
	v_mov_b32_e32 v10, 0
	s_orn2_b64 s[68:69], s[68:69], exec
.LBB4_63:                               ;   in Loop: Header=BB4_65 Depth=3
	s_or_b64 exec, exec, s[66:67]
	s_andn2_b64 vcc, s[62:63], exec
	s_and_b64 s[62:63], s[68:69], exec
	s_or_b64 s[62:63], vcc, s[62:63]
	v_mov_b32_e32 v3, v10
.LBB4_64:                               ;   in Loop: Header=BB4_65 Depth=3
	s_or_b64 exec, exec, s[64:65]
	s_waitcnt vmcnt(0) lgkmcnt(0)
	v_add_co_u32_e32 v10, vcc, 8, v48
	v_addc_co_u32_e32 v11, vcc, 0, v49, vcc
	v_cmp_ge_u64_e32 vcc, v[10:11], v[8:9]
	s_xor_b64 s[64:65], s[62:63], -1
	s_or_b64 vcc, s[64:65], vcc
	s_and_b64 vcc, exec, vcc
	s_or_b64 s[60:61], vcc, s[60:61]
	s_andn2_b64 exec, exec, s[60:61]
	s_cbranch_execz .LBB4_69
.LBB4_65:                               ;   Parent Loop BB4_47 Depth=1
                                        ;     Parent Loop BB4_57 Depth=2
                                        ; =>    This Inner Loop Header: Depth=3
	v_accvgpr_read_b32 v10, a16
	v_accvgpr_read_b32 v11, a17
	s_sleep 1
	flat_load_dwordx2 v[48:49], v[10:11] glc
	v_and_b32_e32 v10, 64, v34
	v_cmp_eq_u32_e32 vcc, 0, v10
	s_andn2_b64 s[62:63], s[62:63], exec
	s_and_saveexec_b64 s[64:65], vcc
	s_cbranch_execz .LBB4_64
; %bb.66:                               ;   in Loop: Header=BB4_65 Depth=3
	v_add_u32_e32 v10, 1, v3
	v_cmp_lt_i32_e32 vcc, s91, v3
	s_mov_b64 s[68:69], -1
	s_and_saveexec_b64 s[66:67], vcc
	s_cbranch_execz .LBB4_63
; %bb.67:                               ;   in Loop: Header=BB4_65 Depth=3
	s_trap 2
	ds_read_b64 v[10:11], v0
	s_waitcnt vmcnt(0) lgkmcnt(0)
	flat_load_dword v3, v[10:11] glc
	s_waitcnt vmcnt(0) lgkmcnt(0)
	buffer_invl2
	buffer_wbinvl1_vol
	v_cmp_ne_u32_e32 vcc, 0, v3
	s_and_saveexec_b64 s[70:71], vcc
	s_cbranch_execz .LBB4_62
; %bb.68:                               ;   in Loop: Header=BB4_65 Depth=3
	v_or_b32_e32 v34, 64, v34
	s_xor_b64 s[68:69], exec, -1
	ds_write_b32 v0, v3
	s_trap 2
	s_branch .LBB4_62
.LBB4_69:                               ;   in Loop: Header=BB4_57 Depth=2
	s_or_b64 exec, exec, s[60:61]
	v_and_b32_e32 v3, 8, v34
.LBB4_70:                               ;   in Loop: Header=BB4_57 Depth=2
	s_or_b64 exec, exec, s[58:59]
	v_cmp_eq_u32_e32 vcc, 0, v3
	s_orn2_b64 s[58:59], vcc, exec
	;;#ASMSTART
	s_wakeup
	;;#ASMEND
.LBB4_71:                               ;   in Loop: Header=BB4_57 Depth=2
	s_or_b64 exec, exec, s[26:27]
	v_sub_u32_e32 v3, v0, v7
	s_xor_b64 s[26:27], s[58:59], -1
	v_min_i32_e32 v2, v2, v3
	s_and_saveexec_b64 s[58:59], s[26:27]
	s_cbranch_execz .LBB4_81
; %bb.72:                               ;   in Loop: Header=BB4_57 Depth=2
	v_and_b32_e32 v3, 0x100, v34
	v_accvgpr_read_b32 v8, a10
	v_cmp_ne_u32_e32 vcc, 0, v3
	v_accvgpr_read_b32 v9, a11
	v_and_b32_e32 v12, 7, v8
	s_mov_b64 s[26:27], -1
                                        ; implicit-def: $vgpr8_vgpr9
	s_and_saveexec_b64 s[60:61], vcc
	s_cbranch_execz .LBB4_76
; %bb.73:                               ;   in Loop: Header=BB4_57 Depth=2
	v_accvgpr_read_b32 v8, a12
	v_accvgpr_read_b32 v9, a13
	v_mad_u64_u32 v[10:11], s[26:27], v12, 24, v[8:9]
	flat_load_dword v8, v[10:11]
	v_ashrrev_i32_e32 v3, 31, v2
	flat_store_dwordx2 v[10:11], v[2:3] offset:8
	s_waitcnt vmcnt(0) lgkmcnt(0)
	v_cmp_ne_u32_e32 vcc, 1, v8
	v_cmp_eq_u32_e64 s[26:27], 1, v8
                                        ; implicit-def: $vgpr8_vgpr9
	s_and_saveexec_b64 s[62:63], s[26:27]
	s_cbranch_execz .LBB4_75
; %bb.74:                               ;   in Loop: Header=BB4_57 Depth=2
	flat_load_dword v8, v[10:11] offset:4 glc
	s_waitcnt vmcnt(0) lgkmcnt(0)
	v_ashrrev_i32_e32 v9, 31, v8
.LBB4_75:                               ;   in Loop: Header=BB4_57 Depth=2
	s_or_b64 exec, exec, s[62:63]
	s_orn2_b64 s[26:27], vcc, exec
.LBB4_76:                               ;   in Loop: Header=BB4_57 Depth=2
	s_or_b64 exec, exec, s[60:61]
	s_and_saveexec_b64 vcc, s[26:27]
; %bb.77:                               ;   in Loop: Header=BB4_57 Depth=2
	v_accvgpr_read_b32 v8, a18
	v_mad_i64_i32 v[8:9], s[26:27], v12, v8, 0
; %bb.78:                               ;   in Loop: Header=BB4_57 Depth=2
	s_or_b64 exec, exec, vcc
	v_accvgpr_read_b32 v10, a20
	v_accvgpr_read_b32 v11, a21
	v_add_co_u32_e32 v8, vcc, v10, v8
	v_addc_co_u32_e32 v9, vcc, v11, v9, vcc
	v_and_b32_e32 v3, 0x2000, v34
	v_cmp_ne_u32_e32 vcc, 0, v3
	ds_write_b64 v0, v[8:9] offset:784
	s_and_saveexec_b64 s[26:27], vcc
	s_cbranch_execz .LBB4_80
; %bb.79:                               ;   in Loop: Header=BB4_57 Depth=2
	ds_read_b64 v[8:9], v0 offset:584
	s_waitcnt lgkmcnt(0)
	v_add_co_u32_e32 v8, vcc, 1, v8
	v_addc_co_u32_e32 v9, vcc, 0, v9, vcc
	ds_write_b64 v0, v[8:9] offset:584
.LBB4_80:                               ;   in Loop: Header=BB4_57 Depth=2
	s_or_b64 exec, exec, s[26:27]
	v_accvgpr_read_b32 v8, a10
	v_accvgpr_read_b32 v9, a11
	v_add_co_u32_e32 v8, vcc, 2, v8
	v_addc_co_u32_e32 v9, vcc, 0, v9, vcc
	v_accvgpr_write_b32 a11, v9
	v_accvgpr_write_b32 a10, v8
.LBB4_81:                               ;   in Loop: Header=BB4_57 Depth=2
	s_or_b64 exec, exec, s[58:59]
	s_and_saveexec_b64 s[26:27], s[10:11]
	s_cbranch_execz .LBB4_100
; %bb.82:                               ;   in Loop: Header=BB4_57 Depth=2
	s_and_saveexec_b64 vcc, s[44:45]
	s_xor_b64 s[58:59], exec, vcc
	s_cbranch_execz .LBB4_97
; %bb.83:                               ;   in Loop: Header=BB4_57 Depth=2
	s_and_saveexec_b64 s[60:61], s[16:17]
	s_cbranch_execz .LBB4_96
; %bb.84:                               ;   in Loop: Header=BB4_57 Depth=2
	s_mov_b64 s[64:65], exec
	v_mbcnt_lo_u32_b32 v3, s64, 0
	v_mbcnt_hi_u32_b32 v3, s65, v3
	v_cmp_eq_u32_e32 vcc, 0, v3
	s_waitcnt vmcnt(0) lgkmcnt(0)
	buffer_wbinvl1_vol
	s_and_saveexec_b64 s[62:63], vcc
	s_cbranch_execz .LBB4_86
; %bb.85:                               ;   in Loop: Header=BB4_57 Depth=2
	s_bcnt1_i32_b64 vcc_lo, s[64:65]
	v_mov_b32_e32 v42, vcc_lo
	ds_add_u64 v0, v[42:43]
	s_trap 2
.LBB4_86:                               ;   in Loop: Header=BB4_57 Depth=2
	s_or_b64 exec, exec, s[62:63]
	s_trap 2
	ds_read_b64 v[8:9], v0
	v_accvgpr_read_b32 v10, a14
	v_accvgpr_read_b32 v11, a15
	v_add_co_u32_e32 v10, vcc, v10, v46
	v_addc_co_u32_e32 v11, vcc, 0, v11, vcc
	v_accvgpr_write_b32 a15, v11
	v_accvgpr_write_b32 a14, v10
	s_waitcnt lgkmcnt(0)
	v_cmp_lt_u64_e32 vcc, v[8:9], v[10:11]
	s_and_saveexec_b64 s[62:63], vcc
	s_cbranch_execz .LBB4_95
; %bb.87:                               ;   in Loop: Header=BB4_57 Depth=2
	s_mov_b32 s74, 0
	s_mov_b64 s[64:65], 0
                                        ; implicit-def: $sgpr66_sgpr67
                                        ; implicit-def: $sgpr68_sgpr69
	s_branch .LBB4_89
.LBB4_88:                               ;   in Loop: Header=BB4_89 Depth=3
	s_or_b64 exec, exec, s[72:73]
	s_and_b64 vcc, exec, vcc
	s_or_b64 s[64:65], vcc, s[64:65]
	s_andn2_b64 vcc, s[66:67], exec
	s_and_b64 s[66:67], s[68:69], exec
	s_or_b64 s[66:67], vcc, s[66:67]
	s_andn2_b64 exec, exec, s[64:65]
	s_cbranch_execz .LBB4_93
.LBB4_89:                               ;   Parent Loop BB4_47 Depth=1
                                        ;     Parent Loop BB4_57 Depth=2
                                        ; =>    This Inner Loop Header: Depth=3
	s_add_i32 s74, s74, 1
	s_cmpk_lg_i32 s74, 0x2710
	s_cselect_b64 s[70:71], -1, 0
	s_and_b64 vcc, exec, s[70:71]
                                        ; implicit-def: $sgpr72_sgpr73
	s_cbranch_vccnz .LBB4_91
; %bb.90:                               ;   in Loop: Header=BB4_89 Depth=3
	s_trap 2
	ds_read_b64 v[8:9], v0
	s_andn2_b64 s[70:71], s[70:71], exec
	s_mov_b32 s74, 0
	s_mov_b64 s[72:73], -1
	s_waitcnt lgkmcnt(0)
	flat_load_dword v3, v[8:9] glc
	s_waitcnt vmcnt(0) lgkmcnt(0)
	buffer_invl2
	buffer_wbinvl1_vol
	v_cmp_eq_u32_e32 vcc, 0, v3
	s_and_b64 vcc, vcc, exec
	s_or_b64 s[70:71], s[70:71], vcc
.LBB4_91:                               ;   in Loop: Header=BB4_89 Depth=3
	s_andn2_b64 s[68:69], s[68:69], exec
	s_and_b64 s[72:73], s[72:73], exec
	s_mov_b64 vcc, -1
	s_or_b64 s[68:69], s[68:69], s[72:73]
	s_and_saveexec_b64 s[72:73], s[70:71]
	s_cbranch_execz .LBB4_88
; %bb.92:                               ;   in Loop: Header=BB4_89 Depth=3
	s_sleep 1
	s_trap 2
	ds_read_b64 v[8:9], v0
	v_accvgpr_read_b32 v10, a14
	v_accvgpr_read_b32 v11, a15
	s_andn2_b64 s[68:69], s[68:69], exec
	s_waitcnt lgkmcnt(0)
	v_cmp_ge_u64_e32 vcc, v[8:9], v[10:11]
	s_orn2_b64 vcc, vcc, exec
	s_branch .LBB4_88
.LBB4_93:                               ;   in Loop: Header=BB4_57 Depth=2
	s_or_b64 exec, exec, s[64:65]
	s_and_saveexec_b64 vcc, s[66:67]
	s_xor_b64 vcc, exec, vcc
	s_cbranch_execz .LBB4_95
; %bb.94:                               ;   in Loop: Header=BB4_57 Depth=2
	v_mov_b32_e32 v3, 1
	ds_write_b32 v0, v3
	s_trap 2
.LBB4_95:                               ;   in Loop: Header=BB4_57 Depth=2
	s_or_b64 exec, exec, s[62:63]
	;;#ASMSTART
	s_wakeup
	;;#ASMEND
.LBB4_96:                               ;   in Loop: Header=BB4_57 Depth=2
	s_or_b64 exec, exec, s[60:61]
.LBB4_97:                               ;   in Loop: Header=BB4_57 Depth=2
	s_andn2_saveexec_b64 vcc, s[58:59]
	s_cbranch_execz .LBB4_99
; %bb.98:                               ;   in Loop: Header=BB4_57 Depth=2
	s_waitcnt vmcnt(0) lgkmcnt(0)
	buffer_wbinvl1_vol
	s_barrier
.LBB4_99:                               ;   in Loop: Header=BB4_57 Depth=2
	s_or_b64 exec, exec, vcc
.LBB4_100:                              ;   in Loop: Header=BB4_57 Depth=2
	s_or_b64 exec, exec, s[26:27]
	s_trap 2
	ds_read_b32 v3, v0
	v_and_b32_e32 v8, 0x4000, v34
	v_cmp_ne_u32_e32 vcc, 0, v8
	s_xor_b64 s[26:27], s[6:7], -1
	s_and_b64 vcc, s[26:27], vcc
	s_and_saveexec_b64 s[26:27], vcc
	s_cbranch_execz .LBB4_119
; %bb.101:                              ;   in Loop: Header=BB4_57 Depth=2
	s_and_saveexec_b64 vcc, s[44:45]
	s_xor_b64 s[58:59], exec, vcc
	s_cbranch_execz .LBB4_116
; %bb.102:                              ;   in Loop: Header=BB4_57 Depth=2
	s_and_saveexec_b64 s[60:61], s[16:17]
	s_cbranch_execz .LBB4_115
; %bb.103:                              ;   in Loop: Header=BB4_57 Depth=2
	s_mov_b64 s[64:65], exec
	v_mbcnt_lo_u32_b32 v8, s64, 0
	v_mbcnt_hi_u32_b32 v8, s65, v8
	v_cmp_eq_u32_e32 vcc, 0, v8
	s_waitcnt vmcnt(0) lgkmcnt(0)
	buffer_wbinvl1_vol
	s_and_saveexec_b64 s[62:63], vcc
	s_cbranch_execz .LBB4_105
; %bb.104:                              ;   in Loop: Header=BB4_57 Depth=2
	s_bcnt1_i32_b64 vcc_lo, s[64:65]
	v_mov_b32_e32 v42, vcc_lo
	ds_add_u64 v0, v[42:43]
	s_trap 2
.LBB4_105:                              ;   in Loop: Header=BB4_57 Depth=2
	s_or_b64 exec, exec, s[62:63]
	s_trap 2
	ds_read_b64 v[8:9], v0
	v_accvgpr_read_b32 v10, a14
	v_accvgpr_read_b32 v11, a15
	v_add_co_u32_e32 v10, vcc, v10, v46
	v_addc_co_u32_e32 v11, vcc, 0, v11, vcc
	v_accvgpr_write_b32 a15, v11
	v_accvgpr_write_b32 a14, v10
	s_waitcnt lgkmcnt(0)
	v_cmp_lt_u64_e32 vcc, v[8:9], v[10:11]
	s_and_saveexec_b64 s[62:63], vcc
	s_cbranch_execz .LBB4_114
; %bb.106:                              ;   in Loop: Header=BB4_57 Depth=2
	s_mov_b32 s74, 0
	s_mov_b64 s[64:65], 0
                                        ; implicit-def: $sgpr66_sgpr67
                                        ; implicit-def: $sgpr68_sgpr69
	s_branch .LBB4_108
.LBB4_107:                              ;   in Loop: Header=BB4_108 Depth=3
	s_or_b64 exec, exec, s[72:73]
	s_and_b64 vcc, exec, vcc
	s_or_b64 s[64:65], vcc, s[64:65]
	s_andn2_b64 vcc, s[66:67], exec
	s_and_b64 s[66:67], s[68:69], exec
	s_or_b64 s[66:67], vcc, s[66:67]
	s_andn2_b64 exec, exec, s[64:65]
	s_cbranch_execz .LBB4_112
.LBB4_108:                              ;   Parent Loop BB4_47 Depth=1
                                        ;     Parent Loop BB4_57 Depth=2
                                        ; =>    This Inner Loop Header: Depth=3
	s_add_i32 s74, s74, 1
	s_cmpk_lg_i32 s74, 0x2710
	s_cselect_b64 s[70:71], -1, 0
	s_and_b64 vcc, exec, s[70:71]
                                        ; implicit-def: $sgpr72_sgpr73
	s_cbranch_vccnz .LBB4_110
; %bb.109:                              ;   in Loop: Header=BB4_108 Depth=3
	s_trap 2
	ds_read_b64 v[8:9], v0
	s_andn2_b64 s[70:71], s[70:71], exec
	s_mov_b32 s74, 0
	s_mov_b64 s[72:73], -1
	s_waitcnt lgkmcnt(0)
	flat_load_dword v8, v[8:9] glc
	s_waitcnt vmcnt(0) lgkmcnt(0)
	buffer_invl2
	buffer_wbinvl1_vol
	v_cmp_eq_u32_e32 vcc, 0, v8
	s_and_b64 vcc, vcc, exec
	s_or_b64 s[70:71], s[70:71], vcc
.LBB4_110:                              ;   in Loop: Header=BB4_108 Depth=3
	s_andn2_b64 s[68:69], s[68:69], exec
	s_and_b64 s[72:73], s[72:73], exec
	s_mov_b64 vcc, -1
	s_or_b64 s[68:69], s[68:69], s[72:73]
	s_and_saveexec_b64 s[72:73], s[70:71]
	s_cbranch_execz .LBB4_107
; %bb.111:                              ;   in Loop: Header=BB4_108 Depth=3
	s_sleep 1
	s_trap 2
	ds_read_b64 v[8:9], v0
	v_accvgpr_read_b32 v10, a14
	v_accvgpr_read_b32 v11, a15
	s_andn2_b64 s[68:69], s[68:69], exec
	s_waitcnt lgkmcnt(0)
	v_cmp_ge_u64_e32 vcc, v[8:9], v[10:11]
	s_orn2_b64 vcc, vcc, exec
	s_branch .LBB4_107
.LBB4_112:                              ;   in Loop: Header=BB4_57 Depth=2
	s_or_b64 exec, exec, s[64:65]
	s_and_saveexec_b64 vcc, s[66:67]
	s_xor_b64 vcc, exec, vcc
	s_cbranch_execz .LBB4_114
; %bb.113:                              ;   in Loop: Header=BB4_57 Depth=2
	v_mov_b32_e32 v8, 1
	ds_write_b32 v0, v8
	s_trap 2
.LBB4_114:                              ;   in Loop: Header=BB4_57 Depth=2
	s_or_b64 exec, exec, s[62:63]
	;;#ASMSTART
	s_wakeup
	;;#ASMEND
.LBB4_115:                              ;   in Loop: Header=BB4_57 Depth=2
	s_or_b64 exec, exec, s[60:61]
.LBB4_116:                              ;   in Loop: Header=BB4_57 Depth=2
	s_andn2_saveexec_b64 vcc, s[58:59]
	s_cbranch_execz .LBB4_118
; %bb.117:                              ;   in Loop: Header=BB4_57 Depth=2
	s_waitcnt vmcnt(0) lgkmcnt(0)
	buffer_wbinvl1_vol
	s_barrier
.LBB4_118:                              ;   in Loop: Header=BB4_57 Depth=2
	s_or_b64 exec, exec, vcc
.LBB4_119:                              ;   in Loop: Header=BB4_57 Depth=2
	s_or_b64 exec, exec, s[26:27]
	s_trap 2
	ds_read_b64 v[8:9], v0
	v_mov_b32_e32 v14, 0
	s_waitcnt lgkmcnt(0)
	v_readfirstlane_b32 s26, v8
	v_readfirstlane_b32 s27, v9
	s_cmp_eq_u64 s[26:27], 0
	s_cselect_b64 s[26:27], -1, 0
	s_or_b64 s[26:27], s[26:27], s[26:27]
	s_and_b64 vcc, exec, s[26:27]
	s_cbranch_vccnz .LBB4_140
; %bb.120:                              ;   in Loop: Header=BB4_57 Depth=2
	s_mov_b64 s[26:27], -1
	s_and_saveexec_b64 s[58:59], s[18:19]
	s_cbranch_execz .LBB4_122
; %bb.121:                              ;   in Loop: Header=BB4_57 Depth=2
	ds_read_b32 v8, v0 offset:720
	s_waitcnt lgkmcnt(0)
	v_and_b32_e32 v8, 15, v8
	v_cmp_eq_u32_e32 vcc, 0, v8
	s_orn2_b64 s[26:27], vcc, exec
.LBB4_122:                              ;   in Loop: Header=BB4_57 Depth=2
	s_or_b64 exec, exec, s[58:59]
	s_and_saveexec_b64 s[58:59], s[20:21]
	s_cbranch_execz .LBB4_124
; %bb.123:                              ;   in Loop: Header=BB4_57 Depth=2
	ds_read_b32 v8, v0 offset:784
	s_waitcnt lgkmcnt(0)
	v_and_b32_e32 v8, 15, v8
	v_cmp_eq_u32_e32 vcc, 0, v8
	s_and_b64 vcc, s[26:27], vcc
	s_andn2_b64 s[26:27], s[26:27], exec
	s_and_b64 vcc, vcc, exec
	s_or_b64 s[26:27], s[26:27], vcc
.LBB4_124:                              ;   in Loop: Header=BB4_57 Depth=2
	s_or_b64 exec, exec, s[58:59]
	s_xor_b64 s[26:27], s[26:27], -1
	v_cmp_eq_u32_e32 vcc, 0, v3
	v_cndmask_b32_e64 v3, 0, 1, s[26:27]
	v_cndmask_b32_e32 v14, 0, v2, vcc
	;;#ASMSTART
	;;#ASMEND
	v_mov_b32_e32 v11, 0
	s_mov_b64 s[60:61], -1
	v_cmp_ne_u32_e32 vcc, 0, v3
	v_mov_b32_e32 v15, v14
	v_accvgpr_read_b32 v16, a1
	v_accvgpr_read_b32 v3, a31
	s_cbranch_vccz .LBB4_141
; %bb.125:                              ;   in Loop: Header=BB4_57 Depth=2
	s_and_saveexec_b64 s[26:27], s[60:61]
	s_cbranch_execz .LBB4_154
.LBB4_126:                              ;   in Loop: Header=BB4_57 Depth=2
	v_ashrrev_i32_e32 v8, 31, v15
	v_lshrrev_b32_e32 v8, 22, v8
	v_add_u32_e32 v8, v15, v8
	v_ashrrev_i32_e32 v19, 10, v8
	v_sub_u32_e32 v17, v19, v3
	v_ashrrev_i32_e32 v8, 31, v16
	v_cmp_lt_i32_e32 vcc, 0, v17
	v_lshrrev_b32_e32 v18, 26, v8
	s_and_saveexec_b64 s[58:59], vcc
	s_cbranch_execz .LBB4_130
; %bb.127:                              ;   in Loop: Header=BB4_57 Depth=2
	s_trap 2
	ds_read_b64 v[8:9], v0
	v_add_u32_e32 v10, v16, v18
	v_and_b32_e32 v10, 0xffffffc0, v10
	v_sub_u32_e32 v10, v16, v10
	v_lshlrev_b32_e32 v3, 10, v3
	v_add3_u32 v10, v11, v10, v3
	v_ashrrev_i32_e32 v3, 31, v10
	s_mov_b64 s[60:61], 0
	s_waitcnt lgkmcnt(0)
	v_pk_mov_b32 v[12:13], v[8:9], v[8:9] op_sel:[0,1]
	v_accvgpr_read_b32 v51, a41
	v_accvgpr_read_b32 v52, a42
.LBB4_128:                              ;   Parent Loop BB4_47 Depth=1
                                        ;     Parent Loop BB4_57 Depth=2
                                        ; =>    This Inner Loop Header: Depth=3
	v_add_co_u32_e32 v20, vcc, v10, v12
	v_addc_co_u32_e32 v21, vcc, v3, v13, vcc
	flat_load_ubyte v22, v[20:21] glc slc
	flat_load_ubyte v23, v[20:21] offset:64 glc slc
	flat_load_ubyte v24, v[20:21] offset:128 glc slc
	;; [unrolled: 1-line block ×15, first 2 shown]
	v_add_co_u32_e32 v20, vcc, v10, v8
	v_addc_co_u32_e32 v21, vcc, v3, v9, vcc
	v_add_co_u32_e32 v12, vcc, v12, v51
	v_addc_co_u32_e32 v13, vcc, v13, v52, vcc
	v_add_co_u32_e32 v8, vcc, v8, v51
	v_sub_u32_e32 v17, v17, v46
	v_addc_co_u32_e32 v9, vcc, v9, v52, vcc
	v_cmp_gt_i32_e32 vcc, 1, v17
	s_or_b64 s[60:61], vcc, s[60:61]
	s_waitcnt vmcnt(0) lgkmcnt(0)
	flat_store_byte v[20:21], v22 glc slc
	flat_store_byte v[20:21], v23 offset:64 glc slc
	flat_store_byte v[20:21], v24 offset:128 glc slc
	;; [unrolled: 1-line block ×15, first 2 shown]
	s_andn2_b64 exec, exec, s[60:61]
	s_cbranch_execnz .LBB4_128
; %bb.129:                              ;   in Loop: Header=BB4_57 Depth=2
	s_or_b64 exec, exec, s[60:61]
	v_accvgpr_read_b32 v29, a9
	v_accvgpr_read_b32 v28, a8
.LBB4_130:                              ;   in Loop: Header=BB4_57 Depth=2
	s_or_b64 exec, exec, s[58:59]
	v_lshlrev_b32_e32 v3, 10, v19
	v_cmp_ne_u32_e32 vcc, v15, v3
	s_mov_b64 s[58:59], exec
	s_and_b64 vcc, s[58:59], vcc
	v_accvgpr_read_b32 v13, a36
	v_accvgpr_read_b32 v19, a37
	s_mov_b64 exec, vcc
	s_cbranch_execz .LBB4_134
; %bb.131:                              ;   in Loop: Header=BB4_57 Depth=2
	v_add_u32_e32 v8, v16, v18
	v_and_b32_e32 v8, 0xffffffc0, v8
	v_sub_u32_e32 v8, v16, v8
	v_lshlrev_b32_e32 v9, 6, v17
	v_sub_u32_e32 v8, v8, v9
	v_add_u32_e32 v3, v3, v8
	v_sub_u32_e32 v12, v15, v3
	v_cmp_lt_i32_e32 vcc, 0, v12
	s_and_b64 exec, exec, vcc
	s_cbranch_execz .LBB4_134
; %bb.132:                              ;   in Loop: Header=BB4_57 Depth=2
	s_trap 2
	ds_read_b64 v[8:9], v0
	v_add_u32_e32 v10, v3, v11
	v_ashrrev_i32_e32 v3, 31, v10
	s_mov_b64 s[60:61], 0
.LBB4_133:                              ;   Parent Loop BB4_47 Depth=1
                                        ;     Parent Loop BB4_57 Depth=2
                                        ; =>    This Inner Loop Header: Depth=3
	s_waitcnt lgkmcnt(0)
	v_add_co_u32_e32 v16, vcc, v8, v10
	v_addc_co_u32_e32 v17, vcc, v9, v3, vcc
	flat_load_ubyte v11, v[16:17] glc slc
	v_add_co_u32_e32 v10, vcc, v10, v13
	v_sub_u32_e32 v12, v12, v41
	v_addc_co_u32_e32 v3, vcc, v3, v19, vcc
	v_cmp_gt_i32_e32 vcc, 1, v12
	s_or_b64 s[60:61], vcc, s[60:61]
	s_waitcnt vmcnt(0) lgkmcnt(0)
	flat_store_byte v[16:17], v11 glc slc
	s_andn2_b64 exec, exec, s[60:61]
	s_cbranch_execnz .LBB4_133
.LBB4_134:                              ;   in Loop: Header=BB4_57 Depth=2
	s_or_b64 exec, exec, s[58:59]
	s_or_b64 exec, exec, s[26:27]
	s_and_saveexec_b64 s[26:27], s[10:11]
	s_cbranch_execnz .LBB4_155
.LBB4_135:                              ;   in Loop: Header=BB4_57 Depth=2
	s_or_b64 exec, exec, s[26:27]
                                        ; implicit-def: $vgpr3
	s_and_saveexec_b64 s[26:27], s[24:25]
	s_xor_b64 s[58:59], exec, s[26:27]
	s_cbranch_execz .LBB4_173
.LBB4_136:                              ;   in Loop: Header=BB4_57 Depth=2
	v_and_b32_e32 v8, 16, v34
	v_cmp_lt_i32_e32 vcc, 0, v14
	v_cmp_ne_u32_e64 s[26:27], 0, v8
	v_and_b32_e32 v3, 16, v34
	s_and_b64 vcc, s[26:27], vcc
	s_and_saveexec_b64 s[26:27], vcc
	s_cbranch_execz .LBB4_138
; %bb.137:                              ;   in Loop: Header=BB4_57 Depth=2
	v_mov_b32_e32 v3, 1
	s_waitcnt vmcnt(0) lgkmcnt(0)
	buffer_wbinvl1_vol
.LBB4_138:                              ;   in Loop: Header=BB4_57 Depth=2
	s_or_b64 exec, exec, s[26:27]
	s_andn2_saveexec_b64 s[26:27], s[58:59]
	s_cbranch_execnz .LBB4_174
.LBB4_139:                              ;   in Loop: Header=BB4_57 Depth=2
	s_or_b64 exec, exec, s[26:27]
	v_cmp_ne_u32_e32 vcc, 0, v3
	s_and_saveexec_b64 s[26:27], vcc
	s_cbranch_execz .LBB4_56
	s_branch .LBB4_192
.LBB4_140:                              ;   in Loop: Header=BB4_57 Depth=2
	s_and_saveexec_b64 s[26:27], s[10:11]
	s_cbranch_execnz .LBB4_155
	s_branch .LBB4_135
.LBB4_141:                              ;   in Loop: Header=BB4_57 Depth=2
	v_ashrrev_i32_e32 v3, 31, v14
	v_lshrrev_b32_e32 v3, 21, v3
	v_add_u32_e32 v3, v14, v3
	v_ashrrev_i32_e32 v3, 11, v3
	v_accvgpr_read_b32 v8, a31
	v_sub_u32_e32 v13, v3, v8
	v_cmp_lt_i32_e32 vcc, 0, v13
	s_and_saveexec_b64 s[26:27], vcc
	s_cbranch_execz .LBB4_145
; %bb.142:                              ;   in Loop: Header=BB4_57 Depth=2
	s_trap 2
	ds_read_b64 v[8:9], v0
	v_accvgpr_read_b32 v10, a44
	s_mov_b64 s[58:59], 0
	v_accvgpr_read_b32 v11, a45
.LBB4_143:                              ;   Parent Loop BB4_47 Depth=1
                                        ;     Parent Loop BB4_57 Depth=2
                                        ; =>    This Inner Loop Header: Depth=3
	s_waitcnt lgkmcnt(0)
	v_add_co_u32_e32 v24, vcc, v8, v10
	v_addc_co_u32_e32 v25, vcc, v9, v11, vcc
	global_load_dwordx4 v[16:19], v[24:25], off glc slc
	global_load_dwordx4 v[20:23], v[24:25], off offset:1024 glc slc
	v_add_co_u32_e32 v10, vcc, v10, v58
	v_sub_u32_e32 v13, v13, v46
	v_addc_co_u32_e32 v11, vcc, v11, v55, vcc
	v_cmp_gt_i32_e32 vcc, 1, v13
	s_or_b64 s[58:59], vcc, s[58:59]
	s_waitcnt vmcnt(0)
	global_store_dwordx4 v[24:25], v[16:19], off glc slc
	s_waitcnt vmcnt(1)
	global_store_dwordx4 v[24:25], v[20:23], off offset:1024 glc slc
	s_andn2_b64 exec, exec, s[58:59]
	s_cbranch_execnz .LBB4_143
; %bb.144:                              ;   in Loop: Header=BB4_57 Depth=2
	s_or_b64 exec, exec, s[58:59]
.LBB4_145:                              ;   in Loop: Header=BB4_57 Depth=2
	s_or_b64 exec, exec, s[26:27]
	v_lshlrev_b32_e32 v12, 11, v3
	v_cmp_ne_u32_e32 vcc, v14, v12
	s_mov_b64 s[60:61], 0
	v_mov_b32_e32 v11, 0
                                        ; implicit-def: $vgpr15
                                        ; implicit-def: $vgpr16
                                        ; implicit-def: $vgpr3
	s_and_saveexec_b64 s[58:59], vcc
	s_cbranch_execz .LBB4_153
; %bb.146:                              ;   in Loop: Header=BB4_57 Depth=2
	v_lshlrev_b32_e32 v3, 6, v13
	v_accvgpr_read_b32 v9, a40
	v_sub_u32_e32 v3, v9, v3
	v_ashrrev_i32_e32 v9, 31, v3
	v_lshrrev_b32_e32 v9, 26, v9
	v_add_u32_e32 v9, v3, v9
	v_sub_u32_e32 v8, v14, v12
	v_ashrrev_i32_e32 v10, 6, v9
	v_and_b32_e32 v9, 0xffffffc0, v9
	v_sub_u32_e32 v13, v3, v9
	v_ashrrev_i32_e32 v9, 31, v8
	v_lshrrev_b32_e32 v9, 22, v9
	v_add_u32_e32 v9, v8, v9
	v_and_b32_e32 v17, 0xfffffc00, v9
	v_lshlrev_b32_e32 v3, 4, v13
	v_sub_u32_e32 v19, v8, v17
	v_lshl_add_u32 v3, v10, 10, v3
	v_ashrrev_i32_e32 v15, 10, v9
	v_cmp_lt_i32_e32 vcc, 15, v19
	v_sub_u32_e32 v11, v8, v3
	v_addc_co_u32_e64 v8, s[26:27], 0, v15, vcc
	v_sub_u32_e32 v18, v8, v10
	v_cmp_lt_i32_e64 s[26:27], 15, v11
	s_and_saveexec_b64 s[60:61], s[26:27]
	s_cbranch_execz .LBB4_150
; %bb.147:                              ;   in Loop: Header=BB4_57 Depth=2
	s_trap 2
	ds_read_b64 v[8:9], v0
	v_add_u32_e32 v10, v3, v12
	v_ashrrev_i32_e32 v3, 31, v10
	s_mov_b64 s[62:63], 0
	v_accvgpr_read_b32 v15, a28
	v_accvgpr_read_b32 v16, a41
	;; [unrolled: 1-line block ×3, first 2 shown]
.LBB4_148:                              ;   Parent Loop BB4_47 Depth=1
                                        ;     Parent Loop BB4_57 Depth=2
                                        ; =>    This Inner Loop Header: Depth=3
	s_waitcnt lgkmcnt(0)
	v_add_co_u32_e64 v24, s[26:27], v8, v10
	v_addc_co_u32_e64 v25, s[26:27], v9, v3, s[26:27]
	global_load_dwordx4 v[20:23], v[24:25], off glc slc
	v_add_co_u32_e64 v10, s[26:27], v10, v16
	v_sub_u32_e32 v11, v11, v15
	v_addc_co_u32_e64 v3, s[26:27], v3, v26, s[26:27]
	v_cmp_gt_i32_e64 s[26:27], 16, v11
	v_sub_u32_e32 v18, v18, v46
	s_or_b64 s[62:63], s[26:27], s[62:63]
	s_waitcnt vmcnt(0)
	global_store_dwordx4 v[24:25], v[20:23], off glc slc
	s_andn2_b64 exec, exec, s[62:63]
	s_cbranch_execnz .LBB4_148
; %bb.149:                              ;   in Loop: Header=BB4_57 Depth=2
	s_or_b64 exec, exec, s[62:63]
.LBB4_150:                              ;   in Loop: Header=BB4_57 Depth=2
	s_or_b64 exec, exec, s[60:61]
	v_and_b32_e32 v8, 15, v14
	v_cndmask_b32_e32 v15, v19, v8, vcc
	v_cmp_ne_u32_e64 s[26:27], 0, v15
	s_mov_b64 s[60:61], 0
	v_mov_b32_e32 v11, 0
                                        ; implicit-def: $vgpr16
                                        ; implicit-def: $vgpr3
	s_and_saveexec_b64 s[62:63], s[26:27]
	s_cbranch_execz .LBB4_152
; %bb.151:                              ;   in Loop: Header=BB4_57 Depth=2
	v_sub_u32_e32 v3, v19, v8
	v_cndmask_b32_e32 v3, 0, v3, vcc
	v_cmp_lt_i32_e32 vcc, 0, v18
	v_add3_u32 v11, v17, v12, v3
	v_cndmask_b32_e32 v3, 0, v46, vcc
	v_sub_u32_e32 v3, v3, v18
	v_lshl_add_u32 v16, v3, 6, v13
	v_ashrrev_i32_e32 v3, 31, v16
	v_lshrrev_b32_e32 v3, 26, v3
	v_add_u32_e32 v3, v16, v3
	s_mov_b64 s[60:61], exec
	v_ashrrev_i32_e32 v3, 6, v3
.LBB4_152:                              ;   in Loop: Header=BB4_57 Depth=2
	s_or_b64 exec, exec, s[62:63]
	s_and_b64 s[60:61], s[60:61], exec
.LBB4_153:                              ;   in Loop: Header=BB4_57 Depth=2
	s_or_b64 exec, exec, s[58:59]
	s_and_saveexec_b64 s[26:27], s[60:61]
	s_cbranch_execnz .LBB4_126
.LBB4_154:                              ;   in Loop: Header=BB4_57 Depth=2
	s_or_b64 exec, exec, s[26:27]
	s_and_saveexec_b64 s[26:27], s[10:11]
	s_cbranch_execz .LBB4_135
.LBB4_155:                              ;   in Loop: Header=BB4_57 Depth=2
	s_and_saveexec_b64 vcc, s[44:45]
	s_xor_b64 s[58:59], exec, vcc
	s_cbranch_execz .LBB4_170
; %bb.156:                              ;   in Loop: Header=BB4_57 Depth=2
	s_and_saveexec_b64 s[60:61], s[16:17]
	s_cbranch_execz .LBB4_169
; %bb.157:                              ;   in Loop: Header=BB4_57 Depth=2
	s_mov_b64 s[64:65], exec
	v_mbcnt_lo_u32_b32 v3, s64, 0
	v_mbcnt_hi_u32_b32 v3, s65, v3
	v_cmp_eq_u32_e32 vcc, 0, v3
	s_waitcnt vmcnt(0) lgkmcnt(0)
	buffer_wbinvl1_vol
	s_and_saveexec_b64 s[62:63], vcc
	s_cbranch_execz .LBB4_159
; %bb.158:                              ;   in Loop: Header=BB4_57 Depth=2
	s_bcnt1_i32_b64 vcc_lo, s[64:65]
	v_mov_b32_e32 v42, vcc_lo
	ds_add_u64 v0, v[42:43]
	s_trap 2
.LBB4_159:                              ;   in Loop: Header=BB4_57 Depth=2
	s_or_b64 exec, exec, s[62:63]
	s_trap 2
	ds_read_b64 v[8:9], v0
	v_accvgpr_read_b32 v10, a14
	v_accvgpr_read_b32 v11, a15
	v_add_co_u32_e32 v10, vcc, v10, v46
	v_addc_co_u32_e32 v11, vcc, 0, v11, vcc
	v_accvgpr_write_b32 a15, v11
	v_accvgpr_write_b32 a14, v10
	s_waitcnt lgkmcnt(0)
	v_cmp_lt_u64_e32 vcc, v[8:9], v[10:11]
	s_and_saveexec_b64 s[62:63], vcc
	s_cbranch_execz .LBB4_168
; %bb.160:                              ;   in Loop: Header=BB4_57 Depth=2
	s_mov_b32 s74, 0
	s_mov_b64 s[64:65], 0
                                        ; implicit-def: $sgpr66_sgpr67
                                        ; implicit-def: $sgpr68_sgpr69
	s_branch .LBB4_162
.LBB4_161:                              ;   in Loop: Header=BB4_162 Depth=3
	s_or_b64 exec, exec, s[72:73]
	s_and_b64 vcc, exec, vcc
	s_or_b64 s[64:65], vcc, s[64:65]
	s_andn2_b64 vcc, s[66:67], exec
	s_and_b64 s[66:67], s[68:69], exec
	s_or_b64 s[66:67], vcc, s[66:67]
	s_andn2_b64 exec, exec, s[64:65]
	s_cbranch_execz .LBB4_166
.LBB4_162:                              ;   Parent Loop BB4_47 Depth=1
                                        ;     Parent Loop BB4_57 Depth=2
                                        ; =>    This Inner Loop Header: Depth=3
	s_add_i32 s74, s74, 1
	s_cmpk_lg_i32 s74, 0x2710
	s_cselect_b64 s[70:71], -1, 0
	s_and_b64 vcc, exec, s[70:71]
                                        ; implicit-def: $sgpr72_sgpr73
	s_cbranch_vccnz .LBB4_164
; %bb.163:                              ;   in Loop: Header=BB4_162 Depth=3
	s_trap 2
	ds_read_b64 v[8:9], v0
	s_andn2_b64 s[70:71], s[70:71], exec
	s_mov_b32 s74, 0
	s_mov_b64 s[72:73], -1
	s_waitcnt lgkmcnt(0)
	flat_load_dword v3, v[8:9] glc
	s_waitcnt vmcnt(0) lgkmcnt(0)
	buffer_invl2
	buffer_wbinvl1_vol
	v_cmp_eq_u32_e32 vcc, 0, v3
	s_and_b64 vcc, vcc, exec
	s_or_b64 s[70:71], s[70:71], vcc
.LBB4_164:                              ;   in Loop: Header=BB4_162 Depth=3
	s_andn2_b64 s[68:69], s[68:69], exec
	s_and_b64 s[72:73], s[72:73], exec
	s_mov_b64 vcc, -1
	s_or_b64 s[68:69], s[68:69], s[72:73]
	s_and_saveexec_b64 s[72:73], s[70:71]
	s_cbranch_execz .LBB4_161
; %bb.165:                              ;   in Loop: Header=BB4_162 Depth=3
	s_sleep 1
	s_trap 2
	ds_read_b64 v[8:9], v0
	v_accvgpr_read_b32 v10, a14
	v_accvgpr_read_b32 v11, a15
	s_andn2_b64 s[68:69], s[68:69], exec
	s_waitcnt lgkmcnt(0)
	v_cmp_ge_u64_e32 vcc, v[8:9], v[10:11]
	s_orn2_b64 vcc, vcc, exec
	s_branch .LBB4_161
.LBB4_166:                              ;   in Loop: Header=BB4_57 Depth=2
	s_or_b64 exec, exec, s[64:65]
	s_and_saveexec_b64 vcc, s[66:67]
	s_xor_b64 vcc, exec, vcc
	s_cbranch_execz .LBB4_168
; %bb.167:                              ;   in Loop: Header=BB4_57 Depth=2
	v_mov_b32_e32 v3, 1
	ds_write_b32 v0, v3
	s_trap 2
.LBB4_168:                              ;   in Loop: Header=BB4_57 Depth=2
	s_or_b64 exec, exec, s[62:63]
	;;#ASMSTART
	s_wakeup
	;;#ASMEND
.LBB4_169:                              ;   in Loop: Header=BB4_57 Depth=2
	s_or_b64 exec, exec, s[60:61]
.LBB4_170:                              ;   in Loop: Header=BB4_57 Depth=2
	s_andn2_saveexec_b64 vcc, s[58:59]
	s_cbranch_execz .LBB4_172
; %bb.171:                              ;   in Loop: Header=BB4_57 Depth=2
	s_waitcnt vmcnt(0) lgkmcnt(0)
	buffer_wbinvl1_vol
	s_barrier
.LBB4_172:                              ;   in Loop: Header=BB4_57 Depth=2
	s_or_b64 exec, exec, vcc
	s_or_b64 exec, exec, s[26:27]
                                        ; implicit-def: $vgpr3
	s_and_saveexec_b64 s[26:27], s[24:25]
	s_xor_b64 s[58:59], exec, s[26:27]
	s_cbranch_execnz .LBB4_136
.LBB4_173:                              ;   in Loop: Header=BB4_57 Depth=2
	s_andn2_saveexec_b64 s[26:27], s[58:59]
	s_cbranch_execz .LBB4_139
.LBB4_174:                              ;   in Loop: Header=BB4_57 Depth=2
	s_and_saveexec_b64 vcc, s[44:45]
	s_xor_b64 s[58:59], exec, vcc
	s_cbranch_execz .LBB4_189
; %bb.175:                              ;   in Loop: Header=BB4_57 Depth=2
	s_and_saveexec_b64 s[60:61], s[16:17]
	s_cbranch_execz .LBB4_188
; %bb.176:                              ;   in Loop: Header=BB4_57 Depth=2
	s_mov_b64 s[64:65], exec
	v_mbcnt_lo_u32_b32 v3, s64, 0
	v_mbcnt_hi_u32_b32 v3, s65, v3
	v_cmp_eq_u32_e32 vcc, 0, v3
	;;#ASMSTART
	s_waitcnt lgkmcnt(0) vmcnt(0)
	;;#ASMEND
	s_and_saveexec_b64 s[62:63], vcc
	s_cbranch_execz .LBB4_178
; %bb.177:                              ;   in Loop: Header=BB4_57 Depth=2
	s_bcnt1_i32_b64 vcc_lo, s[64:65]
	v_mov_b32_e32 v42, vcc_lo
	ds_add_u64 v0, v[42:43]
	s_trap 2
.LBB4_178:                              ;   in Loop: Header=BB4_57 Depth=2
	s_or_b64 exec, exec, s[62:63]
	s_trap 2
	ds_read_b64 v[8:9], v0
	v_accvgpr_read_b32 v10, a14
	v_accvgpr_read_b32 v11, a15
	v_add_co_u32_e32 v10, vcc, v10, v46
	v_addc_co_u32_e32 v11, vcc, 0, v11, vcc
	v_accvgpr_write_b32 a15, v11
	v_accvgpr_write_b32 a14, v10
	s_waitcnt lgkmcnt(0)
	v_cmp_lt_u64_e32 vcc, v[8:9], v[10:11]
	s_and_saveexec_b64 s[62:63], vcc
	s_cbranch_execz .LBB4_187
; %bb.179:                              ;   in Loop: Header=BB4_57 Depth=2
	s_mov_b32 s74, 0
	s_mov_b64 s[64:65], 0
                                        ; implicit-def: $sgpr66_sgpr67
                                        ; implicit-def: $sgpr68_sgpr69
	s_branch .LBB4_181
.LBB4_180:                              ;   in Loop: Header=BB4_181 Depth=3
	s_or_b64 exec, exec, s[72:73]
	s_and_b64 vcc, exec, vcc
	s_or_b64 s[64:65], vcc, s[64:65]
	s_andn2_b64 vcc, s[66:67], exec
	s_and_b64 s[66:67], s[68:69], exec
	s_or_b64 s[66:67], vcc, s[66:67]
	s_andn2_b64 exec, exec, s[64:65]
	s_cbranch_execz .LBB4_185
.LBB4_181:                              ;   Parent Loop BB4_47 Depth=1
                                        ;     Parent Loop BB4_57 Depth=2
                                        ; =>    This Inner Loop Header: Depth=3
	s_add_i32 s74, s74, 1
	s_cmpk_lg_i32 s74, 0x2710
	s_cselect_b64 s[70:71], -1, 0
	s_and_b64 vcc, exec, s[70:71]
                                        ; implicit-def: $sgpr72_sgpr73
	s_cbranch_vccnz .LBB4_183
; %bb.182:                              ;   in Loop: Header=BB4_181 Depth=3
	s_trap 2
	ds_read_b64 v[8:9], v0
	s_andn2_b64 s[70:71], s[70:71], exec
	s_mov_b32 s74, 0
	s_mov_b64 s[72:73], -1
	s_waitcnt vmcnt(0) lgkmcnt(0)
	flat_load_dword v3, v[8:9] glc
	s_waitcnt vmcnt(0) lgkmcnt(0)
	buffer_invl2
	buffer_wbinvl1_vol
	v_cmp_eq_u32_e32 vcc, 0, v3
	s_and_b64 vcc, vcc, exec
	s_or_b64 s[70:71], s[70:71], vcc
.LBB4_183:                              ;   in Loop: Header=BB4_181 Depth=3
	s_andn2_b64 s[68:69], s[68:69], exec
	s_and_b64 s[72:73], s[72:73], exec
	s_mov_b64 vcc, -1
	s_or_b64 s[68:69], s[68:69], s[72:73]
	s_and_saveexec_b64 s[72:73], s[70:71]
	s_cbranch_execz .LBB4_180
; %bb.184:                              ;   in Loop: Header=BB4_181 Depth=3
	s_sleep 1
	s_trap 2
	ds_read_b64 v[8:9], v0
	v_accvgpr_read_b32 v10, a14
	v_accvgpr_read_b32 v11, a15
	s_andn2_b64 s[68:69], s[68:69], exec
	s_waitcnt lgkmcnt(0)
	v_cmp_ge_u64_e32 vcc, v[8:9], v[10:11]
	s_orn2_b64 vcc, vcc, exec
	s_branch .LBB4_180
.LBB4_185:                              ;   in Loop: Header=BB4_57 Depth=2
	s_or_b64 exec, exec, s[64:65]
	s_and_saveexec_b64 vcc, s[66:67]
	s_xor_b64 vcc, exec, vcc
	s_cbranch_execz .LBB4_187
; %bb.186:                              ;   in Loop: Header=BB4_57 Depth=2
	v_mov_b32_e32 v3, 1
	ds_write_b32 v0, v3
	s_trap 2
.LBB4_187:                              ;   in Loop: Header=BB4_57 Depth=2
	s_or_b64 exec, exec, s[62:63]
	;;#ASMSTART
	s_wakeup
	;;#ASMEND
.LBB4_188:                              ;   in Loop: Header=BB4_57 Depth=2
	s_or_b64 exec, exec, s[60:61]
.LBB4_189:                              ;   in Loop: Header=BB4_57 Depth=2
	s_andn2_saveexec_b64 vcc, s[58:59]
	s_cbranch_execz .LBB4_191
; %bb.190:                              ;   in Loop: Header=BB4_57 Depth=2
	;;#ASMSTART
	s_waitcnt lgkmcnt(0) vmcnt(0)
	;;#ASMEND
	s_barrier
.LBB4_191:                              ;   in Loop: Header=BB4_57 Depth=2
	s_or_b64 exec, exec, vcc
	v_and_b32_e32 v3, 16, v34
	s_or_b64 exec, exec, s[26:27]
	v_cmp_ne_u32_e32 vcc, 0, v3
	s_and_saveexec_b64 s[26:27], vcc
	s_cbranch_execz .LBB4_56
.LBB4_192:                              ;   in Loop: Header=BB4_57 Depth=2
	s_and_saveexec_b64 vcc, s[14:15]
	s_cbranch_execz .LBB4_55
; %bb.193:                              ;   in Loop: Header=BB4_57 Depth=2
	v_accvgpr_read_b32 v8, a22
	v_accvgpr_read_b32 v9, a23
	v_mov_b32_e32 v3, 1
	flat_store_dword v[8:9], v3
	s_branch .LBB4_55
.LBB4_194:                              ;   in Loop: Header=BB4_47 Depth=1
	s_or_b64 exec, exec, s[30:31]
.LBB4_195:                              ;   in Loop: Header=BB4_47 Depth=1
	s_or_b64 exec, exec, s[28:29]
	v_cmp_gt_i32_e32 vcc, 2, v3
	s_and_saveexec_b64 s[28:29], vcc
	s_cbranch_execz .LBB4_267
; %bb.196:                              ;   in Loop: Header=BB4_47 Depth=1
	v_cmp_eq_u32_e64 s[26:27], 0, v3
	s_mov_b64 s[30:31], 0
	s_branch .LBB4_199
.LBB4_197:                              ;   in Loop: Header=BB4_199 Depth=2
	s_or_b64 exec, exec, vcc
	v_accvgpr_read_b32 v4, a10
	v_accvgpr_read_b32 v5, a11
	v_add_co_u32_e32 v4, vcc, 2, v4
	v_addc_co_u32_e32 v5, vcc, 0, v5, vcc
	v_accvgpr_write_b32 a11, v5
	v_accvgpr_read_b32 v8, a16
	v_accvgpr_write_b32 a10, v4
	v_accvgpr_read_b32 v9, a17
	flat_store_dwordx2 v[8:9], v[4:5]
.LBB4_198:                              ;   in Loop: Header=BB4_199 Depth=2
	s_or_b64 exec, exec, s[26:27]
	v_add_u32_e32 v7, v2, v7
	s_mov_b64 s[26:27], 0
	s_andn2_b64 exec, exec, s[30:31]
	s_cbranch_execz .LBB4_266
.LBB4_199:                              ;   Parent Loop BB4_47 Depth=1
                                        ; =>  This Loop Header: Depth=2
                                        ;       Child Loop BB4_205 Depth 3
                                        ;       Child Loop BB4_234 Depth 3
	;; [unrolled: 1-line block ×3, first 2 shown]
	v_and_b32_e32 v3, 8, v34
	s_mov_b64 s[58:59], -1
	v_cmp_ne_u32_e32 vcc, 0, v3
	s_and_saveexec_b64 s[34:35], vcc
	s_cbranch_execz .LBB4_211
; %bb.200:                              ;   in Loop: Header=BB4_199 Depth=2
	v_add_co_u32_e32 v8, vcc, 8, v48
	v_addc_co_u32_e32 v9, vcc, 0, v49, vcc
	v_accvgpr_read_b32 v4, a10
	v_accvgpr_read_b32 v5, a11
	v_add_co_u32_e32 v4, vcc, 2, v4
	v_addc_co_u32_e32 v5, vcc, 0, v5, vcc
	v_cmp_lt_u64_e32 vcc, v[8:9], v[4:5]
	v_mov_b32_e32 v3, 1
	s_and_saveexec_b64 s[58:59], vcc
	s_cbranch_execz .LBB4_210
; %bb.201:                              ;   in Loop: Header=BB4_199 Depth=2
	s_mov_b64 s[60:61], 0
	v_mov_b32_e32 v3, 0
                                        ; implicit-def: $sgpr62_sgpr63
	s_branch .LBB4_205
.LBB4_202:                              ;   in Loop: Header=BB4_205 Depth=3
	s_or_b64 exec, exec, s[70:71]
	v_mov_b32_e32 v8, 0
	s_orn2_b64 s[68:69], s[68:69], exec
.LBB4_203:                              ;   in Loop: Header=BB4_205 Depth=3
	s_or_b64 exec, exec, s[66:67]
	s_andn2_b64 vcc, s[62:63], exec
	s_and_b64 s[62:63], s[68:69], exec
	s_or_b64 s[62:63], vcc, s[62:63]
	v_mov_b32_e32 v3, v8
.LBB4_204:                              ;   in Loop: Header=BB4_205 Depth=3
	s_or_b64 exec, exec, s[64:65]
	s_waitcnt vmcnt(0) lgkmcnt(0)
	v_add_co_u32_e32 v8, vcc, 8, v48
	v_addc_co_u32_e32 v9, vcc, 0, v49, vcc
	v_cmp_ge_u64_e32 vcc, v[8:9], v[4:5]
	s_xor_b64 s[64:65], s[62:63], -1
	s_or_b64 vcc, s[64:65], vcc
	s_and_b64 vcc, exec, vcc
	s_or_b64 s[60:61], vcc, s[60:61]
	s_andn2_b64 exec, exec, s[60:61]
	s_cbranch_execz .LBB4_209
.LBB4_205:                              ;   Parent Loop BB4_47 Depth=1
                                        ;     Parent Loop BB4_199 Depth=2
                                        ; =>    This Inner Loop Header: Depth=3
	v_accvgpr_read_b32 v8, a16
	v_accvgpr_read_b32 v9, a17
	s_sleep 1
	flat_load_dwordx2 v[48:49], v[8:9] glc
	v_and_b32_e32 v8, 64, v34
	v_cmp_eq_u32_e32 vcc, 0, v8
	s_andn2_b64 s[62:63], s[62:63], exec
	s_and_saveexec_b64 s[64:65], vcc
	s_cbranch_execz .LBB4_204
; %bb.206:                              ;   in Loop: Header=BB4_205 Depth=3
	v_add_u32_e32 v8, 1, v3
	v_cmp_lt_i32_e32 vcc, s91, v3
	s_mov_b64 s[68:69], -1
	s_and_saveexec_b64 s[66:67], vcc
	s_cbranch_execz .LBB4_203
; %bb.207:                              ;   in Loop: Header=BB4_205 Depth=3
	s_trap 2
	ds_read_b64 v[8:9], v0
	s_waitcnt vmcnt(0) lgkmcnt(0)
	flat_load_dword v3, v[8:9] glc
	s_waitcnt vmcnt(0) lgkmcnt(0)
	buffer_invl2
	buffer_wbinvl1_vol
	v_cmp_ne_u32_e32 vcc, 0, v3
	s_and_saveexec_b64 s[70:71], vcc
	s_cbranch_execz .LBB4_202
; %bb.208:                              ;   in Loop: Header=BB4_205 Depth=3
	v_or_b32_e32 v34, 64, v34
	s_xor_b64 s[68:69], exec, -1
	ds_write_b32 v0, v3
	s_trap 2
	s_branch .LBB4_202
.LBB4_209:                              ;   in Loop: Header=BB4_199 Depth=2
	s_or_b64 exec, exec, s[60:61]
	v_and_b32_e32 v3, 8, v34
.LBB4_210:                              ;   in Loop: Header=BB4_199 Depth=2
	s_or_b64 exec, exec, s[58:59]
	v_cmp_eq_u32_e32 vcc, 0, v3
	s_orn2_b64 s[58:59], vcc, exec
	;;#ASMSTART
	s_wakeup
	;;#ASMEND
.LBB4_211:                              ;   in Loop: Header=BB4_199 Depth=2
	s_or_b64 exec, exec, s[34:35]
	s_xor_b64 s[26:27], s[26:27], -1
	s_and_b64 s[26:27], exec, s[26:27]
	s_or_b64 s[30:31], s[26:27], s[30:31]
	v_sub_u32_e32 v3, v0, v7
	s_xor_b64 s[26:27], s[58:59], -1
	v_min_i32_e32 v2, v2, v3
	s_and_saveexec_b64 s[34:35], s[26:27]
	s_cbranch_execz .LBB4_226
; %bb.212:                              ;   in Loop: Header=BB4_199 Depth=2
	v_and_b32_e32 v3, 0x100, v34
	v_accvgpr_read_b32 v4, a10
	v_cmp_ne_u32_e32 vcc, 0, v3
	v_accvgpr_read_b32 v5, a11
	v_and_b32_e32 v10, 7, v4
	s_mov_b64 s[26:27], -1
                                        ; implicit-def: $vgpr4_vgpr5
	s_and_saveexec_b64 s[58:59], vcc
	s_cbranch_execz .LBB4_216
; %bb.213:                              ;   in Loop: Header=BB4_199 Depth=2
	v_accvgpr_read_b32 v4, a12
	v_accvgpr_read_b32 v5, a13
	v_mad_u64_u32 v[8:9], s[26:27], v10, 24, v[4:5]
	flat_load_dword v4, v[8:9]
	v_ashrrev_i32_e32 v3, 31, v2
	flat_store_dwordx2 v[8:9], v[2:3] offset:8
	s_waitcnt vmcnt(0) lgkmcnt(0)
	v_cmp_ne_u32_e32 vcc, 1, v4
	v_cmp_eq_u32_e64 s[26:27], 1, v4
                                        ; implicit-def: $vgpr4_vgpr5
	s_and_saveexec_b64 s[60:61], s[26:27]
	s_cbranch_execz .LBB4_215
; %bb.214:                              ;   in Loop: Header=BB4_199 Depth=2
	flat_load_dword v4, v[8:9] offset:4 glc
	s_waitcnt vmcnt(0) lgkmcnt(0)
	v_ashrrev_i32_e32 v5, 31, v4
.LBB4_215:                              ;   in Loop: Header=BB4_199 Depth=2
	s_or_b64 exec, exec, s[60:61]
	s_orn2_b64 s[26:27], vcc, exec
.LBB4_216:                              ;   in Loop: Header=BB4_199 Depth=2
	s_or_b64 exec, exec, s[58:59]
	s_and_saveexec_b64 vcc, s[26:27]
; %bb.217:                              ;   in Loop: Header=BB4_199 Depth=2
	v_accvgpr_read_b32 v4, a18
	v_mad_i64_i32 v[4:5], s[26:27], v10, v4, 0
; %bb.218:                              ;   in Loop: Header=BB4_199 Depth=2
	s_or_b64 exec, exec, vcc
	v_accvgpr_read_b32 v8, a20
	v_accvgpr_read_b32 v9, a21
	v_add_co_u32_e32 v4, vcc, v8, v4
	v_addc_co_u32_e32 v5, vcc, v9, v5, vcc
	v_and_b32_e32 v3, 0x2000, v34
	v_cmp_ne_u32_e32 vcc, 0, v3
	ds_write_b64 v0, v[4:5] offset:784
	s_and_saveexec_b64 s[26:27], vcc
	s_cbranch_execz .LBB4_220
; %bb.219:                              ;   in Loop: Header=BB4_199 Depth=2
	ds_read_b64 v[4:5], v0 offset:584
	s_waitcnt lgkmcnt(0)
	v_add_co_u32_e32 v4, vcc, 1, v4
	v_addc_co_u32_e32 v5, vcc, 0, v5, vcc
	ds_write_b64 v0, v[4:5] offset:584
.LBB4_220:                              ;   in Loop: Header=BB4_199 Depth=2
	s_or_b64 exec, exec, s[26:27]
	v_accvgpr_read_b32 v4, a10
	v_accvgpr_read_b32 v5, a11
	v_add_co_u32_e32 v4, vcc, 2, v4
	v_addc_co_u32_e32 v5, vcc, 0, v5, vcc
	v_accvgpr_write_b32 a11, v5
	v_accvgpr_write_b32 a10, v4
	s_or_b64 exec, exec, s[34:35]
	s_and_saveexec_b64 s[26:27], s[10:11]
	s_cbranch_execnz .LBB4_227
.LBB4_221:                              ;   in Loop: Header=BB4_199 Depth=2
	s_or_b64 exec, exec, s[26:27]
                                        ; implicit-def: $vgpr3
	s_and_saveexec_b64 s[26:27], s[24:25]
	s_xor_b64 s[26:27], exec, s[26:27]
	s_cbranch_execz .LBB4_245
.LBB4_222:                              ;   in Loop: Header=BB4_199 Depth=2
	s_trap 2
	ds_read_b32 v4, v0
	v_cmp_lt_i32_e32 vcc, 0, v2
	v_and_b32_e32 v5, 16, v34
	v_and_b32_e32 v3, 16, v34
	s_waitcnt lgkmcnt(0)
	v_readfirstlane_b32 s34, v4
	s_cmp_eq_u32 s34, 0
	s_cselect_b64 s[34:35], -1, 0
	s_and_b64 s[34:35], vcc, s[34:35]
	v_cmp_ne_u32_e32 vcc, 0, v5
	s_and_b64 s[34:35], vcc, s[34:35]
	s_and_saveexec_b64 vcc, s[34:35]
	s_cbranch_execz .LBB4_224
; %bb.223:                              ;   in Loop: Header=BB4_199 Depth=2
	v_mov_b32_e32 v3, 1
	s_waitcnt vmcnt(0)
	buffer_wbinvl1_vol
.LBB4_224:                              ;   in Loop: Header=BB4_199 Depth=2
	s_or_b64 exec, exec, vcc
	s_andn2_saveexec_b64 s[26:27], s[26:27]
	s_cbranch_execnz .LBB4_246
.LBB4_225:                              ;   in Loop: Header=BB4_199 Depth=2
	s_or_b64 exec, exec, s[26:27]
	v_cmp_ne_u32_e32 vcc, 0, v3
	s_and_saveexec_b64 s[26:27], vcc
	s_cbranch_execz .LBB4_198
	s_branch .LBB4_264
.LBB4_226:                              ;   in Loop: Header=BB4_199 Depth=2
	s_or_b64 exec, exec, s[34:35]
	s_and_saveexec_b64 s[26:27], s[10:11]
	s_cbranch_execz .LBB4_221
.LBB4_227:                              ;   in Loop: Header=BB4_199 Depth=2
	s_and_saveexec_b64 vcc, s[44:45]
	s_xor_b64 s[34:35], exec, vcc
	s_cbranch_execz .LBB4_242
; %bb.228:                              ;   in Loop: Header=BB4_199 Depth=2
	s_and_saveexec_b64 s[58:59], s[16:17]
	s_cbranch_execz .LBB4_241
; %bb.229:                              ;   in Loop: Header=BB4_199 Depth=2
	s_mov_b64 s[62:63], exec
	v_mbcnt_lo_u32_b32 v3, s62, 0
	v_mbcnt_hi_u32_b32 v3, s63, v3
	v_cmp_eq_u32_e32 vcc, 0, v3
	s_waitcnt vmcnt(0) lgkmcnt(0)
	buffer_wbinvl1_vol
	s_and_saveexec_b64 s[60:61], vcc
	s_cbranch_execz .LBB4_231
; %bb.230:                              ;   in Loop: Header=BB4_199 Depth=2
	s_bcnt1_i32_b64 vcc_lo, s[62:63]
	v_mov_b32_e32 v42, vcc_lo
	ds_add_u64 v0, v[42:43]
	s_trap 2
.LBB4_231:                              ;   in Loop: Header=BB4_199 Depth=2
	s_or_b64 exec, exec, s[60:61]
	s_trap 2
	ds_read_b64 v[4:5], v0
	v_accvgpr_read_b32 v8, a14
	v_accvgpr_read_b32 v9, a15
	v_add_co_u32_e32 v8, vcc, v8, v46
	v_addc_co_u32_e32 v9, vcc, 0, v9, vcc
	v_accvgpr_write_b32 a15, v9
	v_accvgpr_write_b32 a14, v8
	s_waitcnt lgkmcnt(0)
	v_cmp_lt_u64_e32 vcc, v[4:5], v[8:9]
	s_and_saveexec_b64 s[60:61], vcc
	s_cbranch_execz .LBB4_240
; %bb.232:                              ;   in Loop: Header=BB4_199 Depth=2
	s_mov_b32 s47, 0
	s_mov_b64 s[62:63], 0
                                        ; implicit-def: $sgpr64_sgpr65
                                        ; implicit-def: $sgpr66_sgpr67
	s_branch .LBB4_234
.LBB4_233:                              ;   in Loop: Header=BB4_234 Depth=3
	s_or_b64 exec, exec, s[70:71]
	s_and_b64 vcc, exec, vcc
	s_or_b64 s[62:63], vcc, s[62:63]
	s_andn2_b64 vcc, s[64:65], exec
	s_and_b64 s[64:65], s[66:67], exec
	s_or_b64 s[64:65], vcc, s[64:65]
	s_andn2_b64 exec, exec, s[62:63]
	s_cbranch_execz .LBB4_238
.LBB4_234:                              ;   Parent Loop BB4_47 Depth=1
                                        ;     Parent Loop BB4_199 Depth=2
                                        ; =>    This Inner Loop Header: Depth=3
	s_add_i32 s47, s47, 1
	s_cmpk_lg_i32 s47, 0x2710
	s_cselect_b64 s[68:69], -1, 0
	s_and_b64 vcc, exec, s[68:69]
                                        ; implicit-def: $sgpr70_sgpr71
	s_cbranch_vccnz .LBB4_236
; %bb.235:                              ;   in Loop: Header=BB4_234 Depth=3
	s_trap 2
	ds_read_b64 v[4:5], v0
	s_andn2_b64 s[68:69], s[68:69], exec
	s_mov_b32 s47, 0
	s_mov_b64 s[70:71], -1
	s_waitcnt lgkmcnt(0)
	flat_load_dword v3, v[4:5] glc
	s_waitcnt vmcnt(0) lgkmcnt(0)
	buffer_invl2
	buffer_wbinvl1_vol
	v_cmp_eq_u32_e32 vcc, 0, v3
	s_and_b64 vcc, vcc, exec
	s_or_b64 s[68:69], s[68:69], vcc
.LBB4_236:                              ;   in Loop: Header=BB4_234 Depth=3
	s_andn2_b64 s[66:67], s[66:67], exec
	s_and_b64 s[70:71], s[70:71], exec
	s_mov_b64 vcc, -1
	s_or_b64 s[66:67], s[66:67], s[70:71]
	s_and_saveexec_b64 s[70:71], s[68:69]
	s_cbranch_execz .LBB4_233
; %bb.237:                              ;   in Loop: Header=BB4_234 Depth=3
	s_sleep 1
	s_trap 2
	ds_read_b64 v[4:5], v0
	v_accvgpr_read_b32 v8, a14
	v_accvgpr_read_b32 v9, a15
	s_andn2_b64 s[66:67], s[66:67], exec
	s_waitcnt lgkmcnt(0)
	v_cmp_ge_u64_e32 vcc, v[4:5], v[8:9]
	s_orn2_b64 vcc, vcc, exec
	s_branch .LBB4_233
.LBB4_238:                              ;   in Loop: Header=BB4_199 Depth=2
	s_or_b64 exec, exec, s[62:63]
	s_and_saveexec_b64 vcc, s[64:65]
	s_xor_b64 vcc, exec, vcc
	s_cbranch_execz .LBB4_240
; %bb.239:                              ;   in Loop: Header=BB4_199 Depth=2
	v_mov_b32_e32 v3, 1
	ds_write_b32 v0, v3
	s_trap 2
.LBB4_240:                              ;   in Loop: Header=BB4_199 Depth=2
	s_or_b64 exec, exec, s[60:61]
	;;#ASMSTART
	s_wakeup
	;;#ASMEND
.LBB4_241:                              ;   in Loop: Header=BB4_199 Depth=2
	s_or_b64 exec, exec, s[58:59]
.LBB4_242:                              ;   in Loop: Header=BB4_199 Depth=2
	s_andn2_saveexec_b64 vcc, s[34:35]
	s_cbranch_execz .LBB4_244
; %bb.243:                              ;   in Loop: Header=BB4_199 Depth=2
	s_waitcnt vmcnt(0) lgkmcnt(0)
	buffer_wbinvl1_vol
	s_barrier
.LBB4_244:                              ;   in Loop: Header=BB4_199 Depth=2
	s_or_b64 exec, exec, vcc
	s_or_b64 exec, exec, s[26:27]
                                        ; implicit-def: $vgpr3
	s_and_saveexec_b64 s[26:27], s[24:25]
	s_xor_b64 s[26:27], exec, s[26:27]
	s_cbranch_execnz .LBB4_222
.LBB4_245:                              ;   in Loop: Header=BB4_199 Depth=2
	s_andn2_saveexec_b64 s[26:27], s[26:27]
	s_cbranch_execz .LBB4_225
.LBB4_246:                              ;   in Loop: Header=BB4_199 Depth=2
	s_and_saveexec_b64 vcc, s[44:45]
	s_xor_b64 s[34:35], exec, vcc
	s_cbranch_execz .LBB4_261
; %bb.247:                              ;   in Loop: Header=BB4_199 Depth=2
	s_and_saveexec_b64 s[58:59], s[16:17]
	s_cbranch_execz .LBB4_260
; %bb.248:                              ;   in Loop: Header=BB4_199 Depth=2
	s_mov_b64 s[62:63], exec
	v_mbcnt_lo_u32_b32 v3, s62, 0
	v_mbcnt_hi_u32_b32 v3, s63, v3
	v_cmp_eq_u32_e32 vcc, 0, v3
	;;#ASMSTART
	s_waitcnt lgkmcnt(0) vmcnt(0)
	;;#ASMEND
	s_and_saveexec_b64 s[60:61], vcc
	s_cbranch_execz .LBB4_250
; %bb.249:                              ;   in Loop: Header=BB4_199 Depth=2
	s_bcnt1_i32_b64 vcc_lo, s[62:63]
	v_mov_b32_e32 v42, vcc_lo
	ds_add_u64 v0, v[42:43]
	s_trap 2
.LBB4_250:                              ;   in Loop: Header=BB4_199 Depth=2
	s_or_b64 exec, exec, s[60:61]
	s_trap 2
	ds_read_b64 v[4:5], v0
	v_accvgpr_read_b32 v8, a14
	v_accvgpr_read_b32 v9, a15
	v_add_co_u32_e32 v8, vcc, v8, v46
	v_addc_co_u32_e32 v9, vcc, 0, v9, vcc
	v_accvgpr_write_b32 a15, v9
	v_accvgpr_write_b32 a14, v8
	s_waitcnt lgkmcnt(0)
	v_cmp_lt_u64_e32 vcc, v[4:5], v[8:9]
	s_and_saveexec_b64 s[60:61], vcc
	s_cbranch_execz .LBB4_259
; %bb.251:                              ;   in Loop: Header=BB4_199 Depth=2
	s_mov_b32 s47, 0
	s_mov_b64 s[62:63], 0
                                        ; implicit-def: $sgpr64_sgpr65
                                        ; implicit-def: $sgpr66_sgpr67
	s_branch .LBB4_253
.LBB4_252:                              ;   in Loop: Header=BB4_253 Depth=3
	s_or_b64 exec, exec, s[70:71]
	s_and_b64 vcc, exec, vcc
	s_or_b64 s[62:63], vcc, s[62:63]
	s_andn2_b64 vcc, s[64:65], exec
	s_and_b64 s[64:65], s[66:67], exec
	s_or_b64 s[64:65], vcc, s[64:65]
	s_andn2_b64 exec, exec, s[62:63]
	s_cbranch_execz .LBB4_257
.LBB4_253:                              ;   Parent Loop BB4_47 Depth=1
                                        ;     Parent Loop BB4_199 Depth=2
                                        ; =>    This Inner Loop Header: Depth=3
	s_add_i32 s47, s47, 1
	s_cmpk_lg_i32 s47, 0x2710
	s_cselect_b64 s[68:69], -1, 0
	s_and_b64 vcc, exec, s[68:69]
                                        ; implicit-def: $sgpr70_sgpr71
	s_cbranch_vccnz .LBB4_255
; %bb.254:                              ;   in Loop: Header=BB4_253 Depth=3
	s_trap 2
	ds_read_b64 v[4:5], v0
	s_andn2_b64 s[68:69], s[68:69], exec
	s_mov_b32 s47, 0
	s_mov_b64 s[70:71], -1
	s_waitcnt vmcnt(0) lgkmcnt(0)
	flat_load_dword v3, v[4:5] glc
	s_waitcnt vmcnt(0) lgkmcnt(0)
	buffer_invl2
	buffer_wbinvl1_vol
	v_cmp_eq_u32_e32 vcc, 0, v3
	s_and_b64 vcc, vcc, exec
	s_or_b64 s[68:69], s[68:69], vcc
.LBB4_255:                              ;   in Loop: Header=BB4_253 Depth=3
	s_andn2_b64 s[66:67], s[66:67], exec
	s_and_b64 s[70:71], s[70:71], exec
	s_mov_b64 vcc, -1
	s_or_b64 s[66:67], s[66:67], s[70:71]
	s_and_saveexec_b64 s[70:71], s[68:69]
	s_cbranch_execz .LBB4_252
; %bb.256:                              ;   in Loop: Header=BB4_253 Depth=3
	s_sleep 1
	s_trap 2
	ds_read_b64 v[4:5], v0
	v_accvgpr_read_b32 v8, a14
	v_accvgpr_read_b32 v9, a15
	s_andn2_b64 s[66:67], s[66:67], exec
	s_waitcnt lgkmcnt(0)
	v_cmp_ge_u64_e32 vcc, v[4:5], v[8:9]
	s_orn2_b64 vcc, vcc, exec
	s_branch .LBB4_252
.LBB4_257:                              ;   in Loop: Header=BB4_199 Depth=2
	s_or_b64 exec, exec, s[62:63]
	s_and_saveexec_b64 vcc, s[64:65]
	s_xor_b64 vcc, exec, vcc
	s_cbranch_execz .LBB4_259
; %bb.258:                              ;   in Loop: Header=BB4_199 Depth=2
	v_mov_b32_e32 v3, 1
	ds_write_b32 v0, v3
	s_trap 2
.LBB4_259:                              ;   in Loop: Header=BB4_199 Depth=2
	s_or_b64 exec, exec, s[60:61]
	;;#ASMSTART
	s_wakeup
	;;#ASMEND
.LBB4_260:                              ;   in Loop: Header=BB4_199 Depth=2
	s_or_b64 exec, exec, s[58:59]
.LBB4_261:                              ;   in Loop: Header=BB4_199 Depth=2
	s_andn2_saveexec_b64 vcc, s[34:35]
	s_cbranch_execz .LBB4_263
; %bb.262:                              ;   in Loop: Header=BB4_199 Depth=2
	;;#ASMSTART
	s_waitcnt lgkmcnt(0) vmcnt(0)
	;;#ASMEND
	s_barrier
.LBB4_263:                              ;   in Loop: Header=BB4_199 Depth=2
	s_or_b64 exec, exec, vcc
	v_and_b32_e32 v3, 16, v34
	s_or_b64 exec, exec, s[26:27]
	v_cmp_ne_u32_e32 vcc, 0, v3
	s_and_saveexec_b64 s[26:27], vcc
	s_cbranch_execz .LBB4_198
.LBB4_264:                              ;   in Loop: Header=BB4_199 Depth=2
	s_and_saveexec_b64 vcc, s[14:15]
	s_cbranch_execz .LBB4_197
; %bb.265:                              ;   in Loop: Header=BB4_199 Depth=2
	v_accvgpr_read_b32 v4, a22
	v_accvgpr_read_b32 v5, a23
	v_mov_b32_e32 v3, 1
	flat_store_dword v[4:5], v3
	s_branch .LBB4_197
.LBB4_266:                              ;   in Loop: Header=BB4_47 Depth=1
	s_or_b64 exec, exec, s[30:31]
.LBB4_267:                              ;   in Loop: Header=BB4_47 Depth=1
	s_or_b64 exec, exec, s[28:29]
	v_readlane_b32 s26, v61, 10
	v_readlane_b32 s27, v61, 11
	v_cndmask_b32_e64 v0, 0, 1, s[26:27]
	v_cmp_ne_u32_e64 s[28:29], 1, v0
	v_writelane_b32 v61, s28, 13
	v_writelane_b32 v61, s29, 14
	s_andn2_b64 vcc, exec, s[26:27]
	s_cbranch_vccnz .LBB4_3261
; %bb.268:                              ;   in Loop: Header=BB4_47 Depth=1
	s_mov_b32 s47, 2
	s_branch .LBB4_271
.LBB4_269:                              ;   in Loop: Header=BB4_271 Depth=2
	s_or_b64 exec, exec, s[34:35]
.LBB4_270:                              ;   in Loop: Header=BB4_271 Depth=2
	s_or_b64 exec, exec, s[30:31]
	s_add_i32 s47, s47, 1
	s_cmp_eq_u32 s47, s78
	s_cbranch_scc1 .LBB4_3260
.LBB4_271:                              ;   Parent Loop BB4_47 Depth=1
                                        ; =>  This Loop Header: Depth=2
                                        ;       Child Loop BB4_274 Depth 3
                                        ;         Child Loop BB4_282 Depth 4
                                        ;         Child Loop BB4_308 Depth 4
	;; [unrolled: 1-line block ×9, first 2 shown]
                                        ;       Child Loop BB4_3190 Depth 3
                                        ;         Child Loop BB4_3196 Depth 4
                                        ;         Child Loop BB4_3234 Depth 4
	;; [unrolled: 1-line block ×3, first 2 shown]
	s_sub_i32 s26, s84, s47
	s_cmp_le_i32 s78, s26
	s_cselect_b32 s27, s78, 0
	s_sub_i32 s26, s26, s27
	v_accvgpr_read_b32 v4, a48
	s_ashr_i32 s27, s26, 31
	v_accvgpr_read_b32 v5, a49
	v_mul_lo_u32 v0, v4, s27
	v_mul_lo_u32 v2, v5, s26
	v_mad_u64_u32 v[8:9], s[28:29], v4, s26, 0
	v_add3_u32 v9, v9, v0, v2
	v_accvgpr_read_b32 v2, a50
	v_accvgpr_read_b32 v3, a51
	v_sub_co_u32_e32 v2, vcc, v2, v8
	v_subb_co_u32_e32 v3, vcc, v3, v9, vcc
	v_cmp_lt_i64_e32 vcc, v[4:5], v[2:3]
	v_cndmask_b32_e32 v0, v2, v4, vcc
	v_max_i32_e32 v31, 0, v0
	v_add_u32_e32 v2, 31, v31
	v_lshrrev_b32_e32 v2, 1, v2
	v_accvgpr_write_b32 a57, v9
	v_and_b32_e32 v2, 0x3ffffff0, v2
	v_cmp_lt_i32_e32 vcc, 0, v0
	v_accvgpr_write_b32 a56, v8
	v_max_i32_e32 v2, s87, v2
	s_and_b64 s[28:29], s[50:51], vcc
	v_mov_b32_e32 v0, 0
	v_mov_b32_e32 v29, 0
	s_and_saveexec_b64 s[58:59], s[28:29]
	s_cbranch_execz .LBB4_3186
; %bb.272:                              ;   in Loop: Header=BB4_271 Depth=2
	s_mov_b32 s85, 1
	s_mov_b64 s[62:63], -1
	s_mov_b64 s[60:61], 0
	v_mov_b32_e32 v29, 0
	s_branch .LBB4_274
.LBB4_273:                              ;   in Loop: Header=BB4_274 Depth=3
	s_or_b64 exec, exec, s[28:29]
	v_add_u32_e32 v29, v2, v29
	v_cmp_ge_i32_e32 vcc, v29, v31
	s_xor_b64 s[26:27], s[62:63], -1
	s_or_b64 s[26:27], s[26:27], vcc
	s_and_b64 s[26:27], exec, s[26:27]
	s_or_b64 s[60:61], s[26:27], s[60:61]
	s_mov_b64 s[62:63], 0
	v_mov_b32_e32 v0, s85
	s_mov_b32 s85, 2
	s_andn2_b64 exec, exec, s[60:61]
	s_cbranch_execz .LBB4_3187
.LBB4_274:                              ;   Parent Loop BB4_47 Depth=1
                                        ;     Parent Loop BB4_271 Depth=2
                                        ; =>    This Loop Header: Depth=3
                                        ;         Child Loop BB4_282 Depth 4
                                        ;         Child Loop BB4_308 Depth 4
	;; [unrolled: 1-line block ×9, first 2 shown]
	s_and_saveexec_b64 s[28:29], s[4:5]
	s_cbranch_execz .LBB4_276
; %bb.275:                              ;   in Loop: Header=BB4_274 Depth=3
	s_trap 2
	ds_read_b64 v[4:5], v0
	v_accvgpr_read_b32 v0, a43
	v_accvgpr_read_b32 v3, a52
	v_mov_b32_e32 v42, v43
	s_waitcnt lgkmcnt(0)
	v_add_co_u32_e32 v0, vcc, v4, v0
	v_addc_co_u32_e32 v3, vcc, v5, v3, vcc
	v_accvgpr_read_b32 v4, a56
	v_accvgpr_read_b32 v5, a57
	v_add_co_u32_e32 v0, vcc, v0, v4
	v_addc_co_u32_e32 v3, vcc, v3, v5, vcc
	v_ashrrev_i32_e32 v5, 31, v29
	v_add_co_u32_e32 v4, vcc, v0, v29
	v_addc_co_u32_e32 v5, vcc, v3, v5, vcc
	ds_write_b64 v0, v[4:5]
	ds_write_b64 v0, v[42:43]
.LBB4_276:                              ;   in Loop: Header=BB4_274 Depth=3
	s_or_b64 exec, exec, s[28:29]
	v_and_b32_e32 v0, 12, v34
	v_cmp_ne_u32_e32 vcc, 0, v0
	s_mov_b64 s[30:31], -1
	s_and_saveexec_b64 s[28:29], vcc
	s_cbranch_execz .LBB4_288
; %bb.277:                              ;   in Loop: Header=BB4_274 Depth=3
	v_and_b32_e32 v4, 8, v34
	v_add_co_u32_e32 v10, vcc, v48, v4
	v_addc_co_u32_e32 v11, vcc, 0, v49, vcc
	v_accvgpr_read_b32 v8, a10
	v_accvgpr_read_b32 v9, a11
	v_add_co_u32_e32 v8, vcc, 2, v8
	v_addc_co_u32_e32 v9, vcc, 0, v9, vcc
	v_cmp_lt_u64_e32 vcc, v[10:11], v[8:9]
	v_mov_b32_e32 v0, 1
	s_and_saveexec_b64 s[30:31], vcc
	s_cbranch_execz .LBB4_287
; %bb.278:                              ;   in Loop: Header=BB4_274 Depth=3
	s_mov_b64 s[34:35], 0
	v_mov_b32_e32 v0, 0
                                        ; implicit-def: $sgpr64_sgpr65
	s_branch .LBB4_282
.LBB4_279:                              ;   in Loop: Header=BB4_282 Depth=4
	s_or_b64 exec, exec, s[72:73]
	v_mov_b32_e32 v3, 0
	s_orn2_b64 s[70:71], s[70:71], exec
.LBB4_280:                              ;   in Loop: Header=BB4_282 Depth=4
	s_or_b64 exec, exec, s[68:69]
	s_andn2_b64 vcc, s[64:65], exec
	s_and_b64 s[64:65], s[70:71], exec
	s_or_b64 s[64:65], vcc, s[64:65]
	v_mov_b32_e32 v0, v3
.LBB4_281:                              ;   in Loop: Header=BB4_282 Depth=4
	s_or_b64 exec, exec, s[66:67]
	s_waitcnt vmcnt(0) lgkmcnt(0)
	v_add_co_u32_e32 v10, vcc, v48, v4
	v_addc_co_u32_e32 v11, vcc, 0, v49, vcc
	v_cmp_ge_u64_e32 vcc, v[10:11], v[8:9]
	s_xor_b64 s[66:67], s[64:65], -1
	s_or_b64 vcc, s[66:67], vcc
	s_and_b64 vcc, exec, vcc
	s_or_b64 s[34:35], vcc, s[34:35]
	s_andn2_b64 exec, exec, s[34:35]
	s_cbranch_execz .LBB4_286
.LBB4_282:                              ;   Parent Loop BB4_47 Depth=1
                                        ;     Parent Loop BB4_271 Depth=2
                                        ;       Parent Loop BB4_274 Depth=3
                                        ; =>      This Inner Loop Header: Depth=4
	v_accvgpr_read_b32 v10, a16
	v_accvgpr_read_b32 v11, a17
	s_sleep 1
	flat_load_dwordx2 v[48:49], v[10:11] glc
	v_and_b32_e32 v3, 64, v34
	v_cmp_eq_u32_e32 vcc, 0, v3
	s_andn2_b64 s[64:65], s[64:65], exec
	s_and_saveexec_b64 s[66:67], vcc
	s_cbranch_execz .LBB4_281
; %bb.283:                              ;   in Loop: Header=BB4_282 Depth=4
	v_add_u32_e32 v3, 1, v0
	v_cmp_lt_i32_e32 vcc, s91, v0
	s_mov_b64 s[70:71], -1
	s_and_saveexec_b64 s[68:69], vcc
	s_cbranch_execz .LBB4_280
; %bb.284:                              ;   in Loop: Header=BB4_282 Depth=4
	s_trap 2
	ds_read_b64 v[10:11], v0
	s_waitcnt vmcnt(0) lgkmcnt(0)
	flat_load_dword v0, v[10:11] glc
	s_waitcnt vmcnt(0) lgkmcnt(0)
	buffer_invl2
	buffer_wbinvl1_vol
	v_cmp_ne_u32_e32 vcc, 0, v0
	s_and_saveexec_b64 s[72:73], vcc
	s_cbranch_execz .LBB4_279
; %bb.285:                              ;   in Loop: Header=BB4_282 Depth=4
	v_or_b32_e32 v34, 64, v34
	s_xor_b64 s[70:71], exec, -1
	ds_write_b32 v0, v0
	s_trap 2
	s_branch .LBB4_279
.LBB4_286:                              ;   in Loop: Header=BB4_274 Depth=3
	s_or_b64 exec, exec, s[34:35]
	v_and_b32_e32 v0, 12, v34
.LBB4_287:                              ;   in Loop: Header=BB4_274 Depth=3
	s_or_b64 exec, exec, s[30:31]
	v_cmp_eq_u32_e32 vcc, 0, v0
	s_orn2_b64 s[30:31], vcc, exec
	;;#ASMSTART
	s_wakeup
	;;#ASMEND
.LBB4_288:                              ;   in Loop: Header=BB4_274 Depth=3
	s_or_b64 exec, exec, s[28:29]
	v_sub_u32_e32 v0, v31, v29
	s_xor_b64 s[28:29], s[30:31], -1
	v_min_i32_e32 v2, v2, v0
	s_and_saveexec_b64 s[30:31], s[28:29]
	s_cbranch_execz .LBB4_300
; %bb.289:                              ;   in Loop: Header=BB4_274 Depth=3
	v_and_b32_e32 v0, 0x108, v34
	v_accvgpr_read_b32 v4, a10
	v_cmp_ne_u32_e32 vcc, s92, v0
	v_and_b32_e32 v4, 7, v4
	v_accvgpr_read_b32 v5, a11
	s_and_saveexec_b64 s[28:29], vcc
	s_xor_b64 s[28:29], exec, s[28:29]
	s_andn2_saveexec_b64 s[28:29], s[28:29]
	s_cbranch_execz .LBB4_291
; %bb.290:                              ;   in Loop: Header=BB4_274 Depth=3
	v_accvgpr_read_b32 v8, a12
	v_accvgpr_read_b32 v9, a13
	v_mad_u64_u32 v[8:9], vcc, v4, 24, v[8:9]
	v_ashrrev_i32_e32 v3, 31, v2
	flat_store_dwordx2 v[8:9], v[2:3] offset:8
.LBB4_291:                              ;   in Loop: Header=BB4_274 Depth=3
	s_or_b64 exec, exec, s[28:29]
	v_and_b32_e32 v0, 0x100, v34
	v_cmp_ne_u32_e32 vcc, 0, v0
	s_mov_b64 s[28:29], -1
                                        ; implicit-def: $vgpr8_vgpr9
	s_and_saveexec_b64 s[34:35], vcc
	s_cbranch_execz .LBB4_295
; %bb.292:                              ;   in Loop: Header=BB4_274 Depth=3
	v_accvgpr_read_b32 v8, a12
	v_accvgpr_read_b32 v9, a13
	v_mad_u64_u32 v[10:11], s[28:29], v4, 24, v[8:9]
	v_mov_b32_e32 v0, v11
	v_mad_u64_u32 v[8:9], s[28:29], v43, 24, v[0:1]
	v_mov_b32_e32 v11, v8
	flat_load_dword v0, v[10:11]
                                        ; implicit-def: $vgpr8_vgpr9
	s_waitcnt vmcnt(0) lgkmcnt(0)
	v_cmp_ne_u32_e32 vcc, 1, v0
	v_cmp_eq_u32_e64 s[28:29], 1, v0
	s_and_saveexec_b64 s[64:65], s[28:29]
	s_cbranch_execz .LBB4_294
; %bb.293:                              ;   in Loop: Header=BB4_274 Depth=3
	flat_load_dword v8, v[10:11] offset:4 glc
	s_waitcnt vmcnt(0) lgkmcnt(0)
	v_ashrrev_i32_e32 v9, 31, v8
.LBB4_294:                              ;   in Loop: Header=BB4_274 Depth=3
	s_or_b64 exec, exec, s[64:65]
	s_orn2_b64 s[28:29], vcc, exec
.LBB4_295:                              ;   in Loop: Header=BB4_274 Depth=3
	s_or_b64 exec, exec, s[34:35]
	s_and_saveexec_b64 vcc, s[28:29]
; %bb.296:                              ;   in Loop: Header=BB4_274 Depth=3
	v_accvgpr_read_b32 v8, a18
	v_accvgpr_read_b32 v3, a19
	v_mul_lo_u32 v0, v43, v8
	v_mul_lo_u32 v3, v4, v3
	v_mad_u64_u32 v[8:9], s[28:29], v4, v8, 0
	v_add3_u32 v9, v9, v3, v0
; %bb.297:                              ;   in Loop: Header=BB4_274 Depth=3
	s_or_b64 exec, exec, vcc
	v_accvgpr_read_b32 v4, a20
	v_accvgpr_read_b32 v5, a21
	v_add_co_u32_e32 v4, vcc, v4, v8
	v_addc_co_u32_e32 v5, vcc, v5, v9, vcc
	s_trap 2
	ds_write_b64 v0, v[4:5]
	v_and_b32_e32 v0, 0x2000, v34
	v_cmp_ne_u32_e32 vcc, 0, v0
	s_and_saveexec_b64 s[28:29], vcc
	s_cbranch_execz .LBB4_299
; %bb.298:                              ;   in Loop: Header=BB4_274 Depth=3
	ds_read_b64 v[4:5], v0 offset:584
	s_waitcnt lgkmcnt(0)
	v_add_co_u32_e32 v4, vcc, 1, v4
	v_addc_co_u32_e32 v5, vcc, 0, v5, vcc
	ds_write_b64 v0, v[4:5] offset:584
.LBB4_299:                              ;   in Loop: Header=BB4_274 Depth=3
	s_or_b64 exec, exec, s[28:29]
	v_accvgpr_read_b32 v4, a10
	v_accvgpr_read_b32 v5, a11
	v_add_co_u32_e32 v4, vcc, 2, v4
	v_addc_co_u32_e32 v5, vcc, 0, v5, vcc
	v_accvgpr_write_b32 a11, v5
	v_accvgpr_write_b32 a10, v4
.LBB4_300:                              ;   in Loop: Header=BB4_274 Depth=3
	s_or_b64 exec, exec, s[30:31]
	s_and_saveexec_b64 s[28:29], s[10:11]
	s_cbranch_execz .LBB4_319
; %bb.301:                              ;   in Loop: Header=BB4_274 Depth=3
	s_and_saveexec_b64 vcc, s[44:45]
	s_xor_b64 s[30:31], exec, vcc
	s_cbranch_execz .LBB4_316
; %bb.302:                              ;   in Loop: Header=BB4_274 Depth=3
	s_and_saveexec_b64 s[34:35], s[16:17]
	s_cbranch_execz .LBB4_315
; %bb.303:                              ;   in Loop: Header=BB4_274 Depth=3
	s_mov_b64 s[66:67], exec
	v_mbcnt_lo_u32_b32 v0, s66, 0
	v_mbcnt_hi_u32_b32 v0, s67, v0
	v_cmp_eq_u32_e32 vcc, 0, v0
	s_waitcnt vmcnt(0) lgkmcnt(0)
	buffer_wbinvl1_vol
	s_and_saveexec_b64 s[64:65], vcc
	s_cbranch_execz .LBB4_305
; %bb.304:                              ;   in Loop: Header=BB4_274 Depth=3
	s_bcnt1_i32_b64 s26, s[66:67]
	v_mov_b32_e32 v42, s26
	ds_add_u64 v0, v[42:43]
	s_trap 2
.LBB4_305:                              ;   in Loop: Header=BB4_274 Depth=3
	s_or_b64 exec, exec, s[64:65]
	s_trap 2
	ds_read_b64 v[4:5], v0
	v_accvgpr_read_b32 v8, a14
	v_accvgpr_read_b32 v9, a15
	v_add_co_u32_e32 v8, vcc, v8, v46
	v_addc_co_u32_e32 v9, vcc, 0, v9, vcc
	v_accvgpr_write_b32 a15, v9
	v_accvgpr_write_b32 a14, v8
	s_waitcnt lgkmcnt(0)
	v_cmp_lt_u64_e32 vcc, v[4:5], v[8:9]
	s_and_saveexec_b64 s[64:65], vcc
	s_cbranch_execz .LBB4_314
; %bb.306:                              ;   in Loop: Header=BB4_274 Depth=3
	s_mov_b32 s76, 0
	s_mov_b64 s[66:67], 0
                                        ; implicit-def: $sgpr68_sgpr69
                                        ; implicit-def: $sgpr70_sgpr71
	s_branch .LBB4_308
.LBB4_307:                              ;   in Loop: Header=BB4_308 Depth=4
	s_or_b64 exec, exec, s[74:75]
	s_and_b64 s[26:27], exec, vcc
	s_or_b64 s[66:67], s[26:27], s[66:67]
	s_andn2_b64 s[26:27], s[68:69], exec
	s_and_b64 vcc, s[70:71], exec
	s_or_b64 s[68:69], s[26:27], vcc
	s_andn2_b64 exec, exec, s[66:67]
	s_cbranch_execz .LBB4_312
.LBB4_308:                              ;   Parent Loop BB4_47 Depth=1
                                        ;     Parent Loop BB4_271 Depth=2
                                        ;       Parent Loop BB4_274 Depth=3
                                        ; =>      This Inner Loop Header: Depth=4
	s_add_i32 s76, s76, 1
	s_cmpk_lg_i32 s76, 0x2710
	s_cselect_b64 s[72:73], -1, 0
	s_and_b64 vcc, exec, s[72:73]
                                        ; implicit-def: $sgpr74_sgpr75
	s_cbranch_vccnz .LBB4_310
; %bb.309:                              ;   in Loop: Header=BB4_308 Depth=4
	s_trap 2
	ds_read_b64 v[4:5], v0
	s_andn2_b64 s[72:73], s[72:73], exec
	s_mov_b32 s76, 0
	s_mov_b64 s[74:75], -1
	s_waitcnt lgkmcnt(0)
	flat_load_dword v0, v[4:5] glc
	s_waitcnt vmcnt(0) lgkmcnt(0)
	buffer_invl2
	buffer_wbinvl1_vol
	v_cmp_eq_u32_e32 vcc, 0, v0
	s_and_b64 vcc, vcc, exec
	s_or_b64 s[72:73], s[72:73], vcc
.LBB4_310:                              ;   in Loop: Header=BB4_308 Depth=4
	s_andn2_b64 s[70:71], s[70:71], exec
	s_and_b64 s[74:75], s[74:75], exec
	s_mov_b64 vcc, -1
	s_or_b64 s[70:71], s[70:71], s[74:75]
	s_and_saveexec_b64 s[74:75], s[72:73]
	s_cbranch_execz .LBB4_307
; %bb.311:                              ;   in Loop: Header=BB4_308 Depth=4
	s_sleep 1
	s_trap 2
	ds_read_b64 v[4:5], v0
	v_accvgpr_read_b32 v8, a14
	v_accvgpr_read_b32 v9, a15
	s_andn2_b64 s[70:71], s[70:71], exec
	s_waitcnt lgkmcnt(0)
	v_cmp_ge_u64_e32 vcc, v[4:5], v[8:9]
	s_orn2_b64 vcc, vcc, exec
	s_branch .LBB4_307
.LBB4_312:                              ;   in Loop: Header=BB4_274 Depth=3
	s_or_b64 exec, exec, s[66:67]
	s_and_saveexec_b64 s[26:27], s[68:69]
	s_xor_b64 s[26:27], exec, s[26:27]
	s_cbranch_execz .LBB4_314
; %bb.313:                              ;   in Loop: Header=BB4_274 Depth=3
	v_mov_b32_e32 v0, 1
	ds_write_b32 v0, v0
	s_trap 2
.LBB4_314:                              ;   in Loop: Header=BB4_274 Depth=3
	s_or_b64 exec, exec, s[64:65]
	;;#ASMSTART
	s_wakeup
	;;#ASMEND
.LBB4_315:                              ;   in Loop: Header=BB4_274 Depth=3
	s_or_b64 exec, exec, s[34:35]
.LBB4_316:                              ;   in Loop: Header=BB4_274 Depth=3
	s_andn2_saveexec_b64 vcc, s[30:31]
	s_cbranch_execz .LBB4_318
; %bb.317:                              ;   in Loop: Header=BB4_274 Depth=3
	s_waitcnt vmcnt(0) lgkmcnt(0)
	buffer_wbinvl1_vol
	s_barrier
.LBB4_318:                              ;   in Loop: Header=BB4_274 Depth=3
	s_or_b64 exec, exec, vcc
.LBB4_319:                              ;   in Loop: Header=BB4_274 Depth=3
	s_or_b64 exec, exec, s[28:29]
	s_trap 2
	ds_read_b32 v3, v0
	v_and_b32_e32 v0, 0x4000, v34
	v_cmp_ne_u32_e32 vcc, 0, v0
	s_xor_b64 s[28:29], s[6:7], -1
	s_and_b64 vcc, s[28:29], vcc
	s_and_saveexec_b64 s[28:29], vcc
	s_cbranch_execz .LBB4_338
; %bb.320:                              ;   in Loop: Header=BB4_274 Depth=3
	s_and_saveexec_b64 vcc, s[44:45]
	s_xor_b64 s[30:31], exec, vcc
	s_cbranch_execz .LBB4_335
; %bb.321:                              ;   in Loop: Header=BB4_274 Depth=3
	s_and_saveexec_b64 s[34:35], s[16:17]
	s_cbranch_execz .LBB4_334
; %bb.322:                              ;   in Loop: Header=BB4_274 Depth=3
	s_mov_b64 s[66:67], exec
	v_mbcnt_lo_u32_b32 v0, s66, 0
	v_mbcnt_hi_u32_b32 v0, s67, v0
	v_cmp_eq_u32_e32 vcc, 0, v0
	s_waitcnt vmcnt(0) lgkmcnt(0)
	buffer_wbinvl1_vol
	s_and_saveexec_b64 s[64:65], vcc
	s_cbranch_execz .LBB4_324
; %bb.323:                              ;   in Loop: Header=BB4_274 Depth=3
	s_bcnt1_i32_b64 s26, s[66:67]
	v_mov_b32_e32 v42, s26
	ds_add_u64 v0, v[42:43]
	s_trap 2
.LBB4_324:                              ;   in Loop: Header=BB4_274 Depth=3
	s_or_b64 exec, exec, s[64:65]
	s_trap 2
	ds_read_b64 v[4:5], v0
	v_accvgpr_read_b32 v8, a14
	v_accvgpr_read_b32 v9, a15
	v_add_co_u32_e32 v8, vcc, v8, v46
	v_addc_co_u32_e32 v9, vcc, 0, v9, vcc
	v_accvgpr_write_b32 a15, v9
	v_accvgpr_write_b32 a14, v8
	s_waitcnt lgkmcnt(0)
	v_cmp_lt_u64_e32 vcc, v[4:5], v[8:9]
	s_and_saveexec_b64 s[64:65], vcc
	s_cbranch_execz .LBB4_333
; %bb.325:                              ;   in Loop: Header=BB4_274 Depth=3
	s_mov_b32 s76, 0
	s_mov_b64 s[66:67], 0
                                        ; implicit-def: $sgpr68_sgpr69
                                        ; implicit-def: $sgpr70_sgpr71
	s_branch .LBB4_327
.LBB4_326:                              ;   in Loop: Header=BB4_327 Depth=4
	s_or_b64 exec, exec, s[74:75]
	s_and_b64 s[26:27], exec, vcc
	s_or_b64 s[66:67], s[26:27], s[66:67]
	s_andn2_b64 s[26:27], s[68:69], exec
	s_and_b64 vcc, s[70:71], exec
	s_or_b64 s[68:69], s[26:27], vcc
	s_andn2_b64 exec, exec, s[66:67]
	s_cbranch_execz .LBB4_331
.LBB4_327:                              ;   Parent Loop BB4_47 Depth=1
                                        ;     Parent Loop BB4_271 Depth=2
                                        ;       Parent Loop BB4_274 Depth=3
                                        ; =>      This Inner Loop Header: Depth=4
	s_add_i32 s76, s76, 1
	s_cmpk_lg_i32 s76, 0x2710
	s_cselect_b64 s[72:73], -1, 0
	s_and_b64 vcc, exec, s[72:73]
                                        ; implicit-def: $sgpr74_sgpr75
	s_cbranch_vccnz .LBB4_329
; %bb.328:                              ;   in Loop: Header=BB4_327 Depth=4
	s_trap 2
	ds_read_b64 v[4:5], v0
	s_andn2_b64 s[72:73], s[72:73], exec
	s_mov_b32 s76, 0
	s_mov_b64 s[74:75], -1
	s_waitcnt lgkmcnt(0)
	flat_load_dword v0, v[4:5] glc
	s_waitcnt vmcnt(0) lgkmcnt(0)
	buffer_invl2
	buffer_wbinvl1_vol
	v_cmp_eq_u32_e32 vcc, 0, v0
	s_and_b64 vcc, vcc, exec
	s_or_b64 s[72:73], s[72:73], vcc
.LBB4_329:                              ;   in Loop: Header=BB4_327 Depth=4
	s_andn2_b64 s[70:71], s[70:71], exec
	s_and_b64 s[74:75], s[74:75], exec
	s_mov_b64 vcc, -1
	s_or_b64 s[70:71], s[70:71], s[74:75]
	s_and_saveexec_b64 s[74:75], s[72:73]
	s_cbranch_execz .LBB4_326
; %bb.330:                              ;   in Loop: Header=BB4_327 Depth=4
	s_sleep 1
	s_trap 2
	ds_read_b64 v[4:5], v0
	v_accvgpr_read_b32 v8, a14
	v_accvgpr_read_b32 v9, a15
	s_andn2_b64 s[70:71], s[70:71], exec
	s_waitcnt lgkmcnt(0)
	v_cmp_ge_u64_e32 vcc, v[4:5], v[8:9]
	s_orn2_b64 vcc, vcc, exec
	s_branch .LBB4_326
.LBB4_331:                              ;   in Loop: Header=BB4_274 Depth=3
	s_or_b64 exec, exec, s[66:67]
	s_and_saveexec_b64 s[26:27], s[68:69]
	s_xor_b64 s[26:27], exec, s[26:27]
	s_cbranch_execz .LBB4_333
; %bb.332:                              ;   in Loop: Header=BB4_274 Depth=3
	v_mov_b32_e32 v0, 1
	ds_write_b32 v0, v0
	s_trap 2
.LBB4_333:                              ;   in Loop: Header=BB4_274 Depth=3
	s_or_b64 exec, exec, s[64:65]
	;;#ASMSTART
	s_wakeup
	;;#ASMEND
.LBB4_334:                              ;   in Loop: Header=BB4_274 Depth=3
	s_or_b64 exec, exec, s[34:35]
.LBB4_335:                              ;   in Loop: Header=BB4_274 Depth=3
	s_andn2_saveexec_b64 vcc, s[30:31]
	s_cbranch_execz .LBB4_337
; %bb.336:                              ;   in Loop: Header=BB4_274 Depth=3
	s_waitcnt vmcnt(0) lgkmcnt(0)
	buffer_wbinvl1_vol
	s_barrier
.LBB4_337:                              ;   in Loop: Header=BB4_274 Depth=3
	s_or_b64 exec, exec, vcc
.LBB4_338:                              ;   in Loop: Header=BB4_274 Depth=3
	s_or_b64 exec, exec, s[28:29]
	s_trap 2
	ds_read_b64 v[4:5], v0
	v_mov_b32_e32 v35, 0
	s_waitcnt lgkmcnt(0)
	v_readfirstlane_b32 s28, v4
	v_readfirstlane_b32 s29, v5
	s_cmp_eq_u64 s[28:29], 0
	s_cselect_b64 s[28:29], -1, 0
	s_or_b64 s[28:29], s[28:29], s[28:29]
	s_and_b64 vcc, exec, s[28:29]
	s_cbranch_vccnz .LBB4_764
; %bb.339:                              ;   in Loop: Header=BB4_274 Depth=3
	s_trap 2
	ds_read_b64 v[4:5], v0
	s_mov_b64 s[30:31], -1
	s_waitcnt lgkmcnt(0)
	v_readfirstlane_b32 s76, v4
	s_and_saveexec_b64 s[28:29], s[22:23]
	s_cbranch_execz .LBB4_341
; %bb.340:                              ;   in Loop: Header=BB4_274 Depth=3
	ds_read_b32 v0, v0 offset:720
	s_waitcnt lgkmcnt(0)
	v_and_b32_e32 v0, 15, v0
	v_cmp_eq_u32_e32 vcc, 0, v0
	s_orn2_b64 s[30:31], vcc, exec
.LBB4_341:                              ;   in Loop: Header=BB4_274 Depth=3
	s_or_b64 exec, exec, s[28:29]
	s_and_saveexec_b64 s[28:29], s[20:21]
	s_cbranch_execz .LBB4_343
; %bb.342:                              ;   in Loop: Header=BB4_274 Depth=3
	ds_read_b32 v0, v0 offset:784
	s_waitcnt lgkmcnt(0)
	v_and_b32_e32 v0, 15, v0
	v_cmp_eq_u32_e32 vcc, 0, v0
	s_and_b64 vcc, s[30:31], vcc
	s_andn2_b64 s[30:31], s[30:31], exec
	s_and_b64 vcc, vcc, exec
	s_or_b64 s[30:31], s[30:31], vcc
.LBB4_343:                              ;   in Loop: Header=BB4_274 Depth=3
	s_or_b64 exec, exec, s[28:29]
	v_cmp_eq_u32_e32 vcc, 0, v3
	v_cndmask_b32_e32 v35, 0, v2, vcc
	s_xor_b64 vcc, s[30:31], -1
	v_cndmask_b32_e64 v3, 0, 1, vcc
	v_mov_b32_e32 v0, 0
	s_mov_b64 s[28:29], -1
	;;#ASMSTART
	;;#ASMEND
	v_cmp_ne_u32_e32 vcc, 0, v3
	v_mov_b32_e32 v7, v35
	v_accvgpr_read_b32 v30, a1
	v_accvgpr_read_b32 v4, a31
	s_cbranch_vccz .LBB4_769
; %bb.344:                              ;   in Loop: Header=BB4_274 Depth=3
	s_and_saveexec_b64 s[64:65], s[28:29]
	s_cbranch_execz .LBB4_3144
.LBB4_345:                              ;   in Loop: Header=BB4_274 Depth=3
	v_ashrrev_i32_e32 v3, 31, v7
	v_lshrrev_b32_e32 v3, 23, v3
	v_add_u32_e32 v3, v7, v3
	v_ashrrev_i32_e32 v60, 9, v3
	v_sub_u32_e32 v3, v60, v4
	v_ashrrev_i32_e32 v5, 31, v30
	v_cmp_lt_i32_e32 vcc, 0, v3
	v_lshrrev_b32_e32 v50, 26, v5
	s_and_saveexec_b64 s[34:35], vcc
	s_cbranch_execz .LBB4_2309
; %bb.346:                              ;   in Loop: Header=BB4_274 Depth=3
	s_trap 2
	ds_read_b128 v[8:11], v0
	ds_read_b64 v[12:13], v0
	v_add_u32_e32 v5, v30, v50
	v_and_b32_e32 v5, 0xffffffc0, v5
	v_sub_u32_e32 v5, v30, v5
	v_lshlrev_b32_e32 v4, 9, v4
	v_add3_u32 v14, v0, v5, v4
	v_ashrrev_i32_e32 v15, 31, v14
	s_waitcnt lgkmcnt(0)
	v_add_co_u32_e32 v4, vcc, v8, v14
	v_addc_co_u32_e32 v5, vcc, v9, v15, vcc
	v_add_co_u32_e32 v8, vcc, v10, v14
	v_addc_co_u32_e32 v9, vcc, v11, v15, vcc
	v_add_co_u32_e32 v10, vcc, 0x1c0, v12
	v_addc_co_u32_e32 v11, vcc, 0, v13, vcc
	s_bitcmp1_b32 s76, 0
	v_add_co_u32_e32 v10, vcc, v10, v14
	s_cselect_b64 s[66:67], -1, 0
	v_addc_co_u32_e32 v11, vcc, v11, v15, vcc
	s_mov_b64 s[68:69], 0
	s_branch .LBB4_348
.LBB4_347:                              ;   in Loop: Header=BB4_348 Depth=4
	s_or_b64 exec, exec, s[28:29]
	v_add_co_u32_e32 v14, vcc, 0xfffffe40, v10
	v_addc_co_u32_e32 v15, vcc, -1, v11, vcc
	flat_store_byte v[14:15], v28 glc slc
	v_add_co_u32_e32 v14, vcc, 0xfffffe80, v10
	v_addc_co_u32_e32 v15, vcc, -1, v11, vcc
	flat_store_byte v[14:15], v45 glc slc
	v_add_co_u32_e32 v14, vcc, 0xfffffec0, v10
	v_addc_co_u32_e32 v15, vcc, -1, v11, vcc
	flat_store_byte v[14:15], v52 glc slc
	v_add_co_u32_e32 v14, vcc, 0xffffff00, v10
	v_addc_co_u32_e32 v15, vcc, -1, v11, vcc
	flat_store_byte v[14:15], v27 glc slc
	v_add_co_u32_e32 v14, vcc, 0xffffff40, v10
	v_addc_co_u32_e32 v15, vcc, -1, v11, vcc
	flat_store_byte v[14:15], v25 glc slc
	v_add_co_u32_e32 v14, vcc, s94, v10
	v_addc_co_u32_e32 v15, vcc, -1, v11, vcc
	flat_store_byte v[14:15], v21 glc slc
	v_add_co_u32_e32 v14, vcc, s80, v10
	v_addc_co_u32_e32 v15, vcc, -1, v11, vcc
	v_accvgpr_read_b32 v12, a38
	flat_store_byte v[14:15], v17 glc slc
	flat_store_byte v[10:11], v13 glc slc
	v_add_co_u32_e32 v4, vcc, v4, v12
	v_accvgpr_read_b32 v13, a39
	v_addc_co_u32_e32 v5, vcc, v5, v13, vcc
	v_add_co_u32_e32 v8, vcc, v8, v12
	v_addc_co_u32_e32 v9, vcc, v9, v13, vcc
	v_sub_u32_e32 v3, v3, v46
	v_cmp_gt_i32_e32 vcc, 1, v3
	s_or_b64 s[68:69], vcc, s[68:69]
	v_add_co_u32_e32 v10, vcc, v10, v12
	v_addc_co_u32_e32 v11, vcc, v11, v13, vcc
	s_andn2_b64 exec, exec, s[68:69]
	s_cbranch_execz .LBB4_2308
.LBB4_348:                              ;   Parent Loop BB4_47 Depth=1
                                        ;     Parent Loop BB4_271 Depth=2
                                        ;       Parent Loop BB4_274 Depth=3
                                        ; =>      This Inner Loop Header: Depth=4
	flat_load_ubyte v15, v[4:5] glc slc
	flat_load_sbyte v58, v[4:5] offset:64 glc slc
	flat_load_sbyte v26, v[4:5] offset:128 glc slc
	;; [unrolled: 1-line block ×7, first 2 shown]
	flat_load_sbyte v44, v[8:9] glc slc
	flat_load_sbyte v46, v[8:9] offset:64 glc slc
	flat_load_sbyte v52, v[8:9] offset:128 glc slc
	;; [unrolled: 1-line block ×7, first 2 shown]
	s_and_b64 vcc, exec, s[66:67]
	s_waitcnt vmcnt(0) lgkmcnt(0)
	v_bfe_i32 v42, v15, 0, 8
	v_and_b32_e32 v13, 0xffff, v15
	v_cmp_ne_u16_e64 s[28:29], 0, v15
	s_cbranch_vccz .LBB4_366
; %bb.349:                              ;   in Loop: Header=BB4_348 Depth=4
	v_mov_b32_e32 v17, 0
	v_mov_b32_e32 v15, 0
	s_and_saveexec_b64 s[30:31], s[28:29]
	s_cbranch_execz .LBB4_357
; %bb.350:                              ;   in Loop: Header=BB4_348 Depth=4
	v_cmp_ne_u16_e32 vcc, s94, v42
	v_bfrev_b32_e32 v15, 1
	s_and_saveexec_b64 s[70:71], vcc
	s_cbranch_execz .LBB4_356
; %bb.351:                              ;   in Loop: Header=BB4_348 Depth=4
	v_and_b32_e32 v15, 0x7c, v13
	v_and_b32_e32 v19, 3, v13
	v_cmp_ne_u32_e32 vcc, s95, v15
                                        ; implicit-def: $vgpr15
	s_and_saveexec_b64 s[72:73], vcc
	s_xor_b64 s[72:73], exec, s[72:73]
	s_cbranch_execz .LBB4_353
; %bb.352:                              ;   in Loop: Header=BB4_348 Depth=4
	v_ffbh_u32_e32 v23, v19
	v_bfe_u32 v15, v13, 2, 5
	v_min_u32_e32 v23, 32, v23
	v_subrev_u32_e32 v25, 29, v23
	v_sub_u32_e32 v23, 30, v23
	v_cmp_eq_u32_e32 vcc, 0, v15
	v_lshlrev_b64 v[32:33], v25, v[42:43]
	v_cndmask_b32_e32 v15, v15, v23, vcc
	v_bfrev_b32_e32 v23, 28
	v_bfe_i32 v21, v42, 0, 16
	v_and_b32_e32 v25, 3, v32
	v_lshl_add_u32 v15, v15, 23, v23
	v_cndmask_b32_e32 v19, v19, v25, vcc
	v_and_or_b32 v15, v21, s96, v15
	v_lshl_or_b32 v15, v19, 21, v15
                                        ; implicit-def: $vgpr19
.LBB4_353:                              ;   in Loop: Header=BB4_348 Depth=4
	s_andn2_saveexec_b64 s[72:73], s[72:73]
; %bb.354:                              ;   in Loop: Header=BB4_348 Depth=4
	v_cmp_lt_i16_e32 vcc, -1, v42
	v_cndmask_b32_e32 v15, v6, v1, vcc
	v_cmp_eq_u32_e32 vcc, 0, v19
	v_mov_b32_e32 v19, 0x7f800001
	v_cndmask_b32_e32 v15, v19, v15, vcc
; %bb.355:                              ;   in Loop: Header=BB4_348 Depth=4
	s_or_b64 exec, exec, s[72:73]
.LBB4_356:                              ;   in Loop: Header=BB4_348 Depth=4
	s_or_b64 exec, exec, s[70:71]
.LBB4_357:                              ;   in Loop: Header=BB4_348 Depth=4
	s_or_b64 exec, exec, s[30:31]
	v_cmp_ne_u16_e32 vcc, 0, v44
	s_and_saveexec_b64 s[30:31], vcc
	s_cbranch_execz .LBB4_365
; %bb.358:                              ;   in Loop: Header=BB4_348 Depth=4
	v_cmp_ne_u16_e32 vcc, s94, v44
	v_bfrev_b32_e32 v17, 1
	s_and_saveexec_b64 s[70:71], vcc
	s_cbranch_execz .LBB4_364
; %bb.359:                              ;   in Loop: Header=BB4_348 Depth=4
	v_and_b32_e32 v17, 0x7c, v44
	v_and_b32_e32 v19, 3, v44
	v_cmp_ne_u32_e32 vcc, s95, v17
                                        ; implicit-def: $vgpr17
	s_and_saveexec_b64 s[72:73], vcc
	s_xor_b64 s[72:73], exec, s[72:73]
	s_cbranch_execz .LBB4_361
; %bb.360:                              ;   in Loop: Header=BB4_348 Depth=4
	v_and_b32_e32 v17, 0xff, v44
	v_ffbh_u32_e32 v23, v19
	v_bfe_u32 v17, v17, 2, 5
	v_min_u32_e32 v23, 32, v23
	v_mov_b32_e32 v45, v43
	v_subrev_u32_e32 v25, 29, v23
	v_sub_u32_e32 v23, 30, v23
	v_cmp_eq_u32_e32 vcc, 0, v17
	v_lshlrev_b64 v[32:33], v25, v[44:45]
	v_cndmask_b32_e32 v17, v17, v23, vcc
	v_bfrev_b32_e32 v23, 28
	v_bfe_i32 v21, v44, 0, 16
	v_and_b32_e32 v25, 3, v32
	v_lshl_add_u32 v17, v17, 23, v23
	v_cndmask_b32_e32 v19, v19, v25, vcc
	v_and_or_b32 v17, v21, s96, v17
	v_lshl_or_b32 v17, v19, 21, v17
                                        ; implicit-def: $vgpr19
.LBB4_361:                              ;   in Loop: Header=BB4_348 Depth=4
	s_andn2_saveexec_b64 s[72:73], s[72:73]
; %bb.362:                              ;   in Loop: Header=BB4_348 Depth=4
	v_cmp_lt_i16_e32 vcc, -1, v44
	v_cndmask_b32_e32 v17, v6, v1, vcc
	v_cmp_eq_u32_e32 vcc, 0, v19
	v_mov_b32_e32 v19, 0x7f800001
	v_cndmask_b32_e32 v17, v19, v17, vcc
; %bb.363:                              ;   in Loop: Header=BB4_348 Depth=4
	s_or_b64 exec, exec, s[72:73]
.LBB4_364:                              ;   in Loop: Header=BB4_348 Depth=4
	s_or_b64 exec, exec, s[70:71]
.LBB4_365:                              ;   in Loop: Header=BB4_348 Depth=4
	s_or_b64 exec, exec, s[30:31]
	v_max_f32_e32 v17, v17, v17
	v_max_f32_e32 v15, v15, v15
	;; [unrolled: 1-line block ×3, first 2 shown]
	s_branch .LBB4_384
.LBB4_366:                              ;   in Loop: Header=BB4_348 Depth=4
                                        ; implicit-def: $vgpr15
	s_cbranch_execz .LBB4_384
; %bb.367:                              ;   in Loop: Header=BB4_348 Depth=4
	v_mov_b32_e32 v17, 0
	v_mov_b32_e32 v15, 0
	s_and_saveexec_b64 s[30:31], s[28:29]
	s_cbranch_execz .LBB4_375
; %bb.368:                              ;   in Loop: Header=BB4_348 Depth=4
	v_cmp_ne_u16_e32 vcc, s94, v42
	v_bfrev_b32_e32 v15, 1
	s_and_saveexec_b64 s[28:29], vcc
	s_cbranch_execz .LBB4_374
; %bb.369:                              ;   in Loop: Header=BB4_348 Depth=4
	v_and_b32_e32 v15, 0x7c, v13
	v_and_b32_e32 v19, 3, v13
	v_cmp_ne_u32_e32 vcc, s95, v15
                                        ; implicit-def: $vgpr15
	s_and_saveexec_b64 s[70:71], vcc
	s_xor_b64 s[70:71], exec, s[70:71]
	s_cbranch_execz .LBB4_371
; %bb.370:                              ;   in Loop: Header=BB4_348 Depth=4
	v_ffbh_u32_e32 v21, v19
	v_bfe_u32 v13, v13, 2, 5
	v_min_u32_e32 v21, 32, v21
	v_subrev_u32_e32 v23, 29, v21
	v_sub_u32_e32 v21, 30, v21
	v_cmp_eq_u32_e32 vcc, 0, v13
	v_lshlrev_b64 v[32:33], v23, v[42:43]
	v_cndmask_b32_e32 v13, v13, v21, vcc
	v_bfrev_b32_e32 v21, 28
	v_bfe_i32 v15, v42, 0, 16
	v_and_b32_e32 v23, 3, v32
	v_lshl_add_u32 v13, v13, 23, v21
	v_cndmask_b32_e32 v19, v19, v23, vcc
	v_and_or_b32 v13, v15, s96, v13
	v_lshl_or_b32 v15, v19, 21, v13
                                        ; implicit-def: $vgpr19
.LBB4_371:                              ;   in Loop: Header=BB4_348 Depth=4
	s_andn2_saveexec_b64 s[70:71], s[70:71]
; %bb.372:                              ;   in Loop: Header=BB4_348 Depth=4
	v_cmp_lt_i16_e32 vcc, -1, v42
	v_cndmask_b32_e32 v13, v6, v1, vcc
	v_cmp_eq_u32_e32 vcc, 0, v19
	v_mov_b32_e32 v15, 0x7f800001
	v_cndmask_b32_e32 v15, v15, v13, vcc
; %bb.373:                              ;   in Loop: Header=BB4_348 Depth=4
	s_or_b64 exec, exec, s[70:71]
.LBB4_374:                              ;   in Loop: Header=BB4_348 Depth=4
	s_or_b64 exec, exec, s[28:29]
.LBB4_375:                              ;   in Loop: Header=BB4_348 Depth=4
	s_or_b64 exec, exec, s[30:31]
	v_cmp_ne_u16_e32 vcc, 0, v44
	s_and_saveexec_b64 s[28:29], vcc
	s_cbranch_execz .LBB4_383
; %bb.376:                              ;   in Loop: Header=BB4_348 Depth=4
	v_cmp_ne_u16_e32 vcc, s94, v44
	v_bfrev_b32_e32 v17, 1
	s_and_saveexec_b64 s[30:31], vcc
	s_cbranch_execz .LBB4_382
; %bb.377:                              ;   in Loop: Header=BB4_348 Depth=4
	v_and_b32_e32 v17, 0x7c, v44
	v_and_b32_e32 v13, 3, v44
	v_cmp_ne_u32_e32 vcc, s95, v17
                                        ; implicit-def: $vgpr17
	s_and_saveexec_b64 s[70:71], vcc
	s_xor_b64 s[70:71], exec, s[70:71]
	s_cbranch_execz .LBB4_379
; %bb.378:                              ;   in Loop: Header=BB4_348 Depth=4
	v_and_b32_e32 v17, 0xff, v44
	v_ffbh_u32_e32 v21, v13
	v_bfe_u32 v17, v17, 2, 5
	v_min_u32_e32 v21, 32, v21
	v_mov_b32_e32 v45, v43
	v_subrev_u32_e32 v23, 29, v21
	v_sub_u32_e32 v21, 30, v21
	v_cmp_eq_u32_e32 vcc, 0, v17
	v_lshlrev_b64 v[32:33], v23, v[44:45]
	v_cndmask_b32_e32 v17, v17, v21, vcc
	v_bfrev_b32_e32 v21, 28
	v_bfe_i32 v19, v44, 0, 16
	v_and_b32_e32 v23, 3, v32
	v_lshl_add_u32 v17, v17, 23, v21
	v_cndmask_b32_e32 v13, v13, v23, vcc
	v_and_or_b32 v17, v19, s96, v17
	v_lshl_or_b32 v17, v13, 21, v17
                                        ; implicit-def: $vgpr13
                                        ; implicit-def: $vgpr44
.LBB4_379:                              ;   in Loop: Header=BB4_348 Depth=4
	s_andn2_saveexec_b64 s[70:71], s[70:71]
; %bb.380:                              ;   in Loop: Header=BB4_348 Depth=4
	v_cmp_lt_i16_e32 vcc, -1, v44
	v_cndmask_b32_e32 v17, v6, v1, vcc
	v_cmp_eq_u32_e32 vcc, 0, v13
	v_mov_b32_e32 v13, 0x7f800001
	v_cndmask_b32_e32 v17, v13, v17, vcc
; %bb.381:                              ;   in Loop: Header=BB4_348 Depth=4
	s_or_b64 exec, exec, s[70:71]
.LBB4_382:                              ;   in Loop: Header=BB4_348 Depth=4
	s_or_b64 exec, exec, s[30:31]
.LBB4_383:                              ;   in Loop: Header=BB4_348 Depth=4
	s_or_b64 exec, exec, s[28:29]
	v_max_f32_e32 v13, v17, v17
	v_max_f32_e32 v15, v15, v15
	v_min_f32_e32 v15, v15, v13
.LBB4_384:                              ;   in Loop: Header=BB4_348 Depth=4
	v_and_b32_sdwa v13, v15, s97 dst_sel:DWORD dst_unused:UNUSED_PAD src0_sel:BYTE_3 src1_sel:DWORD
	v_and_b32_e32 v32, 0x7f800000, v15
	v_mov_b32_e32 v33, v43
	v_and_b32_e32 v42, 0x7fffff, v15
	v_or_b32_e32 v28, 0x7b, v13
	v_cmp_ne_u64_e32 vcc, s[52:53], v[32:33]
	s_and_saveexec_b64 s[28:29], vcc
	s_xor_b64 s[30:31], exec, s[28:29]
	s_cbranch_execz .LBB4_398
; %bb.385:                              ;   in Loop: Header=BB4_348 Depth=4
	v_and_b32_e32 v32, 0x7fffffff, v15
	v_mov_b32_e32 v33, v43
	v_cmp_gt_u64_e32 vcc, s[54:55], v[32:33]
	s_and_saveexec_b64 s[28:29], vcc
	s_xor_b64 s[70:71], exec, s[28:29]
	s_cbranch_execz .LBB4_397
; %bb.386:                              ;   in Loop: Header=BB4_348 Depth=4
	v_cmp_ne_u32_e32 vcc, 0, v15
	v_mov_b32_e32 v28, 0
	s_and_saveexec_b64 s[72:73], vcc
	s_cbranch_execz .LBB4_396
; %bb.387:                              ;   in Loop: Header=BB4_348 Depth=4
	v_bfe_u32 v15, v15, 23, 8
	v_cmp_eq_u32_e32 vcc, 0, v15
	v_add_u32_e32 v17, 0xffffff81, v15
	v_cmp_gt_u32_e64 s[28:29], s38, v15
	v_sub_u32_e32 v15, 0x71, v15
	v_mov_b32_e32 v21, 0xffffff82
	v_cndmask_b32_e64 v15, 0, v15, s[28:29]
	v_cndmask_b32_e32 v17, v17, v21, vcc
	v_mov_b32_e32 v21, 0x70
	v_or_b32_e32 v19, 0x800000, v42
	v_cndmask_b32_e32 v15, v15, v21, vcc
	v_cndmask_b32_e32 v42, v19, v42, vcc
	v_add_u32_e32 v19, 21, v15
	v_lshlrev_b64 v[32:33], v19, -1
	v_not_b32_e32 v19, v33
	v_not_b32_e32 v21, v32
	v_and_b32_e32 v33, 0, v19
	v_add_u32_e32 v19, 20, v15
	v_and_b32_e32 v32, v42, v21
	v_lshlrev_b64 v[36:37], v19, 1
	v_cmp_eq_u64_e32 vcc, v[32:33], v[36:37]
	v_lshrrev_b64 v[32:33], v15, v[42:43]
	v_lshrrev_b32_e32 v19, 23, v32
	v_add3_u32 v19, v15, v17, v19
	v_bfe_u32 v15, v32, 21, 1
	v_add_u32_e32 v15, -1, v15
	v_cndmask_b32_e32 v15, 0, v15, vcc
	v_add_u32_e32 v15, v15, v32
	v_and_b32_e32 v15, 0x1fffff, v15
	v_add_co_u32_e32 v44, vcc, v15, v32
	v_add_u32_e32 v17, 14, v19
	v_addc_co_u32_e32 v45, vcc, 0, v33, vcc
	v_cmp_ne_u32_e32 vcc, 0, v17
                                        ; implicit-def: $vgpr15
	s_and_saveexec_b64 s[28:29], vcc
	s_xor_b64 s[28:29], exec, s[28:29]
; %bb.388:                              ;   in Loop: Header=BB4_348 Depth=4
	v_add_u32_e32 v15, 15, v19
	v_cmp_lt_u64_e32 vcc, s[56:57], v[44:45]
	v_cndmask_b32_e32 v15, v17, v15, vcc
	v_cndmask_b32_e64 v17, 0, 1, vcc
	v_lshrrev_b64 v[44:45], v17, v[44:45]
; %bb.389:                              ;   in Loop: Header=BB4_348 Depth=4
	s_andn2_saveexec_b64 s[28:29], s[28:29]
; %bb.390:                              ;   in Loop: Header=BB4_348 Depth=4
	v_bfe_u32 v15, v44, 23, 1
; %bb.391:                              ;   in Loop: Header=BB4_348 Depth=4
	s_or_b64 exec, exec, s[28:29]
	v_lshrrev_b64 v[32:33], 21, v[44:45]
	v_cmp_gt_i32_e32 vcc, 32, v15
	v_cndmask_b32_e32 v45, 0, v33, vcc
	v_cndmask_b32_e32 v44, 3, v32, vcc
	v_cmp_ne_u32_e32 vcc, 0, v15
	v_cmp_ne_u64_e64 s[28:29], 0, v[44:45]
	s_or_b64 s[28:29], vcc, s[28:29]
                                        ; implicit-def: $vgpr28
	s_and_saveexec_b64 vcc, s[28:29]
	s_xor_b64 s[28:29], exec, vcc
; %bb.392:                              ;   in Loop: Header=BB4_348 Depth=4
	v_min_i32_e32 v15, 31, v15
	v_lshl_or_b32 v13, v15, 2, v13
	v_and_or_b32 v28, v44, 3, v13
                                        ; implicit-def: $vgpr13
; %bb.393:                              ;   in Loop: Header=BB4_348 Depth=4
	s_andn2_saveexec_b64 s[28:29], s[28:29]
; %bb.394:                              ;   in Loop: Header=BB4_348 Depth=4
	v_mov_b32_e32 v28, v13
; %bb.395:                              ;   in Loop: Header=BB4_348 Depth=4
	s_or_b64 exec, exec, s[28:29]
.LBB4_396:                              ;   in Loop: Header=BB4_348 Depth=4
	s_or_b64 exec, exec, s[72:73]
.LBB4_397:                              ;   in Loop: Header=BB4_348 Depth=4
	s_andn2_saveexec_b64 s[28:29], s[70:71]
	s_or_b64 exec, exec, s[28:29]
                                        ; implicit-def: $vgpr15
.LBB4_398:                              ;   in Loop: Header=BB4_348 Depth=4
	s_andn2_saveexec_b64 s[28:29], s[30:31]
; %bb.399:                              ;   in Loop: Header=BB4_348 Depth=4
	v_or_b32_sdwa v13, v15, s39 dst_sel:DWORD dst_unused:UNUSED_PAD src0_sel:BYTE_3 src1_sel:DWORD
	v_cmp_eq_u64_e32 vcc, 0, v[42:43]
	v_cndmask_b32_e32 v28, v13, v28, vcc
; %bb.400:                              ;   in Loop: Header=BB4_348 Depth=4
	s_or_b64 exec, exec, s[28:29]
	v_cndmask_b32_e64 v15, 0, 1, s[66:67]
	v_and_b32_e32 v13, 0xff, v58
	v_cmp_ne_u32_e64 s[28:29], 1, v15
	s_andn2_b64 vcc, exec, s[66:67]
	v_cmp_ne_u16_e64 s[30:31], 0, v58
	s_cbranch_vccnz .LBB4_418
; %bb.401:                              ;   in Loop: Header=BB4_348 Depth=4
	v_mov_b32_e32 v17, 0
	v_mov_b32_e32 v15, 0
	s_and_saveexec_b64 s[70:71], s[30:31]
	s_cbranch_execz .LBB4_409
; %bb.402:                              ;   in Loop: Header=BB4_348 Depth=4
	v_cmp_ne_u16_e32 vcc, s94, v58
	v_bfrev_b32_e32 v15, 1
	s_and_saveexec_b64 s[72:73], vcc
	s_cbranch_execz .LBB4_408
; %bb.403:                              ;   in Loop: Header=BB4_348 Depth=4
	v_and_b32_e32 v15, 0x7c, v13
	v_and_b32_e32 v19, 3, v13
	v_cmp_ne_u32_e32 vcc, s95, v15
                                        ; implicit-def: $vgpr15
	s_and_saveexec_b64 s[74:75], vcc
	s_xor_b64 s[74:75], exec, s[74:75]
	s_cbranch_execz .LBB4_405
; %bb.404:                              ;   in Loop: Header=BB4_348 Depth=4
	v_ffbh_u32_e32 v23, v19
	v_bfe_u32 v15, v13, 2, 5
	v_min_u32_e32 v23, 32, v23
	v_mov_b32_e32 v59, v43
	v_subrev_u32_e32 v25, 29, v23
	v_sub_u32_e32 v23, 30, v23
	v_cmp_eq_u32_e32 vcc, 0, v15
	v_lshlrev_b64 v[32:33], v25, v[58:59]
	v_cndmask_b32_e32 v15, v15, v23, vcc
	v_bfrev_b32_e32 v23, 28
	v_bfe_i32 v21, v58, 0, 16
	v_and_b32_e32 v25, 3, v32
	v_lshl_add_u32 v15, v15, 23, v23
	v_cndmask_b32_e32 v19, v19, v25, vcc
	v_and_or_b32 v15, v21, s96, v15
	v_lshl_or_b32 v15, v19, 21, v15
                                        ; implicit-def: $vgpr19
.LBB4_405:                              ;   in Loop: Header=BB4_348 Depth=4
	s_andn2_saveexec_b64 s[74:75], s[74:75]
; %bb.406:                              ;   in Loop: Header=BB4_348 Depth=4
	v_cmp_lt_i16_e32 vcc, -1, v58
	v_cndmask_b32_e32 v15, v6, v1, vcc
	v_cmp_eq_u32_e32 vcc, 0, v19
	v_mov_b32_e32 v19, 0x7f800001
	v_cndmask_b32_e32 v15, v19, v15, vcc
; %bb.407:                              ;   in Loop: Header=BB4_348 Depth=4
	s_or_b64 exec, exec, s[74:75]
.LBB4_408:                              ;   in Loop: Header=BB4_348 Depth=4
	s_or_b64 exec, exec, s[72:73]
.LBB4_409:                              ;   in Loop: Header=BB4_348 Depth=4
	s_or_b64 exec, exec, s[70:71]
	v_cmp_ne_u16_e32 vcc, 0, v46
	s_and_saveexec_b64 s[70:71], vcc
	s_cbranch_execz .LBB4_417
; %bb.410:                              ;   in Loop: Header=BB4_348 Depth=4
	v_cmp_ne_u16_e32 vcc, s94, v46
	v_bfrev_b32_e32 v17, 1
	s_and_saveexec_b64 s[72:73], vcc
	s_cbranch_execz .LBB4_416
; %bb.411:                              ;   in Loop: Header=BB4_348 Depth=4
	v_and_b32_e32 v17, 0x7c, v46
	v_and_b32_e32 v19, 3, v46
	v_cmp_ne_u32_e32 vcc, s95, v17
                                        ; implicit-def: $vgpr17
	s_and_saveexec_b64 s[74:75], vcc
	s_xor_b64 s[74:75], exec, s[74:75]
	s_cbranch_execz .LBB4_413
; %bb.412:                              ;   in Loop: Header=BB4_348 Depth=4
	v_and_b32_e32 v17, 0xff, v46
	v_ffbh_u32_e32 v23, v19
	v_bfe_u32 v17, v17, 2, 5
	v_min_u32_e32 v23, 32, v23
	v_mov_b32_e32 v47, v43
	v_subrev_u32_e32 v25, 29, v23
	v_sub_u32_e32 v23, 30, v23
	v_cmp_eq_u32_e32 vcc, 0, v17
	v_lshlrev_b64 v[32:33], v25, v[46:47]
	v_cndmask_b32_e32 v17, v17, v23, vcc
	v_bfrev_b32_e32 v23, 28
	v_bfe_i32 v21, v46, 0, 16
	v_and_b32_e32 v25, 3, v32
	v_lshl_add_u32 v17, v17, 23, v23
	v_cndmask_b32_e32 v19, v19, v25, vcc
	v_and_or_b32 v17, v21, s96, v17
	v_lshl_or_b32 v17, v19, 21, v17
                                        ; implicit-def: $vgpr19
.LBB4_413:                              ;   in Loop: Header=BB4_348 Depth=4
	s_andn2_saveexec_b64 s[74:75], s[74:75]
; %bb.414:                              ;   in Loop: Header=BB4_348 Depth=4
	v_cmp_lt_i16_e32 vcc, -1, v46
	v_cndmask_b32_e32 v17, v6, v1, vcc
	v_cmp_eq_u32_e32 vcc, 0, v19
	v_mov_b32_e32 v19, 0x7f800001
	v_cndmask_b32_e32 v17, v19, v17, vcc
; %bb.415:                              ;   in Loop: Header=BB4_348 Depth=4
	s_or_b64 exec, exec, s[74:75]
.LBB4_416:                              ;   in Loop: Header=BB4_348 Depth=4
	s_or_b64 exec, exec, s[72:73]
.LBB4_417:                              ;   in Loop: Header=BB4_348 Depth=4
	s_or_b64 exec, exec, s[70:71]
	v_max_f32_e32 v17, v17, v17
	v_max_f32_e32 v15, v15, v15
	;; [unrolled: 1-line block ×3, first 2 shown]
	s_branch .LBB4_436
.LBB4_418:                              ;   in Loop: Header=BB4_348 Depth=4
                                        ; implicit-def: $vgpr15
	s_cbranch_execz .LBB4_436
; %bb.419:                              ;   in Loop: Header=BB4_348 Depth=4
	v_mov_b32_e32 v17, 0
	v_mov_b32_e32 v15, 0
	s_and_saveexec_b64 s[70:71], s[30:31]
	s_cbranch_execz .LBB4_427
; %bb.420:                              ;   in Loop: Header=BB4_348 Depth=4
	v_cmp_ne_u16_e32 vcc, s94, v58
	v_bfrev_b32_e32 v15, 1
	s_and_saveexec_b64 s[30:31], vcc
	s_cbranch_execz .LBB4_426
; %bb.421:                              ;   in Loop: Header=BB4_348 Depth=4
	v_and_b32_e32 v15, 0x7c, v13
	v_and_b32_e32 v19, 3, v13
	v_cmp_ne_u32_e32 vcc, s95, v15
                                        ; implicit-def: $vgpr15
	s_and_saveexec_b64 s[72:73], vcc
	s_xor_b64 s[72:73], exec, s[72:73]
	s_cbranch_execz .LBB4_423
; %bb.422:                              ;   in Loop: Header=BB4_348 Depth=4
	v_ffbh_u32_e32 v21, v19
	v_bfe_u32 v13, v13, 2, 5
	v_min_u32_e32 v21, 32, v21
	v_mov_b32_e32 v59, v43
	v_subrev_u32_e32 v23, 29, v21
	v_sub_u32_e32 v21, 30, v21
	v_cmp_eq_u32_e32 vcc, 0, v13
	v_lshlrev_b64 v[32:33], v23, v[58:59]
	v_cndmask_b32_e32 v13, v13, v21, vcc
	v_bfrev_b32_e32 v21, 28
	v_bfe_i32 v15, v58, 0, 16
	v_and_b32_e32 v23, 3, v32
	v_lshl_add_u32 v13, v13, 23, v21
	v_cndmask_b32_e32 v19, v19, v23, vcc
	v_and_or_b32 v13, v15, s96, v13
	v_lshl_or_b32 v15, v19, 21, v13
                                        ; implicit-def: $vgpr19
                                        ; implicit-def: $vgpr58
.LBB4_423:                              ;   in Loop: Header=BB4_348 Depth=4
	s_andn2_saveexec_b64 s[72:73], s[72:73]
; %bb.424:                              ;   in Loop: Header=BB4_348 Depth=4
	v_cmp_lt_i16_e32 vcc, -1, v58
	v_cndmask_b32_e32 v13, v6, v1, vcc
	v_cmp_eq_u32_e32 vcc, 0, v19
	v_mov_b32_e32 v15, 0x7f800001
	v_cndmask_b32_e32 v15, v15, v13, vcc
; %bb.425:                              ;   in Loop: Header=BB4_348 Depth=4
	s_or_b64 exec, exec, s[72:73]
.LBB4_426:                              ;   in Loop: Header=BB4_348 Depth=4
	s_or_b64 exec, exec, s[30:31]
.LBB4_427:                              ;   in Loop: Header=BB4_348 Depth=4
	s_or_b64 exec, exec, s[70:71]
	v_cmp_ne_u16_e32 vcc, 0, v46
	s_and_saveexec_b64 s[30:31], vcc
	s_cbranch_execz .LBB4_435
; %bb.428:                              ;   in Loop: Header=BB4_348 Depth=4
	v_cmp_ne_u16_e32 vcc, s94, v46
	v_bfrev_b32_e32 v17, 1
	s_and_saveexec_b64 s[70:71], vcc
	s_cbranch_execz .LBB4_434
; %bb.429:                              ;   in Loop: Header=BB4_348 Depth=4
	v_and_b32_e32 v17, 0x7c, v46
	v_and_b32_e32 v13, 3, v46
	v_cmp_ne_u32_e32 vcc, s95, v17
                                        ; implicit-def: $vgpr17
	s_and_saveexec_b64 s[72:73], vcc
	s_xor_b64 s[72:73], exec, s[72:73]
	s_cbranch_execz .LBB4_431
; %bb.430:                              ;   in Loop: Header=BB4_348 Depth=4
	v_and_b32_e32 v17, 0xff, v46
	v_ffbh_u32_e32 v21, v13
	v_bfe_u32 v17, v17, 2, 5
	v_min_u32_e32 v21, 32, v21
	v_mov_b32_e32 v47, v43
	v_subrev_u32_e32 v23, 29, v21
	v_sub_u32_e32 v21, 30, v21
	v_cmp_eq_u32_e32 vcc, 0, v17
	v_lshlrev_b64 v[32:33], v23, v[46:47]
	v_cndmask_b32_e32 v17, v17, v21, vcc
	v_bfrev_b32_e32 v21, 28
	v_bfe_i32 v19, v46, 0, 16
	v_and_b32_e32 v23, 3, v32
	v_lshl_add_u32 v17, v17, 23, v21
	v_cndmask_b32_e32 v13, v13, v23, vcc
	v_and_or_b32 v17, v19, s96, v17
	v_lshl_or_b32 v17, v13, 21, v17
                                        ; implicit-def: $vgpr13
                                        ; implicit-def: $vgpr46
.LBB4_431:                              ;   in Loop: Header=BB4_348 Depth=4
	s_andn2_saveexec_b64 s[72:73], s[72:73]
; %bb.432:                              ;   in Loop: Header=BB4_348 Depth=4
	v_cmp_lt_i16_e32 vcc, -1, v46
	v_cndmask_b32_e32 v17, v6, v1, vcc
	v_cmp_eq_u32_e32 vcc, 0, v13
	v_mov_b32_e32 v13, 0x7f800001
	v_cndmask_b32_e32 v17, v13, v17, vcc
; %bb.433:                              ;   in Loop: Header=BB4_348 Depth=4
	s_or_b64 exec, exec, s[72:73]
.LBB4_434:                              ;   in Loop: Header=BB4_348 Depth=4
	s_or_b64 exec, exec, s[70:71]
.LBB4_435:                              ;   in Loop: Header=BB4_348 Depth=4
	s_or_b64 exec, exec, s[30:31]
	v_max_f32_e32 v13, v17, v17
	v_max_f32_e32 v15, v15, v15
	v_min_f32_e32 v15, v15, v13
.LBB4_436:                              ;   in Loop: Header=BB4_348 Depth=4
	v_and_b32_sdwa v13, v15, s97 dst_sel:DWORD dst_unused:UNUSED_PAD src0_sel:BYTE_3 src1_sel:DWORD
	v_and_b32_e32 v42, 0x7fffff, v15
	v_or_b32_e32 v45, 0x7b, v13
	v_and_b32_e32 v32, 0x7f800000, v15
	v_mov_b32_e32 v33, v43
	v_cmp_ne_u64_e32 vcc, s[52:53], v[32:33]
	s_mov_b64 s[30:31], exec
	s_and_b64 vcc, s[30:31], vcc
	s_xor_b64 s[70:71], vcc, s[30:31]
	v_accvgpr_read_b32 v46, a24
	s_mov_b64 exec, vcc
	s_cbranch_execz .LBB4_450
; %bb.437:                              ;   in Loop: Header=BB4_348 Depth=4
	v_and_b32_e32 v32, 0x7fffffff, v15
	v_mov_b32_e32 v33, v43
	v_cmp_gt_u64_e32 vcc, s[54:55], v[32:33]
	s_and_saveexec_b64 s[30:31], vcc
	s_xor_b64 s[72:73], exec, s[30:31]
	s_cbranch_execz .LBB4_449
; %bb.438:                              ;   in Loop: Header=BB4_348 Depth=4
	v_cmp_ne_u32_e32 vcc, 0, v15
	v_mov_b32_e32 v45, 0
	s_and_saveexec_b64 s[74:75], vcc
	s_cbranch_execz .LBB4_448
; %bb.439:                              ;   in Loop: Header=BB4_348 Depth=4
	v_bfe_u32 v15, v15, 23, 8
	v_cmp_eq_u32_e32 vcc, 0, v15
	v_add_u32_e32 v17, 0xffffff81, v15
	v_cmp_gt_u32_e64 s[30:31], s38, v15
	v_sub_u32_e32 v15, 0x71, v15
	v_mov_b32_e32 v21, 0xffffff82
	v_cndmask_b32_e64 v15, 0, v15, s[30:31]
	v_cndmask_b32_e32 v17, v17, v21, vcc
	v_mov_b32_e32 v21, 0x70
	v_or_b32_e32 v19, 0x800000, v42
	v_cndmask_b32_e32 v15, v15, v21, vcc
	v_cndmask_b32_e32 v42, v19, v42, vcc
	v_add_u32_e32 v19, 21, v15
	v_lshlrev_b64 v[32:33], v19, -1
	v_not_b32_e32 v19, v33
	v_not_b32_e32 v21, v32
	v_and_b32_e32 v33, 0, v19
	v_add_u32_e32 v19, 20, v15
	v_and_b32_e32 v32, v42, v21
	v_lshlrev_b64 v[36:37], v19, 1
	v_cmp_eq_u64_e32 vcc, v[32:33], v[36:37]
	v_lshrrev_b64 v[32:33], v15, v[42:43]
	v_lshrrev_b32_e32 v19, 23, v32
	v_add3_u32 v19, v15, v17, v19
	v_bfe_u32 v15, v32, 21, 1
	v_add_u32_e32 v15, -1, v15
	v_cndmask_b32_e32 v15, 0, v15, vcc
	v_add_u32_e32 v15, v15, v32
	v_and_b32_e32 v15, 0x1fffff, v15
	v_add_co_u32_e32 v44, vcc, v15, v32
	v_add_u32_e32 v17, 14, v19
	v_addc_co_u32_e32 v45, vcc, 0, v33, vcc
	v_cmp_ne_u32_e32 vcc, 0, v17
                                        ; implicit-def: $vgpr15
	s_and_saveexec_b64 s[30:31], vcc
	s_xor_b64 s[30:31], exec, s[30:31]
; %bb.440:                              ;   in Loop: Header=BB4_348 Depth=4
	v_add_u32_e32 v15, 15, v19
	v_cmp_lt_u64_e32 vcc, s[56:57], v[44:45]
	v_cndmask_b32_e32 v15, v17, v15, vcc
	v_cndmask_b32_e64 v17, 0, 1, vcc
	v_lshrrev_b64 v[44:45], v17, v[44:45]
; %bb.441:                              ;   in Loop: Header=BB4_348 Depth=4
	s_andn2_saveexec_b64 vcc, s[30:31]
; %bb.442:                              ;   in Loop: Header=BB4_348 Depth=4
	v_bfe_u32 v15, v44, 23, 1
; %bb.443:                              ;   in Loop: Header=BB4_348 Depth=4
	s_or_b64 exec, exec, vcc
	v_lshrrev_b64 v[32:33], 21, v[44:45]
	v_cmp_gt_i32_e32 vcc, 32, v15
	v_cndmask_b32_e32 v45, 0, v33, vcc
	v_cndmask_b32_e32 v44, 3, v32, vcc
	v_cmp_ne_u32_e32 vcc, 0, v15
	v_cmp_ne_u64_e64 s[30:31], 0, v[44:45]
	s_or_b64 vcc, vcc, s[30:31]
                                        ; implicit-def: $vgpr45
	s_and_saveexec_b64 s[30:31], vcc
	s_xor_b64 vcc, exec, s[30:31]
; %bb.444:                              ;   in Loop: Header=BB4_348 Depth=4
	v_min_i32_e32 v15, 31, v15
	v_lshl_or_b32 v13, v15, 2, v13
	v_and_or_b32 v45, v44, 3, v13
                                        ; implicit-def: $vgpr13
; %bb.445:                              ;   in Loop: Header=BB4_348 Depth=4
	s_andn2_saveexec_b64 vcc, vcc
; %bb.446:                              ;   in Loop: Header=BB4_348 Depth=4
	v_mov_b32_e32 v45, v13
; %bb.447:                              ;   in Loop: Header=BB4_348 Depth=4
	s_or_b64 exec, exec, vcc
.LBB4_448:                              ;   in Loop: Header=BB4_348 Depth=4
	s_or_b64 exec, exec, s[74:75]
.LBB4_449:                              ;   in Loop: Header=BB4_348 Depth=4
	s_andn2_saveexec_b64 vcc, s[72:73]
	s_or_b64 exec, exec, vcc
                                        ; implicit-def: $vgpr15
.LBB4_450:                              ;   in Loop: Header=BB4_348 Depth=4
	s_andn2_saveexec_b64 s[30:31], s[70:71]
; %bb.451:                              ;   in Loop: Header=BB4_348 Depth=4
	v_or_b32_sdwa v13, v15, s39 dst_sel:DWORD dst_unused:UNUSED_PAD src0_sel:BYTE_3 src1_sel:DWORD
	v_cmp_eq_u64_e32 vcc, 0, v[42:43]
	v_cndmask_b32_e32 v45, v13, v45, vcc
; %bb.452:                              ;   in Loop: Header=BB4_348 Depth=4
	s_or_b64 exec, exec, s[30:31]
	v_and_b32_e32 v13, 0xff, v26
	s_and_b64 vcc, exec, s[28:29]
	v_cmp_ne_u16_e64 s[30:31], 0, v26
	s_cbranch_vccnz .LBB4_470
; %bb.453:                              ;   in Loop: Header=BB4_348 Depth=4
	v_mov_b32_e32 v17, 0
	v_mov_b32_e32 v15, 0
	s_and_saveexec_b64 s[70:71], s[30:31]
	s_cbranch_execz .LBB4_461
; %bb.454:                              ;   in Loop: Header=BB4_348 Depth=4
	v_cmp_ne_u16_e32 vcc, s94, v26
	v_bfrev_b32_e32 v15, 1
	s_and_saveexec_b64 s[72:73], vcc
	s_cbranch_execz .LBB4_460
; %bb.455:                              ;   in Loop: Header=BB4_348 Depth=4
	v_and_b32_e32 v15, 0x7c, v13
	v_and_b32_e32 v19, 3, v13
	v_cmp_ne_u32_e32 vcc, s95, v15
                                        ; implicit-def: $vgpr15
	s_and_saveexec_b64 s[26:27], vcc
	s_xor_b64 s[74:75], exec, s[26:27]
	s_cbranch_execz .LBB4_457
; %bb.456:                              ;   in Loop: Header=BB4_348 Depth=4
	v_ffbh_u32_e32 v23, v19
	v_bfe_u32 v15, v13, 2, 5
	v_min_u32_e32 v23, 32, v23
	v_mov_b32_e32 v27, v43
	v_subrev_u32_e32 v25, 29, v23
	v_sub_u32_e32 v23, 30, v23
	v_cmp_eq_u32_e32 vcc, 0, v15
	v_lshlrev_b64 v[32:33], v25, v[26:27]
	v_cndmask_b32_e32 v15, v15, v23, vcc
	v_bfrev_b32_e32 v23, 28
	v_bfe_i32 v21, v26, 0, 16
	v_and_b32_e32 v25, 3, v32
	v_lshl_add_u32 v15, v15, 23, v23
	v_cndmask_b32_e32 v19, v19, v25, vcc
	v_and_or_b32 v15, v21, s96, v15
	v_lshl_or_b32 v15, v19, 21, v15
                                        ; implicit-def: $vgpr19
.LBB4_457:                              ;   in Loop: Header=BB4_348 Depth=4
	s_andn2_saveexec_b64 s[74:75], s[74:75]
; %bb.458:                              ;   in Loop: Header=BB4_348 Depth=4
	v_cmp_lt_i16_e32 vcc, -1, v26
	v_cndmask_b32_e32 v15, v6, v1, vcc
	v_cmp_eq_u32_e32 vcc, 0, v19
	v_mov_b32_e32 v19, 0x7f800001
	v_cndmask_b32_e32 v15, v19, v15, vcc
; %bb.459:                              ;   in Loop: Header=BB4_348 Depth=4
	s_or_b64 exec, exec, s[74:75]
.LBB4_460:                              ;   in Loop: Header=BB4_348 Depth=4
	s_or_b64 exec, exec, s[72:73]
.LBB4_461:                              ;   in Loop: Header=BB4_348 Depth=4
	s_or_b64 exec, exec, s[70:71]
	v_cmp_ne_u16_e32 vcc, 0, v52
	s_and_saveexec_b64 s[70:71], vcc
	s_cbranch_execz .LBB4_469
; %bb.462:                              ;   in Loop: Header=BB4_348 Depth=4
	v_cmp_ne_u16_e32 vcc, s94, v52
	v_bfrev_b32_e32 v17, 1
	s_and_saveexec_b64 s[72:73], vcc
	s_cbranch_execz .LBB4_468
; %bb.463:                              ;   in Loop: Header=BB4_348 Depth=4
	v_and_b32_e32 v17, 0x7c, v52
	v_and_b32_e32 v19, 3, v52
	v_cmp_ne_u32_e32 vcc, s95, v17
                                        ; implicit-def: $vgpr17
	s_and_saveexec_b64 s[26:27], vcc
	s_xor_b64 s[74:75], exec, s[26:27]
	s_cbranch_execz .LBB4_465
; %bb.464:                              ;   in Loop: Header=BB4_348 Depth=4
	v_and_b32_e32 v17, 0xff, v52
	v_ffbh_u32_e32 v23, v19
	v_bfe_u32 v17, v17, 2, 5
	v_min_u32_e32 v23, 32, v23
	v_mov_b32_e32 v53, v43
	v_subrev_u32_e32 v25, 29, v23
	v_sub_u32_e32 v23, 30, v23
	v_cmp_eq_u32_e32 vcc, 0, v17
	v_lshlrev_b64 v[32:33], v25, v[52:53]
	v_cndmask_b32_e32 v17, v17, v23, vcc
	v_bfrev_b32_e32 v23, 28
	v_bfe_i32 v21, v52, 0, 16
	v_and_b32_e32 v25, 3, v32
	v_lshl_add_u32 v17, v17, 23, v23
	v_cndmask_b32_e32 v19, v19, v25, vcc
	v_and_or_b32 v17, v21, s96, v17
	v_lshl_or_b32 v17, v19, 21, v17
                                        ; implicit-def: $vgpr19
.LBB4_465:                              ;   in Loop: Header=BB4_348 Depth=4
	s_andn2_saveexec_b64 s[74:75], s[74:75]
; %bb.466:                              ;   in Loop: Header=BB4_348 Depth=4
	v_cmp_lt_i16_e32 vcc, -1, v52
	v_cndmask_b32_e32 v17, v6, v1, vcc
	v_cmp_eq_u32_e32 vcc, 0, v19
	v_mov_b32_e32 v19, 0x7f800001
	v_cndmask_b32_e32 v17, v19, v17, vcc
; %bb.467:                              ;   in Loop: Header=BB4_348 Depth=4
	s_or_b64 exec, exec, s[74:75]
.LBB4_468:                              ;   in Loop: Header=BB4_348 Depth=4
	s_or_b64 exec, exec, s[72:73]
.LBB4_469:                              ;   in Loop: Header=BB4_348 Depth=4
	s_or_b64 exec, exec, s[70:71]
	v_max_f32_e32 v17, v17, v17
	v_max_f32_e32 v15, v15, v15
	;; [unrolled: 1-line block ×3, first 2 shown]
	s_branch .LBB4_488
.LBB4_470:                              ;   in Loop: Header=BB4_348 Depth=4
                                        ; implicit-def: $vgpr15
	s_cbranch_execz .LBB4_488
; %bb.471:                              ;   in Loop: Header=BB4_348 Depth=4
	v_mov_b32_e32 v17, 0
	v_mov_b32_e32 v15, 0
	s_and_saveexec_b64 s[70:71], s[30:31]
	s_cbranch_execz .LBB4_479
; %bb.472:                              ;   in Loop: Header=BB4_348 Depth=4
	v_cmp_ne_u16_e32 vcc, s94, v26
	v_bfrev_b32_e32 v15, 1
	s_and_saveexec_b64 s[30:31], vcc
	s_cbranch_execz .LBB4_478
; %bb.473:                              ;   in Loop: Header=BB4_348 Depth=4
	v_and_b32_e32 v15, 0x7c, v13
	v_and_b32_e32 v19, 3, v13
	v_cmp_ne_u32_e32 vcc, s95, v15
                                        ; implicit-def: $vgpr15
	s_and_saveexec_b64 s[26:27], vcc
	s_xor_b64 s[72:73], exec, s[26:27]
	s_cbranch_execz .LBB4_475
; %bb.474:                              ;   in Loop: Header=BB4_348 Depth=4
	v_ffbh_u32_e32 v21, v19
	v_bfe_u32 v13, v13, 2, 5
	v_min_u32_e32 v21, 32, v21
	v_mov_b32_e32 v27, v43
	v_subrev_u32_e32 v23, 29, v21
	v_sub_u32_e32 v21, 30, v21
	v_cmp_eq_u32_e32 vcc, 0, v13
	v_bfe_i32 v15, v26, 0, 16
	v_lshlrev_b64 v[26:27], v23, v[26:27]
	v_cndmask_b32_e32 v13, v13, v21, vcc
	v_bfrev_b32_e32 v21, 28
	v_and_b32_e32 v23, 3, v26
	v_lshl_add_u32 v13, v13, 23, v21
	v_cndmask_b32_e32 v19, v19, v23, vcc
	v_and_or_b32 v13, v15, s96, v13
	v_lshl_or_b32 v15, v19, 21, v13
                                        ; implicit-def: $vgpr19
                                        ; implicit-def: $vgpr26
.LBB4_475:                              ;   in Loop: Header=BB4_348 Depth=4
	s_andn2_saveexec_b64 s[72:73], s[72:73]
; %bb.476:                              ;   in Loop: Header=BB4_348 Depth=4
	v_cmp_lt_i16_e32 vcc, -1, v26
	v_cndmask_b32_e32 v13, v6, v1, vcc
	v_cmp_eq_u32_e32 vcc, 0, v19
	v_mov_b32_e32 v15, 0x7f800001
	v_cndmask_b32_e32 v15, v15, v13, vcc
; %bb.477:                              ;   in Loop: Header=BB4_348 Depth=4
	s_or_b64 exec, exec, s[72:73]
.LBB4_478:                              ;   in Loop: Header=BB4_348 Depth=4
	s_or_b64 exec, exec, s[30:31]
.LBB4_479:                              ;   in Loop: Header=BB4_348 Depth=4
	s_or_b64 exec, exec, s[70:71]
	v_cmp_ne_u16_e32 vcc, 0, v52
	s_and_saveexec_b64 s[30:31], vcc
	s_cbranch_execz .LBB4_487
; %bb.480:                              ;   in Loop: Header=BB4_348 Depth=4
	v_cmp_ne_u16_e32 vcc, s94, v52
	v_bfrev_b32_e32 v17, 1
	s_and_saveexec_b64 s[70:71], vcc
	s_cbranch_execz .LBB4_486
; %bb.481:                              ;   in Loop: Header=BB4_348 Depth=4
	v_and_b32_e32 v17, 0x7c, v52
	v_and_b32_e32 v13, 3, v52
	v_cmp_ne_u32_e32 vcc, s95, v17
                                        ; implicit-def: $vgpr17
	s_and_saveexec_b64 s[26:27], vcc
	s_xor_b64 s[72:73], exec, s[26:27]
	s_cbranch_execz .LBB4_483
; %bb.482:                              ;   in Loop: Header=BB4_348 Depth=4
	v_and_b32_e32 v17, 0xff, v52
	v_ffbh_u32_e32 v21, v13
	v_bfe_u32 v17, v17, 2, 5
	v_min_u32_e32 v21, 32, v21
	v_mov_b32_e32 v53, v43
	v_subrev_u32_e32 v23, 29, v21
	v_sub_u32_e32 v21, 30, v21
	v_cmp_eq_u32_e32 vcc, 0, v17
	v_lshlrev_b64 v[26:27], v23, v[52:53]
	v_cndmask_b32_e32 v17, v17, v21, vcc
	v_bfrev_b32_e32 v21, 28
	v_bfe_i32 v19, v52, 0, 16
	v_and_b32_e32 v23, 3, v26
	v_lshl_add_u32 v17, v17, 23, v21
	v_cndmask_b32_e32 v13, v13, v23, vcc
	v_and_or_b32 v17, v19, s96, v17
	v_lshl_or_b32 v17, v13, 21, v17
                                        ; implicit-def: $vgpr13
                                        ; implicit-def: $vgpr52
.LBB4_483:                              ;   in Loop: Header=BB4_348 Depth=4
	s_andn2_saveexec_b64 s[72:73], s[72:73]
; %bb.484:                              ;   in Loop: Header=BB4_348 Depth=4
	v_cmp_lt_i16_e32 vcc, -1, v52
	v_cndmask_b32_e32 v17, v6, v1, vcc
	v_cmp_eq_u32_e32 vcc, 0, v13
	v_mov_b32_e32 v13, 0x7f800001
	v_cndmask_b32_e32 v17, v13, v17, vcc
; %bb.485:                              ;   in Loop: Header=BB4_348 Depth=4
	s_or_b64 exec, exec, s[72:73]
.LBB4_486:                              ;   in Loop: Header=BB4_348 Depth=4
	s_or_b64 exec, exec, s[70:71]
.LBB4_487:                              ;   in Loop: Header=BB4_348 Depth=4
	s_or_b64 exec, exec, s[30:31]
	v_max_f32_e32 v13, v17, v17
	v_max_f32_e32 v15, v15, v15
	v_min_f32_e32 v15, v15, v13
.LBB4_488:                              ;   in Loop: Header=BB4_348 Depth=4
	v_and_b32_sdwa v13, v15, s97 dst_sel:DWORD dst_unused:UNUSED_PAD src0_sel:BYTE_3 src1_sel:DWORD
	v_and_b32_e32 v26, 0x7f800000, v15
	v_mov_b32_e32 v27, v43
	v_and_b32_e32 v42, 0x7fffff, v15
	v_or_b32_e32 v52, 0x7b, v13
	v_cmp_ne_u64_e32 vcc, s[52:53], v[26:27]
	s_and_saveexec_b64 s[26:27], vcc
	s_xor_b64 s[70:71], exec, s[26:27]
	s_cbranch_execz .LBB4_502
; %bb.489:                              ;   in Loop: Header=BB4_348 Depth=4
	v_and_b32_e32 v26, 0x7fffffff, v15
	v_mov_b32_e32 v27, v43
	v_cmp_gt_u64_e32 vcc, s[54:55], v[26:27]
	s_and_saveexec_b64 s[26:27], vcc
	s_xor_b64 s[72:73], exec, s[26:27]
	s_cbranch_execz .LBB4_501
; %bb.490:                              ;   in Loop: Header=BB4_348 Depth=4
	v_cmp_ne_u32_e32 vcc, 0, v15
	v_mov_b32_e32 v52, 0
	s_and_saveexec_b64 s[74:75], vcc
	s_cbranch_execz .LBB4_500
; %bb.491:                              ;   in Loop: Header=BB4_348 Depth=4
	v_bfe_u32 v15, v15, 23, 8
	v_cmp_eq_u32_e32 vcc, 0, v15
	v_add_u32_e32 v17, 0xffffff81, v15
	v_cmp_gt_u32_e64 s[30:31], s38, v15
	v_sub_u32_e32 v15, 0x71, v15
	v_mov_b32_e32 v21, 0xffffff82
	v_cndmask_b32_e64 v15, 0, v15, s[30:31]
	v_cndmask_b32_e32 v17, v17, v21, vcc
	v_mov_b32_e32 v21, 0x70
	v_or_b32_e32 v19, 0x800000, v42
	v_cndmask_b32_e32 v15, v15, v21, vcc
	v_cndmask_b32_e32 v42, v19, v42, vcc
	v_add_u32_e32 v19, 21, v15
	v_lshlrev_b64 v[26:27], v19, -1
	v_not_b32_e32 v19, v27
	v_not_b32_e32 v21, v26
	v_and_b32_e32 v27, 0, v19
	v_add_u32_e32 v19, 20, v15
	v_and_b32_e32 v26, v42, v21
	v_lshlrev_b64 v[32:33], v19, 1
	v_cmp_eq_u64_e32 vcc, v[26:27], v[32:33]
	v_lshrrev_b64 v[26:27], v15, v[42:43]
	v_lshrrev_b32_e32 v19, 23, v26
	v_add3_u32 v19, v15, v17, v19
	v_bfe_u32 v15, v26, 21, 1
	v_add_u32_e32 v15, -1, v15
	v_cndmask_b32_e32 v15, 0, v15, vcc
	v_add_u32_e32 v15, v15, v26
	v_and_b32_e32 v15, 0x1fffff, v15
	v_add_co_u32_e32 v26, vcc, v15, v26
	v_add_u32_e32 v17, 14, v19
	v_addc_co_u32_e32 v27, vcc, 0, v27, vcc
	v_cmp_ne_u32_e32 vcc, 0, v17
                                        ; implicit-def: $vgpr15
	s_and_saveexec_b64 s[26:27], vcc
	s_xor_b64 s[30:31], exec, s[26:27]
; %bb.492:                              ;   in Loop: Header=BB4_348 Depth=4
	v_add_u32_e32 v15, 15, v19
	v_cmp_lt_u64_e32 vcc, s[56:57], v[26:27]
	v_cndmask_b32_e32 v15, v17, v15, vcc
	v_cndmask_b32_e64 v17, 0, 1, vcc
	v_lshrrev_b64 v[26:27], v17, v[26:27]
; %bb.493:                              ;   in Loop: Header=BB4_348 Depth=4
	s_andn2_saveexec_b64 vcc, s[30:31]
; %bb.494:                              ;   in Loop: Header=BB4_348 Depth=4
	v_bfe_u32 v15, v26, 23, 1
; %bb.495:                              ;   in Loop: Header=BB4_348 Depth=4
	s_or_b64 exec, exec, vcc
	v_lshrrev_b64 v[26:27], 21, v[26:27]
	v_cmp_gt_i32_e32 vcc, 32, v15
	v_cndmask_b32_e32 v27, 0, v27, vcc
	v_cndmask_b32_e32 v26, 3, v26, vcc
	v_cmp_ne_u32_e32 vcc, 0, v15
	v_cmp_ne_u64_e64 s[30:31], 0, v[26:27]
	s_or_b64 s[26:27], vcc, s[30:31]
                                        ; implicit-def: $vgpr52
	s_and_saveexec_b64 vcc, s[26:27]
	s_xor_b64 vcc, exec, vcc
; %bb.496:                              ;   in Loop: Header=BB4_348 Depth=4
	v_min_i32_e32 v15, 31, v15
	v_lshl_or_b32 v13, v15, 2, v13
	v_and_or_b32 v52, v26, 3, v13
                                        ; implicit-def: $vgpr13
; %bb.497:                              ;   in Loop: Header=BB4_348 Depth=4
	s_andn2_saveexec_b64 vcc, vcc
; %bb.498:                              ;   in Loop: Header=BB4_348 Depth=4
	v_mov_b32_e32 v52, v13
; %bb.499:                              ;   in Loop: Header=BB4_348 Depth=4
	s_or_b64 exec, exec, vcc
.LBB4_500:                              ;   in Loop: Header=BB4_348 Depth=4
	s_or_b64 exec, exec, s[74:75]
.LBB4_501:                              ;   in Loop: Header=BB4_348 Depth=4
	s_andn2_saveexec_b64 vcc, s[72:73]
	s_or_b64 exec, exec, vcc
                                        ; implicit-def: $vgpr15
.LBB4_502:                              ;   in Loop: Header=BB4_348 Depth=4
	s_andn2_saveexec_b64 s[30:31], s[70:71]
; %bb.503:                              ;   in Loop: Header=BB4_348 Depth=4
	v_or_b32_sdwa v13, v15, s39 dst_sel:DWORD dst_unused:UNUSED_PAD src0_sel:BYTE_3 src1_sel:DWORD
	v_cmp_eq_u64_e32 vcc, 0, v[42:43]
	v_cndmask_b32_e32 v52, v13, v52, vcc
; %bb.504:                              ;   in Loop: Header=BB4_348 Depth=4
	s_or_b64 exec, exec, s[30:31]
	v_and_b32_e32 v13, 0xff, v38
	s_and_b64 vcc, exec, s[28:29]
	v_cmp_ne_u16_e64 s[30:31], 0, v38
	s_cbranch_vccnz .LBB4_522
; %bb.505:                              ;   in Loop: Header=BB4_348 Depth=4
	v_mov_b32_e32 v17, 0
	v_mov_b32_e32 v15, 0
	s_and_saveexec_b64 s[70:71], s[30:31]
	s_cbranch_execz .LBB4_513
; %bb.506:                              ;   in Loop: Header=BB4_348 Depth=4
	v_cmp_ne_u16_e32 vcc, s94, v38
	v_bfrev_b32_e32 v15, 1
	s_and_saveexec_b64 s[72:73], vcc
	s_cbranch_execz .LBB4_512
; %bb.507:                              ;   in Loop: Header=BB4_348 Depth=4
	v_and_b32_e32 v15, 0x7c, v13
	v_and_b32_e32 v19, 3, v13
	v_cmp_ne_u32_e32 vcc, s95, v15
                                        ; implicit-def: $vgpr15
	s_and_saveexec_b64 s[26:27], vcc
	s_xor_b64 s[74:75], exec, s[26:27]
	s_cbranch_execz .LBB4_509
; %bb.508:                              ;   in Loop: Header=BB4_348 Depth=4
	v_ffbh_u32_e32 v23, v19
	v_bfe_u32 v15, v13, 2, 5
	v_min_u32_e32 v23, 32, v23
	v_mov_b32_e32 v39, v43
	v_subrev_u32_e32 v25, 29, v23
	v_sub_u32_e32 v23, 30, v23
	v_cmp_eq_u32_e32 vcc, 0, v15
	v_lshlrev_b64 v[26:27], v25, v[38:39]
	v_cndmask_b32_e32 v15, v15, v23, vcc
	v_bfrev_b32_e32 v23, 28
	v_bfe_i32 v21, v38, 0, 16
	v_and_b32_e32 v25, 3, v26
	v_lshl_add_u32 v15, v15, 23, v23
	v_cndmask_b32_e32 v19, v19, v25, vcc
	v_and_or_b32 v15, v21, s96, v15
	v_lshl_or_b32 v15, v19, 21, v15
                                        ; implicit-def: $vgpr19
.LBB4_509:                              ;   in Loop: Header=BB4_348 Depth=4
	s_andn2_saveexec_b64 s[74:75], s[74:75]
; %bb.510:                              ;   in Loop: Header=BB4_348 Depth=4
	v_cmp_lt_i16_e32 vcc, -1, v38
	v_cndmask_b32_e32 v15, v6, v1, vcc
	v_cmp_eq_u32_e32 vcc, 0, v19
	v_mov_b32_e32 v19, 0x7f800001
	v_cndmask_b32_e32 v15, v19, v15, vcc
; %bb.511:                              ;   in Loop: Header=BB4_348 Depth=4
	s_or_b64 exec, exec, s[74:75]
.LBB4_512:                              ;   in Loop: Header=BB4_348 Depth=4
	s_or_b64 exec, exec, s[72:73]
.LBB4_513:                              ;   in Loop: Header=BB4_348 Depth=4
	s_or_b64 exec, exec, s[70:71]
	v_cmp_ne_u16_e32 vcc, 0, v56
	s_and_saveexec_b64 s[70:71], vcc
	s_cbranch_execz .LBB4_521
; %bb.514:                              ;   in Loop: Header=BB4_348 Depth=4
	v_cmp_ne_u16_e32 vcc, s94, v56
	v_bfrev_b32_e32 v17, 1
	s_and_saveexec_b64 s[72:73], vcc
	s_cbranch_execz .LBB4_520
; %bb.515:                              ;   in Loop: Header=BB4_348 Depth=4
	v_and_b32_e32 v17, 0x7c, v56
	v_and_b32_e32 v19, 3, v56
	v_cmp_ne_u32_e32 vcc, s95, v17
                                        ; implicit-def: $vgpr17
	s_and_saveexec_b64 s[26:27], vcc
	s_xor_b64 s[74:75], exec, s[26:27]
	s_cbranch_execz .LBB4_517
; %bb.516:                              ;   in Loop: Header=BB4_348 Depth=4
	v_and_b32_e32 v17, 0xff, v56
	v_ffbh_u32_e32 v23, v19
	v_bfe_u32 v17, v17, 2, 5
	v_min_u32_e32 v23, 32, v23
	v_mov_b32_e32 v57, v43
	v_subrev_u32_e32 v25, 29, v23
	v_sub_u32_e32 v23, 30, v23
	v_cmp_eq_u32_e32 vcc, 0, v17
	v_lshlrev_b64 v[26:27], v25, v[56:57]
	v_cndmask_b32_e32 v17, v17, v23, vcc
	v_bfrev_b32_e32 v23, 28
	v_bfe_i32 v21, v56, 0, 16
	v_and_b32_e32 v25, 3, v26
	v_lshl_add_u32 v17, v17, 23, v23
	v_cndmask_b32_e32 v19, v19, v25, vcc
	v_and_or_b32 v17, v21, s96, v17
	v_lshl_or_b32 v17, v19, 21, v17
                                        ; implicit-def: $vgpr19
.LBB4_517:                              ;   in Loop: Header=BB4_348 Depth=4
	s_andn2_saveexec_b64 s[74:75], s[74:75]
; %bb.518:                              ;   in Loop: Header=BB4_348 Depth=4
	v_cmp_lt_i16_e32 vcc, -1, v56
	v_cndmask_b32_e32 v17, v6, v1, vcc
	v_cmp_eq_u32_e32 vcc, 0, v19
	v_mov_b32_e32 v19, 0x7f800001
	v_cndmask_b32_e32 v17, v19, v17, vcc
; %bb.519:                              ;   in Loop: Header=BB4_348 Depth=4
	s_or_b64 exec, exec, s[74:75]
.LBB4_520:                              ;   in Loop: Header=BB4_348 Depth=4
	s_or_b64 exec, exec, s[72:73]
.LBB4_521:                              ;   in Loop: Header=BB4_348 Depth=4
	s_or_b64 exec, exec, s[70:71]
	v_max_f32_e32 v17, v17, v17
	v_max_f32_e32 v15, v15, v15
	;; [unrolled: 1-line block ×3, first 2 shown]
	s_branch .LBB4_540
.LBB4_522:                              ;   in Loop: Header=BB4_348 Depth=4
                                        ; implicit-def: $vgpr15
	s_cbranch_execz .LBB4_540
; %bb.523:                              ;   in Loop: Header=BB4_348 Depth=4
	v_mov_b32_e32 v17, 0
	v_mov_b32_e32 v15, 0
	s_and_saveexec_b64 s[70:71], s[30:31]
	s_cbranch_execz .LBB4_531
; %bb.524:                              ;   in Loop: Header=BB4_348 Depth=4
	v_cmp_ne_u16_e32 vcc, s94, v38
	v_bfrev_b32_e32 v15, 1
	s_and_saveexec_b64 s[30:31], vcc
	s_cbranch_execz .LBB4_530
; %bb.525:                              ;   in Loop: Header=BB4_348 Depth=4
	v_and_b32_e32 v15, 0x7c, v13
	v_and_b32_e32 v19, 3, v13
	v_cmp_ne_u32_e32 vcc, s95, v15
                                        ; implicit-def: $vgpr15
	s_and_saveexec_b64 s[26:27], vcc
	s_xor_b64 s[72:73], exec, s[26:27]
	s_cbranch_execz .LBB4_527
; %bb.526:                              ;   in Loop: Header=BB4_348 Depth=4
	v_ffbh_u32_e32 v21, v19
	v_bfe_u32 v13, v13, 2, 5
	v_min_u32_e32 v21, 32, v21
	v_mov_b32_e32 v39, v43
	v_subrev_u32_e32 v23, 29, v21
	v_sub_u32_e32 v21, 30, v21
	v_cmp_eq_u32_e32 vcc, 0, v13
	v_lshlrev_b64 v[26:27], v23, v[38:39]
	v_cndmask_b32_e32 v13, v13, v21, vcc
	v_bfrev_b32_e32 v21, 28
	v_bfe_i32 v15, v38, 0, 16
	v_and_b32_e32 v23, 3, v26
	v_lshl_add_u32 v13, v13, 23, v21
	v_cndmask_b32_e32 v19, v19, v23, vcc
	v_and_or_b32 v13, v15, s96, v13
	v_lshl_or_b32 v15, v19, 21, v13
                                        ; implicit-def: $vgpr19
                                        ; implicit-def: $vgpr38
.LBB4_527:                              ;   in Loop: Header=BB4_348 Depth=4
	s_andn2_saveexec_b64 s[72:73], s[72:73]
; %bb.528:                              ;   in Loop: Header=BB4_348 Depth=4
	v_cmp_lt_i16_e32 vcc, -1, v38
	v_cndmask_b32_e32 v13, v6, v1, vcc
	v_cmp_eq_u32_e32 vcc, 0, v19
	v_mov_b32_e32 v15, 0x7f800001
	v_cndmask_b32_e32 v15, v15, v13, vcc
; %bb.529:                              ;   in Loop: Header=BB4_348 Depth=4
	s_or_b64 exec, exec, s[72:73]
.LBB4_530:                              ;   in Loop: Header=BB4_348 Depth=4
	s_or_b64 exec, exec, s[30:31]
.LBB4_531:                              ;   in Loop: Header=BB4_348 Depth=4
	s_or_b64 exec, exec, s[70:71]
	v_cmp_ne_u16_e32 vcc, 0, v56
	s_and_saveexec_b64 s[30:31], vcc
	s_cbranch_execz .LBB4_539
; %bb.532:                              ;   in Loop: Header=BB4_348 Depth=4
	v_cmp_ne_u16_e32 vcc, s94, v56
	v_bfrev_b32_e32 v17, 1
	s_and_saveexec_b64 s[70:71], vcc
	s_cbranch_execz .LBB4_538
; %bb.533:                              ;   in Loop: Header=BB4_348 Depth=4
	v_and_b32_e32 v17, 0x7c, v56
	v_and_b32_e32 v13, 3, v56
	v_cmp_ne_u32_e32 vcc, s95, v17
                                        ; implicit-def: $vgpr17
	s_and_saveexec_b64 s[26:27], vcc
	s_xor_b64 s[72:73], exec, s[26:27]
	s_cbranch_execz .LBB4_535
; %bb.534:                              ;   in Loop: Header=BB4_348 Depth=4
	v_and_b32_e32 v17, 0xff, v56
	v_ffbh_u32_e32 v21, v13
	v_bfe_u32 v17, v17, 2, 5
	v_min_u32_e32 v21, 32, v21
	v_mov_b32_e32 v57, v43
	v_subrev_u32_e32 v23, 29, v21
	v_sub_u32_e32 v21, 30, v21
	v_cmp_eq_u32_e32 vcc, 0, v17
	v_lshlrev_b64 v[26:27], v23, v[56:57]
	v_cndmask_b32_e32 v17, v17, v21, vcc
	v_bfrev_b32_e32 v21, 28
	v_bfe_i32 v19, v56, 0, 16
	v_and_b32_e32 v23, 3, v26
	v_lshl_add_u32 v17, v17, 23, v21
	v_cndmask_b32_e32 v13, v13, v23, vcc
	v_and_or_b32 v17, v19, s96, v17
	v_lshl_or_b32 v17, v13, 21, v17
                                        ; implicit-def: $vgpr13
                                        ; implicit-def: $vgpr56
.LBB4_535:                              ;   in Loop: Header=BB4_348 Depth=4
	s_andn2_saveexec_b64 s[72:73], s[72:73]
; %bb.536:                              ;   in Loop: Header=BB4_348 Depth=4
	v_cmp_lt_i16_e32 vcc, -1, v56
	v_cndmask_b32_e32 v17, v6, v1, vcc
	v_cmp_eq_u32_e32 vcc, 0, v13
	v_mov_b32_e32 v13, 0x7f800001
	v_cndmask_b32_e32 v17, v13, v17, vcc
; %bb.537:                              ;   in Loop: Header=BB4_348 Depth=4
	s_or_b64 exec, exec, s[72:73]
.LBB4_538:                              ;   in Loop: Header=BB4_348 Depth=4
	s_or_b64 exec, exec, s[70:71]
.LBB4_539:                              ;   in Loop: Header=BB4_348 Depth=4
	s_or_b64 exec, exec, s[30:31]
	v_max_f32_e32 v13, v17, v17
	v_max_f32_e32 v15, v15, v15
	v_min_f32_e32 v15, v15, v13
.LBB4_540:                              ;   in Loop: Header=BB4_348 Depth=4
	v_and_b32_sdwa v13, v15, s97 dst_sel:DWORD dst_unused:UNUSED_PAD src0_sel:BYTE_3 src1_sel:DWORD
	v_and_b32_e32 v32, 0x7f800000, v15
	v_mov_b32_e32 v33, v43
	v_and_b32_e32 v42, 0x7fffff, v15
	v_or_b32_e32 v27, 0x7b, v13
	v_cmp_ne_u64_e32 vcc, s[52:53], v[32:33]
	s_and_saveexec_b64 s[26:27], vcc
	s_xor_b64 s[70:71], exec, s[26:27]
	s_cbranch_execz .LBB4_554
; %bb.541:                              ;   in Loop: Header=BB4_348 Depth=4
	v_and_b32_e32 v32, 0x7fffffff, v15
	v_mov_b32_e32 v33, v43
	v_cmp_gt_u64_e32 vcc, s[54:55], v[32:33]
	s_and_saveexec_b64 s[26:27], vcc
	s_xor_b64 s[72:73], exec, s[26:27]
	s_cbranch_execz .LBB4_553
; %bb.542:                              ;   in Loop: Header=BB4_348 Depth=4
	v_cmp_ne_u32_e32 vcc, 0, v15
	v_mov_b32_e32 v27, 0
	s_and_saveexec_b64 s[74:75], vcc
	s_cbranch_execz .LBB4_552
; %bb.543:                              ;   in Loop: Header=BB4_348 Depth=4
	v_bfe_u32 v15, v15, 23, 8
	v_cmp_eq_u32_e32 vcc, 0, v15
	v_add_u32_e32 v17, 0xffffff81, v15
	v_cmp_gt_u32_e64 s[30:31], s38, v15
	v_sub_u32_e32 v15, 0x71, v15
	v_mov_b32_e32 v21, 0xffffff82
	v_cndmask_b32_e64 v15, 0, v15, s[30:31]
	v_cndmask_b32_e32 v17, v17, v21, vcc
	v_mov_b32_e32 v21, 0x70
	v_or_b32_e32 v19, 0x800000, v42
	v_cndmask_b32_e32 v15, v15, v21, vcc
	v_cndmask_b32_e32 v42, v19, v42, vcc
	v_add_u32_e32 v19, 21, v15
	v_lshlrev_b64 v[26:27], v19, -1
	v_not_b32_e32 v19, v27
	v_not_b32_e32 v21, v26
	v_and_b32_e32 v27, 0, v19
	v_add_u32_e32 v19, 20, v15
	v_and_b32_e32 v26, v42, v21
	v_lshlrev_b64 v[32:33], v19, 1
	v_cmp_eq_u64_e32 vcc, v[26:27], v[32:33]
	v_lshrrev_b64 v[26:27], v15, v[42:43]
	v_lshrrev_b32_e32 v19, 23, v26
	v_add3_u32 v19, v15, v17, v19
	v_bfe_u32 v15, v26, 21, 1
	v_add_u32_e32 v15, -1, v15
	v_cndmask_b32_e32 v15, 0, v15, vcc
	v_add_u32_e32 v15, v15, v26
	v_and_b32_e32 v15, 0x1fffff, v15
	v_add_co_u32_e32 v26, vcc, v15, v26
	v_add_u32_e32 v17, 14, v19
	v_addc_co_u32_e32 v27, vcc, 0, v27, vcc
	v_cmp_ne_u32_e32 vcc, 0, v17
                                        ; implicit-def: $vgpr15
	s_and_saveexec_b64 s[26:27], vcc
	s_xor_b64 s[30:31], exec, s[26:27]
; %bb.544:                              ;   in Loop: Header=BB4_348 Depth=4
	v_add_u32_e32 v15, 15, v19
	v_cmp_lt_u64_e32 vcc, s[56:57], v[26:27]
	v_cndmask_b32_e32 v15, v17, v15, vcc
	v_cndmask_b32_e64 v17, 0, 1, vcc
	v_lshrrev_b64 v[26:27], v17, v[26:27]
; %bb.545:                              ;   in Loop: Header=BB4_348 Depth=4
	s_andn2_saveexec_b64 vcc, s[30:31]
; %bb.546:                              ;   in Loop: Header=BB4_348 Depth=4
	v_bfe_u32 v15, v26, 23, 1
; %bb.547:                              ;   in Loop: Header=BB4_348 Depth=4
	s_or_b64 exec, exec, vcc
	v_lshrrev_b64 v[26:27], 21, v[26:27]
	v_cmp_gt_i32_e32 vcc, 32, v15
	v_cndmask_b32_e32 v27, 0, v27, vcc
	v_cndmask_b32_e32 v26, 3, v26, vcc
	v_cmp_ne_u32_e32 vcc, 0, v15
	v_cmp_ne_u64_e64 s[30:31], 0, v[26:27]
	s_or_b64 s[26:27], vcc, s[30:31]
                                        ; implicit-def: $vgpr27
	s_and_saveexec_b64 vcc, s[26:27]
	s_xor_b64 vcc, exec, vcc
; %bb.548:                              ;   in Loop: Header=BB4_348 Depth=4
	v_min_i32_e32 v15, 31, v15
	v_lshl_or_b32 v13, v15, 2, v13
	v_and_or_b32 v27, v26, 3, v13
                                        ; implicit-def: $vgpr13
; %bb.549:                              ;   in Loop: Header=BB4_348 Depth=4
	s_andn2_saveexec_b64 vcc, vcc
; %bb.550:                              ;   in Loop: Header=BB4_348 Depth=4
	v_mov_b32_e32 v27, v13
; %bb.551:                              ;   in Loop: Header=BB4_348 Depth=4
	s_or_b64 exec, exec, vcc
.LBB4_552:                              ;   in Loop: Header=BB4_348 Depth=4
	s_or_b64 exec, exec, s[74:75]
.LBB4_553:                              ;   in Loop: Header=BB4_348 Depth=4
	s_andn2_saveexec_b64 vcc, s[72:73]
	s_or_b64 exec, exec, vcc
                                        ; implicit-def: $vgpr15
.LBB4_554:                              ;   in Loop: Header=BB4_348 Depth=4
	s_andn2_saveexec_b64 s[30:31], s[70:71]
; %bb.555:                              ;   in Loop: Header=BB4_348 Depth=4
	v_or_b32_sdwa v13, v15, s39 dst_sel:DWORD dst_unused:UNUSED_PAD src0_sel:BYTE_3 src1_sel:DWORD
	v_cmp_eq_u64_e32 vcc, 0, v[42:43]
	v_cndmask_b32_e32 v27, v13, v27, vcc
; %bb.556:                              ;   in Loop: Header=BB4_348 Depth=4
	s_or_b64 exec, exec, s[30:31]
	v_and_b32_e32 v13, 0xff, v40
	s_and_b64 vcc, exec, s[28:29]
	v_cmp_ne_u16_e64 s[30:31], 0, v40
	s_cbranch_vccnz .LBB4_574
; %bb.557:                              ;   in Loop: Header=BB4_348 Depth=4
	v_mov_b32_e32 v17, 0
	v_mov_b32_e32 v15, 0
	s_and_saveexec_b64 s[70:71], s[30:31]
	s_cbranch_execz .LBB4_565
; %bb.558:                              ;   in Loop: Header=BB4_348 Depth=4
	v_cmp_ne_u16_e32 vcc, s94, v40
	v_bfrev_b32_e32 v15, 1
	s_and_saveexec_b64 s[72:73], vcc
	s_cbranch_execz .LBB4_564
; %bb.559:                              ;   in Loop: Header=BB4_348 Depth=4
	v_and_b32_e32 v15, 0x7c, v13
	v_and_b32_e32 v19, 3, v13
	v_cmp_ne_u32_e32 vcc, s95, v15
                                        ; implicit-def: $vgpr15
	s_and_saveexec_b64 s[26:27], vcc
	s_xor_b64 s[74:75], exec, s[26:27]
	s_cbranch_execz .LBB4_561
; %bb.560:                              ;   in Loop: Header=BB4_348 Depth=4
	v_ffbh_u32_e32 v23, v19
	v_bfe_u32 v15, v13, 2, 5
	v_min_u32_e32 v23, 32, v23
	v_mov_b32_e32 v41, v43
	v_subrev_u32_e32 v25, 29, v23
	v_sub_u32_e32 v23, 30, v23
	v_cmp_eq_u32_e32 vcc, 0, v15
	v_lshlrev_b64 v[32:33], v25, v[40:41]
	v_cndmask_b32_e32 v15, v15, v23, vcc
	v_bfrev_b32_e32 v23, 28
	v_bfe_i32 v21, v40, 0, 16
	v_and_b32_e32 v25, 3, v32
	v_lshl_add_u32 v15, v15, 23, v23
	v_cndmask_b32_e32 v19, v19, v25, vcc
	v_and_or_b32 v15, v21, s96, v15
	v_accvgpr_read_b32 v41, a25
	v_lshl_or_b32 v15, v19, 21, v15
                                        ; implicit-def: $vgpr19
.LBB4_561:                              ;   in Loop: Header=BB4_348 Depth=4
	s_andn2_saveexec_b64 s[74:75], s[74:75]
; %bb.562:                              ;   in Loop: Header=BB4_348 Depth=4
	v_cmp_lt_i16_e32 vcc, -1, v40
	v_cndmask_b32_e32 v15, v6, v1, vcc
	v_cmp_eq_u32_e32 vcc, 0, v19
	v_mov_b32_e32 v19, 0x7f800001
	v_cndmask_b32_e32 v15, v19, v15, vcc
; %bb.563:                              ;   in Loop: Header=BB4_348 Depth=4
	s_or_b64 exec, exec, s[74:75]
.LBB4_564:                              ;   in Loop: Header=BB4_348 Depth=4
	s_or_b64 exec, exec, s[72:73]
.LBB4_565:                              ;   in Loop: Header=BB4_348 Depth=4
	s_or_b64 exec, exec, s[70:71]
	v_cmp_ne_u16_e32 vcc, 0, v24
	s_and_saveexec_b64 s[70:71], vcc
	s_cbranch_execz .LBB4_573
; %bb.566:                              ;   in Loop: Header=BB4_348 Depth=4
	v_cmp_ne_u16_e32 vcc, s94, v24
	v_bfrev_b32_e32 v17, 1
	s_and_saveexec_b64 s[72:73], vcc
	s_cbranch_execz .LBB4_572
; %bb.567:                              ;   in Loop: Header=BB4_348 Depth=4
	v_and_b32_e32 v17, 0x7c, v24
	v_and_b32_e32 v19, 3, v24
	v_cmp_ne_u32_e32 vcc, s95, v17
                                        ; implicit-def: $vgpr17
	s_and_saveexec_b64 s[26:27], vcc
	s_xor_b64 s[74:75], exec, s[26:27]
	s_cbranch_execz .LBB4_569
; %bb.568:                              ;   in Loop: Header=BB4_348 Depth=4
	v_and_b32_e32 v17, 0xff, v24
	v_ffbh_u32_e32 v23, v19
	v_bfe_u32 v17, v17, 2, 5
	v_min_u32_e32 v23, 32, v23
	v_mov_b32_e32 v25, v43
	v_subrev_u32_e32 v26, 29, v23
	v_sub_u32_e32 v23, 30, v23
	v_cmp_eq_u32_e32 vcc, 0, v17
	v_lshlrev_b64 v[32:33], v26, v[24:25]
	v_cndmask_b32_e32 v17, v17, v23, vcc
	v_bfrev_b32_e32 v23, 28
	v_bfe_i32 v21, v24, 0, 16
	v_and_b32_e32 v25, 3, v32
	v_lshl_add_u32 v17, v17, 23, v23
	v_cndmask_b32_e32 v19, v19, v25, vcc
	v_and_or_b32 v17, v21, s96, v17
	v_lshl_or_b32 v17, v19, 21, v17
                                        ; implicit-def: $vgpr19
.LBB4_569:                              ;   in Loop: Header=BB4_348 Depth=4
	s_andn2_saveexec_b64 s[74:75], s[74:75]
; %bb.570:                              ;   in Loop: Header=BB4_348 Depth=4
	v_cmp_lt_i16_e32 vcc, -1, v24
	v_cndmask_b32_e32 v17, v6, v1, vcc
	v_cmp_eq_u32_e32 vcc, 0, v19
	v_mov_b32_e32 v19, 0x7f800001
	v_cndmask_b32_e32 v17, v19, v17, vcc
; %bb.571:                              ;   in Loop: Header=BB4_348 Depth=4
	s_or_b64 exec, exec, s[74:75]
.LBB4_572:                              ;   in Loop: Header=BB4_348 Depth=4
	s_or_b64 exec, exec, s[72:73]
.LBB4_573:                              ;   in Loop: Header=BB4_348 Depth=4
	s_or_b64 exec, exec, s[70:71]
	v_max_f32_e32 v17, v17, v17
	v_max_f32_e32 v15, v15, v15
	;; [unrolled: 1-line block ×3, first 2 shown]
	s_branch .LBB4_592
.LBB4_574:                              ;   in Loop: Header=BB4_348 Depth=4
                                        ; implicit-def: $vgpr15
	s_cbranch_execz .LBB4_592
; %bb.575:                              ;   in Loop: Header=BB4_348 Depth=4
	v_mov_b32_e32 v17, 0
	v_mov_b32_e32 v15, 0
	s_and_saveexec_b64 s[70:71], s[30:31]
	s_cbranch_execz .LBB4_583
; %bb.576:                              ;   in Loop: Header=BB4_348 Depth=4
	v_cmp_ne_u16_e32 vcc, s94, v40
	v_bfrev_b32_e32 v15, 1
	s_and_saveexec_b64 s[30:31], vcc
	s_cbranch_execz .LBB4_582
; %bb.577:                              ;   in Loop: Header=BB4_348 Depth=4
	v_and_b32_e32 v15, 0x7c, v13
	v_and_b32_e32 v19, 3, v13
	v_cmp_ne_u32_e32 vcc, s95, v15
                                        ; implicit-def: $vgpr15
	s_and_saveexec_b64 s[26:27], vcc
	s_xor_b64 s[72:73], exec, s[26:27]
	s_cbranch_execz .LBB4_579
; %bb.578:                              ;   in Loop: Header=BB4_348 Depth=4
	v_ffbh_u32_e32 v21, v19
	v_bfe_u32 v13, v13, 2, 5
	v_min_u32_e32 v21, 32, v21
	v_mov_b32_e32 v41, v43
	v_subrev_u32_e32 v23, 29, v21
	v_sub_u32_e32 v21, 30, v21
	v_cmp_eq_u32_e32 vcc, 0, v13
	v_lshlrev_b64 v[32:33], v23, v[40:41]
	v_cndmask_b32_e32 v13, v13, v21, vcc
	v_bfrev_b32_e32 v21, 28
	v_bfe_i32 v15, v40, 0, 16
	v_and_b32_e32 v23, 3, v32
	v_lshl_add_u32 v13, v13, 23, v21
	v_cndmask_b32_e32 v19, v19, v23, vcc
	v_and_or_b32 v13, v15, s96, v13
	v_accvgpr_read_b32 v41, a25
	v_lshl_or_b32 v15, v19, 21, v13
                                        ; implicit-def: $vgpr19
                                        ; implicit-def: $vgpr40
.LBB4_579:                              ;   in Loop: Header=BB4_348 Depth=4
	s_andn2_saveexec_b64 s[72:73], s[72:73]
; %bb.580:                              ;   in Loop: Header=BB4_348 Depth=4
	v_cmp_lt_i16_e32 vcc, -1, v40
	v_cndmask_b32_e32 v13, v6, v1, vcc
	v_cmp_eq_u32_e32 vcc, 0, v19
	v_mov_b32_e32 v15, 0x7f800001
	v_cndmask_b32_e32 v15, v15, v13, vcc
; %bb.581:                              ;   in Loop: Header=BB4_348 Depth=4
	s_or_b64 exec, exec, s[72:73]
.LBB4_582:                              ;   in Loop: Header=BB4_348 Depth=4
	s_or_b64 exec, exec, s[30:31]
.LBB4_583:                              ;   in Loop: Header=BB4_348 Depth=4
	s_or_b64 exec, exec, s[70:71]
	v_cmp_ne_u16_e32 vcc, 0, v24
	s_and_saveexec_b64 s[30:31], vcc
	s_cbranch_execz .LBB4_591
; %bb.584:                              ;   in Loop: Header=BB4_348 Depth=4
	v_cmp_ne_u16_e32 vcc, s94, v24
	v_bfrev_b32_e32 v17, 1
	s_and_saveexec_b64 s[70:71], vcc
	s_cbranch_execz .LBB4_590
; %bb.585:                              ;   in Loop: Header=BB4_348 Depth=4
	v_and_b32_e32 v17, 0x7c, v24
	v_and_b32_e32 v13, 3, v24
	v_cmp_ne_u32_e32 vcc, s95, v17
                                        ; implicit-def: $vgpr17
	s_and_saveexec_b64 s[26:27], vcc
	s_xor_b64 s[72:73], exec, s[26:27]
	s_cbranch_execz .LBB4_587
; %bb.586:                              ;   in Loop: Header=BB4_348 Depth=4
	v_and_b32_e32 v17, 0xff, v24
	v_ffbh_u32_e32 v21, v13
	v_bfe_u32 v17, v17, 2, 5
	v_min_u32_e32 v21, 32, v21
	v_mov_b32_e32 v25, v43
	v_subrev_u32_e32 v23, 29, v21
	v_sub_u32_e32 v21, 30, v21
	v_cmp_eq_u32_e32 vcc, 0, v17
	v_bfe_i32 v19, v24, 0, 16
	v_lshlrev_b64 v[24:25], v23, v[24:25]
	v_cndmask_b32_e32 v17, v17, v21, vcc
	v_bfrev_b32_e32 v21, 28
	v_and_b32_e32 v23, 3, v24
	v_lshl_add_u32 v17, v17, 23, v21
	v_cndmask_b32_e32 v13, v13, v23, vcc
	v_and_or_b32 v17, v19, s96, v17
	v_lshl_or_b32 v17, v13, 21, v17
                                        ; implicit-def: $vgpr13
                                        ; implicit-def: $vgpr24
.LBB4_587:                              ;   in Loop: Header=BB4_348 Depth=4
	s_andn2_saveexec_b64 s[72:73], s[72:73]
; %bb.588:                              ;   in Loop: Header=BB4_348 Depth=4
	v_cmp_lt_i16_e32 vcc, -1, v24
	v_cndmask_b32_e32 v17, v6, v1, vcc
	v_cmp_eq_u32_e32 vcc, 0, v13
	v_mov_b32_e32 v13, 0x7f800001
	v_cndmask_b32_e32 v17, v13, v17, vcc
; %bb.589:                              ;   in Loop: Header=BB4_348 Depth=4
	s_or_b64 exec, exec, s[72:73]
.LBB4_590:                              ;   in Loop: Header=BB4_348 Depth=4
	s_or_b64 exec, exec, s[70:71]
.LBB4_591:                              ;   in Loop: Header=BB4_348 Depth=4
	s_or_b64 exec, exec, s[30:31]
	v_max_f32_e32 v13, v17, v17
	v_max_f32_e32 v15, v15, v15
	v_min_f32_e32 v15, v15, v13
.LBB4_592:                              ;   in Loop: Header=BB4_348 Depth=4
	v_and_b32_sdwa v13, v15, s97 dst_sel:DWORD dst_unused:UNUSED_PAD src0_sel:BYTE_3 src1_sel:DWORD
	v_and_b32_e32 v32, 0x7f800000, v15
	v_mov_b32_e32 v33, v43
	v_and_b32_e32 v42, 0x7fffff, v15
	v_or_b32_e32 v25, 0x7b, v13
	v_cmp_ne_u64_e32 vcc, s[52:53], v[32:33]
	s_and_saveexec_b64 s[26:27], vcc
	s_xor_b64 s[70:71], exec, s[26:27]
	s_cbranch_execz .LBB4_606
; %bb.593:                              ;   in Loop: Header=BB4_348 Depth=4
	v_and_b32_e32 v32, 0x7fffffff, v15
	v_mov_b32_e32 v33, v43
	v_cmp_gt_u64_e32 vcc, s[54:55], v[32:33]
	s_and_saveexec_b64 s[26:27], vcc
	s_xor_b64 s[72:73], exec, s[26:27]
	s_cbranch_execz .LBB4_605
; %bb.594:                              ;   in Loop: Header=BB4_348 Depth=4
	v_cmp_ne_u32_e32 vcc, 0, v15
	v_mov_b32_e32 v25, 0
	s_and_saveexec_b64 s[74:75], vcc
	s_cbranch_execz .LBB4_604
; %bb.595:                              ;   in Loop: Header=BB4_348 Depth=4
	v_bfe_u32 v15, v15, 23, 8
	v_cmp_eq_u32_e32 vcc, 0, v15
	v_add_u32_e32 v17, 0xffffff81, v15
	v_cmp_gt_u32_e64 s[30:31], s38, v15
	v_sub_u32_e32 v15, 0x71, v15
	v_mov_b32_e32 v21, 0xffffff82
	v_cndmask_b32_e64 v15, 0, v15, s[30:31]
	v_cndmask_b32_e32 v17, v17, v21, vcc
	v_mov_b32_e32 v21, 0x70
	v_or_b32_e32 v19, 0x800000, v42
	v_cndmask_b32_e32 v15, v15, v21, vcc
	v_cndmask_b32_e32 v42, v19, v42, vcc
	v_add_u32_e32 v19, 21, v15
	v_lshlrev_b64 v[24:25], v19, -1
	v_not_b32_e32 v19, v25
	v_not_b32_e32 v21, v24
	v_and_b32_e32 v25, 0, v19
	v_add_u32_e32 v19, 20, v15
	v_and_b32_e32 v24, v42, v21
	v_lshlrev_b64 v[32:33], v19, 1
	v_cmp_eq_u64_e32 vcc, v[24:25], v[32:33]
	v_lshrrev_b64 v[24:25], v15, v[42:43]
	v_lshrrev_b32_e32 v19, 23, v24
	v_add3_u32 v19, v15, v17, v19
	v_bfe_u32 v15, v24, 21, 1
	v_add_u32_e32 v15, -1, v15
	v_cndmask_b32_e32 v15, 0, v15, vcc
	v_add_u32_e32 v15, v15, v24
	v_and_b32_e32 v15, 0x1fffff, v15
	v_add_co_u32_e32 v24, vcc, v15, v24
	v_add_u32_e32 v17, 14, v19
	v_addc_co_u32_e32 v25, vcc, 0, v25, vcc
	v_cmp_ne_u32_e32 vcc, 0, v17
                                        ; implicit-def: $vgpr15
	s_and_saveexec_b64 s[26:27], vcc
	s_xor_b64 s[30:31], exec, s[26:27]
; %bb.596:                              ;   in Loop: Header=BB4_348 Depth=4
	v_add_u32_e32 v15, 15, v19
	v_cmp_lt_u64_e32 vcc, s[56:57], v[24:25]
	v_cndmask_b32_e32 v15, v17, v15, vcc
	v_cndmask_b32_e64 v17, 0, 1, vcc
	v_lshrrev_b64 v[24:25], v17, v[24:25]
; %bb.597:                              ;   in Loop: Header=BB4_348 Depth=4
	s_andn2_saveexec_b64 vcc, s[30:31]
; %bb.598:                              ;   in Loop: Header=BB4_348 Depth=4
	v_bfe_u32 v15, v24, 23, 1
; %bb.599:                              ;   in Loop: Header=BB4_348 Depth=4
	s_or_b64 exec, exec, vcc
	v_lshrrev_b64 v[24:25], 21, v[24:25]
	v_cmp_gt_i32_e32 vcc, 32, v15
	v_cndmask_b32_e32 v25, 0, v25, vcc
	v_cndmask_b32_e32 v24, 3, v24, vcc
	v_cmp_ne_u32_e32 vcc, 0, v15
	v_cmp_ne_u64_e64 s[30:31], 0, v[24:25]
	s_or_b64 s[26:27], vcc, s[30:31]
                                        ; implicit-def: $vgpr25
	s_and_saveexec_b64 vcc, s[26:27]
	s_xor_b64 vcc, exec, vcc
; %bb.600:                              ;   in Loop: Header=BB4_348 Depth=4
	v_min_i32_e32 v15, 31, v15
	v_lshl_or_b32 v13, v15, 2, v13
	v_and_or_b32 v25, v24, 3, v13
                                        ; implicit-def: $vgpr13
; %bb.601:                              ;   in Loop: Header=BB4_348 Depth=4
	s_andn2_saveexec_b64 vcc, vcc
; %bb.602:                              ;   in Loop: Header=BB4_348 Depth=4
	v_mov_b32_e32 v25, v13
; %bb.603:                              ;   in Loop: Header=BB4_348 Depth=4
	s_or_b64 exec, exec, vcc
.LBB4_604:                              ;   in Loop: Header=BB4_348 Depth=4
	s_or_b64 exec, exec, s[74:75]
.LBB4_605:                              ;   in Loop: Header=BB4_348 Depth=4
	s_andn2_saveexec_b64 vcc, s[72:73]
	s_or_b64 exec, exec, vcc
                                        ; implicit-def: $vgpr15
.LBB4_606:                              ;   in Loop: Header=BB4_348 Depth=4
	s_andn2_saveexec_b64 s[30:31], s[70:71]
; %bb.607:                              ;   in Loop: Header=BB4_348 Depth=4
	v_or_b32_sdwa v13, v15, s39 dst_sel:DWORD dst_unused:UNUSED_PAD src0_sel:BYTE_3 src1_sel:DWORD
	v_cmp_eq_u64_e32 vcc, 0, v[42:43]
	v_cndmask_b32_e32 v25, v13, v25, vcc
; %bb.608:                              ;   in Loop: Header=BB4_348 Depth=4
	s_or_b64 exec, exec, s[30:31]
	v_and_b32_e32 v13, 0xff, v22
	s_and_b64 vcc, exec, s[28:29]
	v_cmp_ne_u16_e64 s[30:31], 0, v22
	s_cbranch_vccnz .LBB4_626
; %bb.609:                              ;   in Loop: Header=BB4_348 Depth=4
	v_mov_b32_e32 v17, 0
	v_mov_b32_e32 v15, 0
	s_and_saveexec_b64 s[70:71], s[30:31]
	s_cbranch_execz .LBB4_617
; %bb.610:                              ;   in Loop: Header=BB4_348 Depth=4
	v_cmp_ne_u16_e32 vcc, s94, v22
	v_bfrev_b32_e32 v15, 1
	s_and_saveexec_b64 s[72:73], vcc
	s_cbranch_execz .LBB4_616
; %bb.611:                              ;   in Loop: Header=BB4_348 Depth=4
	v_and_b32_e32 v15, 0x7c, v13
	v_and_b32_e32 v19, 3, v13
	v_cmp_ne_u32_e32 vcc, s95, v15
                                        ; implicit-def: $vgpr15
	s_and_saveexec_b64 s[26:27], vcc
	s_xor_b64 s[74:75], exec, s[26:27]
	s_cbranch_execz .LBB4_613
; %bb.612:                              ;   in Loop: Header=BB4_348 Depth=4
	v_ffbh_u32_e32 v24, v19
	v_min_u32_e32 v24, 32, v24
	v_mov_b32_e32 v23, v43
	v_bfe_u32 v15, v13, 2, 5
	v_subrev_u32_e32 v26, 29, v24
	v_lshlrev_b64 v[32:33], v26, v[22:23]
	v_sub_u32_e32 v23, 30, v24
	v_cmp_eq_u32_e32 vcc, 0, v15
	v_cndmask_b32_e32 v15, v15, v23, vcc
	v_bfrev_b32_e32 v23, 28
	v_bfe_i32 v21, v22, 0, 16
	v_and_b32_e32 v24, 3, v32
	v_lshl_add_u32 v15, v15, 23, v23
	v_cndmask_b32_e32 v19, v19, v24, vcc
	v_and_or_b32 v15, v21, s96, v15
	v_lshl_or_b32 v15, v19, 21, v15
                                        ; implicit-def: $vgpr19
.LBB4_613:                              ;   in Loop: Header=BB4_348 Depth=4
	s_andn2_saveexec_b64 s[74:75], s[74:75]
; %bb.614:                              ;   in Loop: Header=BB4_348 Depth=4
	v_cmp_lt_i16_e32 vcc, -1, v22
	v_cndmask_b32_e32 v15, v6, v1, vcc
	v_cmp_eq_u32_e32 vcc, 0, v19
	v_mov_b32_e32 v19, 0x7f800001
	v_cndmask_b32_e32 v15, v19, v15, vcc
; %bb.615:                              ;   in Loop: Header=BB4_348 Depth=4
	s_or_b64 exec, exec, s[74:75]
.LBB4_616:                              ;   in Loop: Header=BB4_348 Depth=4
	s_or_b64 exec, exec, s[72:73]
.LBB4_617:                              ;   in Loop: Header=BB4_348 Depth=4
	s_or_b64 exec, exec, s[70:71]
	v_cmp_ne_u16_e32 vcc, 0, v20
	s_and_saveexec_b64 s[70:71], vcc
	s_cbranch_execz .LBB4_625
; %bb.618:                              ;   in Loop: Header=BB4_348 Depth=4
	v_cmp_ne_u16_e32 vcc, s94, v20
	v_bfrev_b32_e32 v17, 1
	s_and_saveexec_b64 s[72:73], vcc
	s_cbranch_execz .LBB4_624
; %bb.619:                              ;   in Loop: Header=BB4_348 Depth=4
	v_and_b32_e32 v17, 0x7c, v20
	v_and_b32_e32 v19, 3, v20
	v_cmp_ne_u32_e32 vcc, s95, v17
                                        ; implicit-def: $vgpr17
	s_and_saveexec_b64 s[26:27], vcc
	s_xor_b64 s[74:75], exec, s[26:27]
	s_cbranch_execz .LBB4_621
; %bb.620:                              ;   in Loop: Header=BB4_348 Depth=4
	v_ffbh_u32_e32 v24, v19
	v_and_b32_e32 v17, 0xff, v20
	v_min_u32_e32 v24, 32, v24
	v_mov_b32_e32 v21, v43
	v_bfe_u32 v17, v17, 2, 5
	v_subrev_u32_e32 v26, 29, v24
	v_lshlrev_b64 v[32:33], v26, v[20:21]
	v_sub_u32_e32 v21, 30, v24
	v_cmp_eq_u32_e32 vcc, 0, v17
	v_cndmask_b32_e32 v17, v17, v21, vcc
	v_bfrev_b32_e32 v21, 28
	v_bfe_i32 v23, v20, 0, 16
	v_and_b32_e32 v24, 3, v32
	v_lshl_add_u32 v17, v17, 23, v21
	v_cndmask_b32_e32 v19, v19, v24, vcc
	v_and_or_b32 v17, v23, s96, v17
	v_lshl_or_b32 v17, v19, 21, v17
                                        ; implicit-def: $vgpr19
.LBB4_621:                              ;   in Loop: Header=BB4_348 Depth=4
	s_andn2_saveexec_b64 s[74:75], s[74:75]
; %bb.622:                              ;   in Loop: Header=BB4_348 Depth=4
	v_cmp_lt_i16_e32 vcc, -1, v20
	v_cndmask_b32_e32 v17, v6, v1, vcc
	v_cmp_eq_u32_e32 vcc, 0, v19
	v_mov_b32_e32 v19, 0x7f800001
	v_cndmask_b32_e32 v17, v19, v17, vcc
; %bb.623:                              ;   in Loop: Header=BB4_348 Depth=4
	s_or_b64 exec, exec, s[74:75]
.LBB4_624:                              ;   in Loop: Header=BB4_348 Depth=4
	s_or_b64 exec, exec, s[72:73]
.LBB4_625:                              ;   in Loop: Header=BB4_348 Depth=4
	s_or_b64 exec, exec, s[70:71]
	v_max_f32_e32 v17, v17, v17
	v_max_f32_e32 v15, v15, v15
	;; [unrolled: 1-line block ×3, first 2 shown]
	s_branch .LBB4_644
.LBB4_626:                              ;   in Loop: Header=BB4_348 Depth=4
                                        ; implicit-def: $vgpr15
	s_cbranch_execz .LBB4_644
; %bb.627:                              ;   in Loop: Header=BB4_348 Depth=4
	v_mov_b32_e32 v17, 0
	v_mov_b32_e32 v15, 0
	s_and_saveexec_b64 s[70:71], s[30:31]
	s_cbranch_execz .LBB4_635
; %bb.628:                              ;   in Loop: Header=BB4_348 Depth=4
	v_cmp_ne_u16_e32 vcc, s94, v22
	v_bfrev_b32_e32 v15, 1
	s_and_saveexec_b64 s[30:31], vcc
	s_cbranch_execz .LBB4_634
; %bb.629:                              ;   in Loop: Header=BB4_348 Depth=4
	v_and_b32_e32 v15, 0x7c, v13
	v_and_b32_e32 v19, 3, v13
	v_cmp_ne_u32_e32 vcc, s95, v15
                                        ; implicit-def: $vgpr15
	s_and_saveexec_b64 s[26:27], vcc
	s_xor_b64 s[72:73], exec, s[26:27]
	s_cbranch_execz .LBB4_631
; %bb.630:                              ;   in Loop: Header=BB4_348 Depth=4
	v_ffbh_u32_e32 v21, v19
	v_bfe_u32 v13, v13, 2, 5
	v_min_u32_e32 v21, 32, v21
	v_mov_b32_e32 v23, v43
	v_subrev_u32_e32 v24, 29, v21
	v_sub_u32_e32 v21, 30, v21
	v_cmp_eq_u32_e32 vcc, 0, v13
	v_bfe_i32 v15, v22, 0, 16
	v_lshlrev_b64 v[22:23], v24, v[22:23]
	v_cndmask_b32_e32 v13, v13, v21, vcc
	v_bfrev_b32_e32 v21, 28
	v_and_b32_e32 v22, 3, v22
	v_lshl_add_u32 v13, v13, 23, v21
	v_cndmask_b32_e32 v19, v19, v22, vcc
	v_and_or_b32 v13, v15, s96, v13
	v_lshl_or_b32 v15, v19, 21, v13
                                        ; implicit-def: $vgpr19
                                        ; implicit-def: $vgpr22
.LBB4_631:                              ;   in Loop: Header=BB4_348 Depth=4
	s_andn2_saveexec_b64 s[72:73], s[72:73]
; %bb.632:                              ;   in Loop: Header=BB4_348 Depth=4
	v_cmp_lt_i16_e32 vcc, -1, v22
	v_cndmask_b32_e32 v13, v6, v1, vcc
	v_cmp_eq_u32_e32 vcc, 0, v19
	v_mov_b32_e32 v15, 0x7f800001
	v_cndmask_b32_e32 v15, v15, v13, vcc
; %bb.633:                              ;   in Loop: Header=BB4_348 Depth=4
	s_or_b64 exec, exec, s[72:73]
.LBB4_634:                              ;   in Loop: Header=BB4_348 Depth=4
	s_or_b64 exec, exec, s[30:31]
.LBB4_635:                              ;   in Loop: Header=BB4_348 Depth=4
	s_or_b64 exec, exec, s[70:71]
	v_cmp_ne_u16_e32 vcc, 0, v20
	s_and_saveexec_b64 s[30:31], vcc
	s_cbranch_execz .LBB4_643
; %bb.636:                              ;   in Loop: Header=BB4_348 Depth=4
	v_cmp_ne_u16_e32 vcc, s94, v20
	v_bfrev_b32_e32 v17, 1
	s_and_saveexec_b64 s[70:71], vcc
	s_cbranch_execz .LBB4_642
; %bb.637:                              ;   in Loop: Header=BB4_348 Depth=4
	v_and_b32_e32 v17, 0x7c, v20
	v_and_b32_e32 v13, 3, v20
	v_cmp_ne_u32_e32 vcc, s95, v17
                                        ; implicit-def: $vgpr17
	s_and_saveexec_b64 s[26:27], vcc
	s_xor_b64 s[72:73], exec, s[26:27]
	s_cbranch_execz .LBB4_639
; %bb.638:                              ;   in Loop: Header=BB4_348 Depth=4
	v_ffbh_u32_e32 v22, v13
	v_min_u32_e32 v22, 32, v22
	v_and_b32_e32 v17, 0xff, v20
	v_mov_b32_e32 v21, v43
	v_subrev_u32_e32 v23, 29, v22
	v_bfe_u32 v17, v17, 2, 5
	v_bfe_i32 v19, v20, 0, 16
	v_lshlrev_b64 v[20:21], v23, v[20:21]
	v_sub_u32_e32 v21, 30, v22
	v_and_b32_e32 v20, 3, v20
	v_cmp_eq_u32_e32 vcc, 0, v17
	v_cndmask_b32_e32 v17, v17, v21, vcc
	v_cndmask_b32_e32 v13, v13, v20, vcc
	v_bfrev_b32_e32 v20, 28
	v_lshl_add_u32 v17, v17, 23, v20
	v_and_or_b32 v17, v19, s96, v17
	v_lshl_or_b32 v17, v13, 21, v17
                                        ; implicit-def: $vgpr13
                                        ; implicit-def: $vgpr20
.LBB4_639:                              ;   in Loop: Header=BB4_348 Depth=4
	s_andn2_saveexec_b64 s[72:73], s[72:73]
; %bb.640:                              ;   in Loop: Header=BB4_348 Depth=4
	v_cmp_lt_i16_e32 vcc, -1, v20
	v_cndmask_b32_e32 v17, v6, v1, vcc
	v_cmp_eq_u32_e32 vcc, 0, v13
	v_mov_b32_e32 v13, 0x7f800001
	v_cndmask_b32_e32 v17, v13, v17, vcc
; %bb.641:                              ;   in Loop: Header=BB4_348 Depth=4
	s_or_b64 exec, exec, s[72:73]
.LBB4_642:                              ;   in Loop: Header=BB4_348 Depth=4
	s_or_b64 exec, exec, s[70:71]
.LBB4_643:                              ;   in Loop: Header=BB4_348 Depth=4
	s_or_b64 exec, exec, s[30:31]
	v_max_f32_e32 v13, v17, v17
	v_max_f32_e32 v15, v15, v15
	v_min_f32_e32 v15, v15, v13
.LBB4_644:                              ;   in Loop: Header=BB4_348 Depth=4
	v_and_b32_sdwa v13, v15, s97 dst_sel:DWORD dst_unused:UNUSED_PAD src0_sel:BYTE_3 src1_sel:DWORD
	v_and_b32_e32 v22, 0x7f800000, v15
	v_mov_b32_e32 v23, v43
	v_and_b32_e32 v42, 0x7fffff, v15
	v_or_b32_e32 v21, 0x7b, v13
	v_cmp_ne_u64_e32 vcc, s[52:53], v[22:23]
	s_and_saveexec_b64 s[26:27], vcc
	s_xor_b64 s[70:71], exec, s[26:27]
	s_cbranch_execz .LBB4_658
; %bb.645:                              ;   in Loop: Header=BB4_348 Depth=4
	v_and_b32_e32 v22, 0x7fffffff, v15
	v_mov_b32_e32 v23, v43
	v_cmp_gt_u64_e32 vcc, s[54:55], v[22:23]
	s_and_saveexec_b64 s[26:27], vcc
	s_xor_b64 s[72:73], exec, s[26:27]
	s_cbranch_execz .LBB4_657
; %bb.646:                              ;   in Loop: Header=BB4_348 Depth=4
	v_cmp_ne_u32_e32 vcc, 0, v15
	v_mov_b32_e32 v21, 0
	s_and_saveexec_b64 s[74:75], vcc
	s_cbranch_execz .LBB4_656
; %bb.647:                              ;   in Loop: Header=BB4_348 Depth=4
	v_bfe_u32 v15, v15, 23, 8
	v_cmp_eq_u32_e32 vcc, 0, v15
	v_add_u32_e32 v17, 0xffffff81, v15
	v_cmp_gt_u32_e64 s[30:31], s38, v15
	v_sub_u32_e32 v15, 0x71, v15
	v_mov_b32_e32 v20, 0xffffff82
	v_cndmask_b32_e64 v15, 0, v15, s[30:31]
	v_cndmask_b32_e32 v17, v17, v20, vcc
	v_mov_b32_e32 v20, 0x70
	v_or_b32_e32 v19, 0x800000, v42
	v_cndmask_b32_e32 v15, v15, v20, vcc
	v_cndmask_b32_e32 v42, v19, v42, vcc
	v_add_u32_e32 v19, 21, v15
	v_lshlrev_b64 v[20:21], v19, -1
	v_not_b32_e32 v19, v21
	v_not_b32_e32 v20, v20
	v_and_b32_e32 v21, 0, v19
	v_add_u32_e32 v19, 20, v15
	v_and_b32_e32 v20, v42, v20
	v_lshlrev_b64 v[22:23], v19, 1
	v_cmp_eq_u64_e32 vcc, v[20:21], v[22:23]
	v_lshrrev_b64 v[20:21], v15, v[42:43]
	v_lshrrev_b32_e32 v19, 23, v20
	v_add3_u32 v19, v15, v17, v19
	v_bfe_u32 v15, v20, 21, 1
	v_add_u32_e32 v15, -1, v15
	v_cndmask_b32_e32 v15, 0, v15, vcc
	v_add_u32_e32 v15, v15, v20
	v_and_b32_e32 v15, 0x1fffff, v15
	v_add_co_u32_e32 v20, vcc, v15, v20
	v_add_u32_e32 v17, 14, v19
	v_addc_co_u32_e32 v21, vcc, 0, v21, vcc
	v_cmp_ne_u32_e32 vcc, 0, v17
                                        ; implicit-def: $vgpr15
	s_and_saveexec_b64 s[26:27], vcc
	s_xor_b64 s[30:31], exec, s[26:27]
; %bb.648:                              ;   in Loop: Header=BB4_348 Depth=4
	v_add_u32_e32 v15, 15, v19
	v_cmp_lt_u64_e32 vcc, s[56:57], v[20:21]
	v_cndmask_b32_e32 v15, v17, v15, vcc
	v_cndmask_b32_e64 v17, 0, 1, vcc
	v_lshrrev_b64 v[20:21], v17, v[20:21]
; %bb.649:                              ;   in Loop: Header=BB4_348 Depth=4
	s_andn2_saveexec_b64 vcc, s[30:31]
; %bb.650:                              ;   in Loop: Header=BB4_348 Depth=4
	v_bfe_u32 v15, v20, 23, 1
; %bb.651:                              ;   in Loop: Header=BB4_348 Depth=4
	s_or_b64 exec, exec, vcc
	v_lshrrev_b64 v[20:21], 21, v[20:21]
	v_cmp_gt_i32_e32 vcc, 32, v15
	v_cndmask_b32_e32 v21, 0, v21, vcc
	v_cndmask_b32_e32 v20, 3, v20, vcc
	v_cmp_ne_u32_e32 vcc, 0, v15
	v_cmp_ne_u64_e64 s[30:31], 0, v[20:21]
	s_or_b64 s[26:27], vcc, s[30:31]
                                        ; implicit-def: $vgpr21
	s_and_saveexec_b64 vcc, s[26:27]
	s_xor_b64 vcc, exec, vcc
; %bb.652:                              ;   in Loop: Header=BB4_348 Depth=4
	v_min_i32_e32 v15, 31, v15
	v_lshl_or_b32 v13, v15, 2, v13
	v_and_or_b32 v21, v20, 3, v13
                                        ; implicit-def: $vgpr13
; %bb.653:                              ;   in Loop: Header=BB4_348 Depth=4
	s_andn2_saveexec_b64 vcc, vcc
; %bb.654:                              ;   in Loop: Header=BB4_348 Depth=4
	v_mov_b32_e32 v21, v13
; %bb.655:                              ;   in Loop: Header=BB4_348 Depth=4
	s_or_b64 exec, exec, vcc
.LBB4_656:                              ;   in Loop: Header=BB4_348 Depth=4
	s_or_b64 exec, exec, s[74:75]
.LBB4_657:                              ;   in Loop: Header=BB4_348 Depth=4
	s_andn2_saveexec_b64 vcc, s[72:73]
	s_or_b64 exec, exec, vcc
                                        ; implicit-def: $vgpr15
.LBB4_658:                              ;   in Loop: Header=BB4_348 Depth=4
	s_andn2_saveexec_b64 s[30:31], s[70:71]
; %bb.659:                              ;   in Loop: Header=BB4_348 Depth=4
	v_or_b32_sdwa v13, v15, s39 dst_sel:DWORD dst_unused:UNUSED_PAD src0_sel:BYTE_3 src1_sel:DWORD
	v_cmp_eq_u64_e32 vcc, 0, v[42:43]
	v_cndmask_b32_e32 v21, v13, v21, vcc
; %bb.660:                              ;   in Loop: Header=BB4_348 Depth=4
	s_or_b64 exec, exec, s[30:31]
	v_and_b32_e32 v13, 0xff, v18
	s_and_b64 vcc, exec, s[28:29]
	v_cmp_ne_u16_e64 s[30:31], 0, v18
	s_cbranch_vccnz .LBB4_678
; %bb.661:                              ;   in Loop: Header=BB4_348 Depth=4
	v_mov_b32_e32 v17, 0
	v_mov_b32_e32 v15, 0
	s_and_saveexec_b64 s[70:71], s[30:31]
	s_cbranch_execz .LBB4_669
; %bb.662:                              ;   in Loop: Header=BB4_348 Depth=4
	v_cmp_ne_u16_e32 vcc, s94, v18
	v_bfrev_b32_e32 v15, 1
	s_and_saveexec_b64 s[72:73], vcc
	s_cbranch_execz .LBB4_668
; %bb.663:                              ;   in Loop: Header=BB4_348 Depth=4
	v_and_b32_e32 v15, 0x7c, v13
	v_and_b32_e32 v20, 3, v13
	v_cmp_ne_u32_e32 vcc, s95, v15
                                        ; implicit-def: $vgpr15
	s_and_saveexec_b64 s[26:27], vcc
	s_xor_b64 s[74:75], exec, s[26:27]
	s_cbranch_execz .LBB4_665
; %bb.664:                              ;   in Loop: Header=BB4_348 Depth=4
	v_ffbh_u32_e32 v22, v20
	v_min_u32_e32 v26, 32, v22
	v_mov_b32_e32 v19, v43
	v_subrev_u32_e32 v22, 29, v26
	v_bfe_u32 v15, v13, 2, 5
	v_lshlrev_b64 v[22:23], v22, v[18:19]
	v_sub_u32_e32 v19, 30, v26
	v_and_b32_e32 v22, 3, v22
	v_cmp_eq_u32_e32 vcc, 0, v15
	v_cndmask_b32_e32 v15, v15, v19, vcc
	v_cndmask_b32_e32 v19, v20, v22, vcc
	v_bfrev_b32_e32 v20, 28
	v_bfe_i32 v24, v18, 0, 16
	v_lshl_add_u32 v15, v15, 23, v20
	v_and_or_b32 v15, v24, s96, v15
	v_lshl_or_b32 v15, v19, 21, v15
                                        ; implicit-def: $vgpr20
.LBB4_665:                              ;   in Loop: Header=BB4_348 Depth=4
	s_andn2_saveexec_b64 s[74:75], s[74:75]
; %bb.666:                              ;   in Loop: Header=BB4_348 Depth=4
	v_cmp_lt_i16_e32 vcc, -1, v18
	v_cndmask_b32_e32 v15, v6, v1, vcc
	v_cmp_eq_u32_e32 vcc, 0, v20
	v_mov_b32_e32 v19, 0x7f800001
	v_cndmask_b32_e32 v15, v19, v15, vcc
; %bb.667:                              ;   in Loop: Header=BB4_348 Depth=4
	s_or_b64 exec, exec, s[74:75]
.LBB4_668:                              ;   in Loop: Header=BB4_348 Depth=4
	s_or_b64 exec, exec, s[72:73]
.LBB4_669:                              ;   in Loop: Header=BB4_348 Depth=4
	s_or_b64 exec, exec, s[70:71]
	v_cmp_ne_u16_e32 vcc, 0, v16
	s_and_saveexec_b64 s[70:71], vcc
	s_cbranch_execz .LBB4_677
; %bb.670:                              ;   in Loop: Header=BB4_348 Depth=4
	v_cmp_ne_u16_e32 vcc, s94, v16
	v_bfrev_b32_e32 v17, 1
	s_and_saveexec_b64 s[72:73], vcc
	s_cbranch_execz .LBB4_676
; %bb.671:                              ;   in Loop: Header=BB4_348 Depth=4
	v_and_b32_e32 v17, 0x7c, v16
	v_and_b32_e32 v19, 3, v16
	v_cmp_ne_u32_e32 vcc, s95, v17
                                        ; implicit-def: $vgpr17
	s_and_saveexec_b64 s[26:27], vcc
	s_xor_b64 s[74:75], exec, s[26:27]
	s_cbranch_execz .LBB4_673
; %bb.672:                              ;   in Loop: Header=BB4_348 Depth=4
	v_ffbh_u32_e32 v22, v19
	v_and_b32_e32 v20, 0xff, v16
	v_min_u32_e32 v26, 32, v22
	v_mov_b32_e32 v17, v43
	v_bfe_u32 v20, v20, 2, 5
	v_subrev_u32_e32 v22, 29, v26
	v_lshlrev_b64 v[22:23], v22, v[16:17]
	v_sub_u32_e32 v17, 30, v26
	v_cmp_eq_u32_e32 vcc, 0, v20
	v_cndmask_b32_e32 v17, v20, v17, vcc
	v_bfrev_b32_e32 v20, 28
	v_bfe_i32 v24, v16, 0, 16
	v_and_b32_e32 v22, 3, v22
	v_lshl_add_u32 v17, v17, 23, v20
	v_cndmask_b32_e32 v19, v19, v22, vcc
	v_and_or_b32 v17, v24, s96, v17
	v_lshl_or_b32 v17, v19, 21, v17
                                        ; implicit-def: $vgpr19
.LBB4_673:                              ;   in Loop: Header=BB4_348 Depth=4
	s_andn2_saveexec_b64 s[74:75], s[74:75]
; %bb.674:                              ;   in Loop: Header=BB4_348 Depth=4
	v_cmp_lt_i16_e32 vcc, -1, v16
	v_cndmask_b32_e32 v17, v6, v1, vcc
	v_cmp_eq_u32_e32 vcc, 0, v19
	v_mov_b32_e32 v19, 0x7f800001
	v_cndmask_b32_e32 v17, v19, v17, vcc
; %bb.675:                              ;   in Loop: Header=BB4_348 Depth=4
	s_or_b64 exec, exec, s[74:75]
.LBB4_676:                              ;   in Loop: Header=BB4_348 Depth=4
	s_or_b64 exec, exec, s[72:73]
.LBB4_677:                              ;   in Loop: Header=BB4_348 Depth=4
	s_or_b64 exec, exec, s[70:71]
	v_max_f32_e32 v17, v17, v17
	v_max_f32_e32 v15, v15, v15
	;; [unrolled: 1-line block ×3, first 2 shown]
	s_branch .LBB4_696
.LBB4_678:                              ;   in Loop: Header=BB4_348 Depth=4
                                        ; implicit-def: $vgpr15
	s_cbranch_execz .LBB4_696
; %bb.679:                              ;   in Loop: Header=BB4_348 Depth=4
	v_mov_b32_e32 v17, 0
	v_mov_b32_e32 v15, 0
	s_and_saveexec_b64 s[70:71], s[30:31]
	s_cbranch_execz .LBB4_687
; %bb.680:                              ;   in Loop: Header=BB4_348 Depth=4
	v_cmp_ne_u16_e32 vcc, s94, v18
	v_bfrev_b32_e32 v15, 1
	s_and_saveexec_b64 s[30:31], vcc
	s_cbranch_execz .LBB4_686
; %bb.681:                              ;   in Loop: Header=BB4_348 Depth=4
	v_and_b32_e32 v15, 0x7c, v13
	v_and_b32_e32 v20, 3, v13
	v_cmp_ne_u32_e32 vcc, s95, v15
                                        ; implicit-def: $vgpr15
	s_and_saveexec_b64 s[26:27], vcc
	s_xor_b64 s[72:73], exec, s[26:27]
	s_cbranch_execz .LBB4_683
; %bb.682:                              ;   in Loop: Header=BB4_348 Depth=4
	v_ffbh_u32_e32 v22, v20
	v_min_u32_e32 v22, 32, v22
	v_mov_b32_e32 v19, v43
	v_subrev_u32_e32 v23, 29, v22
	v_bfe_u32 v13, v13, 2, 5
	v_bfe_i32 v15, v18, 0, 16
	v_lshlrev_b64 v[18:19], v23, v[18:19]
	v_sub_u32_e32 v19, 30, v22
	v_cmp_eq_u32_e32 vcc, 0, v13
	v_cndmask_b32_e32 v13, v13, v19, vcc
	v_bfrev_b32_e32 v19, 28
	v_and_b32_e32 v18, 3, v18
	v_lshl_add_u32 v13, v13, 23, v19
	v_cndmask_b32_e32 v18, v20, v18, vcc
	v_and_or_b32 v13, v15, s96, v13
	v_lshl_or_b32 v15, v18, 21, v13
                                        ; implicit-def: $vgpr20
                                        ; implicit-def: $vgpr18
.LBB4_683:                              ;   in Loop: Header=BB4_348 Depth=4
	s_andn2_saveexec_b64 s[72:73], s[72:73]
; %bb.684:                              ;   in Loop: Header=BB4_348 Depth=4
	v_cmp_lt_i16_e32 vcc, -1, v18
	v_cndmask_b32_e32 v13, v6, v1, vcc
	v_cmp_eq_u32_e32 vcc, 0, v20
	v_mov_b32_e32 v15, 0x7f800001
	v_cndmask_b32_e32 v15, v15, v13, vcc
; %bb.685:                              ;   in Loop: Header=BB4_348 Depth=4
	s_or_b64 exec, exec, s[72:73]
.LBB4_686:                              ;   in Loop: Header=BB4_348 Depth=4
	s_or_b64 exec, exec, s[30:31]
.LBB4_687:                              ;   in Loop: Header=BB4_348 Depth=4
	s_or_b64 exec, exec, s[70:71]
	v_cmp_ne_u16_e32 vcc, 0, v16
	s_and_saveexec_b64 s[30:31], vcc
	s_cbranch_execz .LBB4_695
; %bb.688:                              ;   in Loop: Header=BB4_348 Depth=4
	v_cmp_ne_u16_e32 vcc, s94, v16
	v_bfrev_b32_e32 v17, 1
	s_and_saveexec_b64 s[70:71], vcc
	s_cbranch_execz .LBB4_694
; %bb.689:                              ;   in Loop: Header=BB4_348 Depth=4
	v_and_b32_e32 v17, 0x7c, v16
	v_and_b32_e32 v13, 3, v16
	v_cmp_ne_u32_e32 vcc, s95, v17
                                        ; implicit-def: $vgpr17
	s_and_saveexec_b64 s[26:27], vcc
	s_xor_b64 s[72:73], exec, s[26:27]
	s_cbranch_execz .LBB4_691
; %bb.690:                              ;   in Loop: Header=BB4_348 Depth=4
	v_ffbh_u32_e32 v20, v13
	v_min_u32_e32 v20, 32, v20
	v_and_b32_e32 v18, 0xff, v16
	v_mov_b32_e32 v17, v43
	v_subrev_u32_e32 v22, 29, v20
	v_bfe_u32 v18, v18, 2, 5
	v_bfe_i32 v19, v16, 0, 16
	v_lshlrev_b64 v[16:17], v22, v[16:17]
	v_sub_u32_e32 v17, 30, v20
	v_and_b32_e32 v16, 3, v16
	v_cmp_eq_u32_e32 vcc, 0, v18
	v_cndmask_b32_e32 v17, v18, v17, vcc
	v_cndmask_b32_e32 v13, v13, v16, vcc
	v_bfrev_b32_e32 v16, 28
	v_lshl_add_u32 v16, v17, 23, v16
	v_and_or_b32 v16, v19, s96, v16
	v_lshl_or_b32 v17, v13, 21, v16
                                        ; implicit-def: $vgpr13
                                        ; implicit-def: $vgpr16
.LBB4_691:                              ;   in Loop: Header=BB4_348 Depth=4
	s_andn2_saveexec_b64 s[72:73], s[72:73]
; %bb.692:                              ;   in Loop: Header=BB4_348 Depth=4
	v_cmp_lt_i16_e32 vcc, -1, v16
	v_cndmask_b32_e32 v16, v6, v1, vcc
	v_cmp_eq_u32_e32 vcc, 0, v13
	v_mov_b32_e32 v13, 0x7f800001
	v_cndmask_b32_e32 v17, v13, v16, vcc
; %bb.693:                              ;   in Loop: Header=BB4_348 Depth=4
	s_or_b64 exec, exec, s[72:73]
.LBB4_694:                              ;   in Loop: Header=BB4_348 Depth=4
	s_or_b64 exec, exec, s[70:71]
.LBB4_695:                              ;   in Loop: Header=BB4_348 Depth=4
	s_or_b64 exec, exec, s[30:31]
	v_max_f32_e32 v13, v17, v17
	v_max_f32_e32 v15, v15, v15
	v_min_f32_e32 v15, v15, v13
.LBB4_696:                              ;   in Loop: Header=BB4_348 Depth=4
	v_and_b32_sdwa v13, v15, s97 dst_sel:DWORD dst_unused:UNUSED_PAD src0_sel:BYTE_3 src1_sel:DWORD
	v_and_b32_e32 v18, 0x7f800000, v15
	v_mov_b32_e32 v19, v43
	v_and_b32_e32 v42, 0x7fffff, v15
	v_or_b32_e32 v17, 0x7b, v13
	v_cmp_ne_u64_e32 vcc, s[52:53], v[18:19]
	s_and_saveexec_b64 s[26:27], vcc
	s_xor_b64 s[70:71], exec, s[26:27]
	s_cbranch_execz .LBB4_710
; %bb.697:                              ;   in Loop: Header=BB4_348 Depth=4
	v_and_b32_e32 v18, 0x7fffffff, v15
	v_mov_b32_e32 v19, v43
	v_cmp_gt_u64_e32 vcc, s[54:55], v[18:19]
	s_and_saveexec_b64 s[26:27], vcc
	s_xor_b64 s[72:73], exec, s[26:27]
	s_cbranch_execz .LBB4_709
; %bb.698:                              ;   in Loop: Header=BB4_348 Depth=4
	v_cmp_ne_u32_e32 vcc, 0, v15
	v_mov_b32_e32 v17, 0
	s_and_saveexec_b64 s[74:75], vcc
	s_cbranch_execz .LBB4_708
; %bb.699:                              ;   in Loop: Header=BB4_348 Depth=4
	v_bfe_u32 v15, v15, 23, 8
	v_cmp_eq_u32_e32 vcc, 0, v15
	v_add_u32_e32 v16, 0xffffff81, v15
	v_cmp_gt_u32_e64 s[30:31], s38, v15
	v_sub_u32_e32 v15, 0x71, v15
	v_mov_b32_e32 v18, 0xffffff82
	v_cndmask_b32_e64 v15, 0, v15, s[30:31]
	v_cndmask_b32_e32 v20, v16, v18, vcc
	v_mov_b32_e32 v16, 0x70
	v_cndmask_b32_e32 v15, v15, v16, vcc
	v_or_b32_e32 v17, 0x800000, v42
	v_add_u32_e32 v16, 21, v15
	v_cndmask_b32_e32 v42, v17, v42, vcc
	v_lshlrev_b64 v[16:17], v16, -1
	v_not_b32_e32 v17, v17
	v_not_b32_e32 v16, v16
	v_add_u32_e32 v18, 20, v15
	v_and_b32_e32 v17, 0, v17
	v_and_b32_e32 v16, v42, v16
	v_lshlrev_b64 v[18:19], v18, 1
	v_cmp_eq_u64_e32 vcc, v[16:17], v[18:19]
	v_lshrrev_b64 v[16:17], v15, v[42:43]
	v_lshrrev_b32_e32 v18, 23, v16
	v_add3_u32 v19, v15, v20, v18
	v_bfe_u32 v15, v16, 21, 1
	v_add_u32_e32 v15, -1, v15
	v_cndmask_b32_e32 v15, 0, v15, vcc
	v_add_u32_e32 v15, v15, v16
	v_and_b32_e32 v15, 0x1fffff, v15
	v_add_co_u32_e32 v16, vcc, v15, v16
	v_add_u32_e32 v18, 14, v19
	v_addc_co_u32_e32 v17, vcc, 0, v17, vcc
	v_cmp_ne_u32_e32 vcc, 0, v18
                                        ; implicit-def: $vgpr15
	s_and_saveexec_b64 s[26:27], vcc
	s_xor_b64 s[30:31], exec, s[26:27]
; %bb.700:                              ;   in Loop: Header=BB4_348 Depth=4
	v_add_u32_e32 v15, 15, v19
	v_cmp_lt_u64_e32 vcc, s[56:57], v[16:17]
	v_cndmask_b32_e32 v15, v18, v15, vcc
	v_cndmask_b32_e64 v18, 0, 1, vcc
	v_lshrrev_b64 v[16:17], v18, v[16:17]
; %bb.701:                              ;   in Loop: Header=BB4_348 Depth=4
	s_andn2_saveexec_b64 vcc, s[30:31]
; %bb.702:                              ;   in Loop: Header=BB4_348 Depth=4
	v_bfe_u32 v15, v16, 23, 1
; %bb.703:                              ;   in Loop: Header=BB4_348 Depth=4
	s_or_b64 exec, exec, vcc
	v_lshrrev_b64 v[16:17], 21, v[16:17]
	v_cmp_gt_i32_e32 vcc, 32, v15
	v_cndmask_b32_e32 v17, 0, v17, vcc
	v_cndmask_b32_e32 v16, 3, v16, vcc
	v_cmp_ne_u32_e32 vcc, 0, v15
	v_cmp_ne_u64_e64 s[30:31], 0, v[16:17]
	s_or_b64 s[26:27], vcc, s[30:31]
                                        ; implicit-def: $vgpr17
	s_and_saveexec_b64 vcc, s[26:27]
	s_xor_b64 vcc, exec, vcc
; %bb.704:                              ;   in Loop: Header=BB4_348 Depth=4
	v_min_i32_e32 v15, 31, v15
	v_lshl_or_b32 v13, v15, 2, v13
	v_and_or_b32 v17, v16, 3, v13
                                        ; implicit-def: $vgpr13
; %bb.705:                              ;   in Loop: Header=BB4_348 Depth=4
	s_andn2_saveexec_b64 vcc, vcc
; %bb.706:                              ;   in Loop: Header=BB4_348 Depth=4
	v_mov_b32_e32 v17, v13
; %bb.707:                              ;   in Loop: Header=BB4_348 Depth=4
	s_or_b64 exec, exec, vcc
.LBB4_708:                              ;   in Loop: Header=BB4_348 Depth=4
	s_or_b64 exec, exec, s[74:75]
.LBB4_709:                              ;   in Loop: Header=BB4_348 Depth=4
	s_andn2_saveexec_b64 vcc, s[72:73]
	s_or_b64 exec, exec, vcc
                                        ; implicit-def: $vgpr15
.LBB4_710:                              ;   in Loop: Header=BB4_348 Depth=4
	s_andn2_saveexec_b64 s[30:31], s[70:71]
; %bb.711:                              ;   in Loop: Header=BB4_348 Depth=4
	v_or_b32_sdwa v13, v15, s39 dst_sel:DWORD dst_unused:UNUSED_PAD src0_sel:BYTE_3 src1_sel:DWORD
	v_cmp_eq_u64_e32 vcc, 0, v[42:43]
	v_cndmask_b32_e32 v17, v13, v17, vcc
; %bb.712:                              ;   in Loop: Header=BB4_348 Depth=4
	s_or_b64 exec, exec, s[30:31]
	v_and_b32_e32 v16, 0xff, v14
	s_and_b64 vcc, exec, s[28:29]
	v_cmp_ne_u16_e64 s[28:29], 0, v14
	s_cbranch_vccnz .LBB4_730
; %bb.713:                              ;   in Loop: Header=BB4_348 Depth=4
	v_mov_b32_e32 v13, 0
	v_mov_b32_e32 v15, 0
	s_and_saveexec_b64 s[30:31], s[28:29]
	s_cbranch_execz .LBB4_721
; %bb.714:                              ;   in Loop: Header=BB4_348 Depth=4
	v_cmp_ne_u16_e32 vcc, s94, v14
	v_bfrev_b32_e32 v15, 1
	s_and_saveexec_b64 s[70:71], vcc
	s_cbranch_execz .LBB4_720
; %bb.715:                              ;   in Loop: Header=BB4_348 Depth=4
	v_and_b32_e32 v15, 0x7c, v16
	v_and_b32_e32 v18, 3, v16
	v_cmp_ne_u32_e32 vcc, s95, v15
                                        ; implicit-def: $vgpr15
	s_and_saveexec_b64 s[26:27], vcc
	s_xor_b64 s[72:73], exec, s[26:27]
	s_cbranch_execz .LBB4_717
; %bb.716:                              ;   in Loop: Header=BB4_348 Depth=4
	v_ffbh_u32_e32 v22, v18
	v_min_u32_e32 v24, 32, v22
	v_mov_b32_e32 v15, v43
	v_bfe_u32 v19, v16, 2, 5
	v_subrev_u32_e32 v22, 29, v24
	v_lshlrev_b64 v[22:23], v22, v[14:15]
	v_sub_u32_e32 v15, 30, v24
	v_cmp_eq_u32_e32 vcc, 0, v19
	v_cndmask_b32_e32 v15, v19, v15, vcc
	v_bfrev_b32_e32 v19, 28
	v_bfe_i32 v20, v14, 0, 16
	v_and_b32_e32 v22, 3, v22
	v_lshl_add_u32 v15, v15, 23, v19
	v_cndmask_b32_e32 v18, v18, v22, vcc
	v_and_or_b32 v15, v20, s96, v15
	v_lshl_or_b32 v15, v18, 21, v15
                                        ; implicit-def: $vgpr18
.LBB4_717:                              ;   in Loop: Header=BB4_348 Depth=4
	s_andn2_saveexec_b64 s[72:73], s[72:73]
; %bb.718:                              ;   in Loop: Header=BB4_348 Depth=4
	v_cmp_lt_i16_e32 vcc, -1, v14
	v_cndmask_b32_e32 v15, v6, v1, vcc
	v_cmp_eq_u32_e32 vcc, 0, v18
	v_mov_b32_e32 v18, 0x7f800001
	v_cndmask_b32_e32 v15, v18, v15, vcc
; %bb.719:                              ;   in Loop: Header=BB4_348 Depth=4
	s_or_b64 exec, exec, s[72:73]
.LBB4_720:                              ;   in Loop: Header=BB4_348 Depth=4
	s_or_b64 exec, exec, s[70:71]
.LBB4_721:                              ;   in Loop: Header=BB4_348 Depth=4
	s_or_b64 exec, exec, s[30:31]
	v_cmp_ne_u16_e32 vcc, 0, v12
	s_and_saveexec_b64 s[30:31], vcc
	s_cbranch_execz .LBB4_729
; %bb.722:                              ;   in Loop: Header=BB4_348 Depth=4
	v_cmp_ne_u16_e32 vcc, s94, v12
	v_bfrev_b32_e32 v13, 1
	s_and_saveexec_b64 s[70:71], vcc
	s_cbranch_execz .LBB4_728
; %bb.723:                              ;   in Loop: Header=BB4_348 Depth=4
	v_and_b32_e32 v13, 0x7c, v12
	v_and_b32_e32 v18, 3, v12
	v_cmp_ne_u32_e32 vcc, s95, v13
                                        ; implicit-def: $vgpr13
	s_and_saveexec_b64 s[26:27], vcc
	s_xor_b64 s[72:73], exec, s[26:27]
	s_cbranch_execz .LBB4_725
; %bb.724:                              ;   in Loop: Header=BB4_348 Depth=4
	v_ffbh_u32_e32 v22, v18
	v_and_b32_e32 v19, 0xff, v12
	v_min_u32_e32 v24, 32, v22
	v_mov_b32_e32 v13, v43
	v_bfe_u32 v19, v19, 2, 5
	v_subrev_u32_e32 v22, 29, v24
	v_lshlrev_b64 v[22:23], v22, v[12:13]
	v_sub_u32_e32 v13, 30, v24
	v_cmp_eq_u32_e32 vcc, 0, v19
	v_cndmask_b32_e32 v13, v19, v13, vcc
	v_bfrev_b32_e32 v19, 28
	v_bfe_i32 v20, v12, 0, 16
	v_and_b32_e32 v22, 3, v22
	v_lshl_add_u32 v13, v13, 23, v19
	v_cndmask_b32_e32 v18, v18, v22, vcc
	v_and_or_b32 v13, v20, s96, v13
	v_lshl_or_b32 v13, v18, 21, v13
                                        ; implicit-def: $vgpr18
.LBB4_725:                              ;   in Loop: Header=BB4_348 Depth=4
	s_andn2_saveexec_b64 s[72:73], s[72:73]
; %bb.726:                              ;   in Loop: Header=BB4_348 Depth=4
	v_cmp_lt_i16_e32 vcc, -1, v12
	v_cndmask_b32_e32 v13, v6, v1, vcc
	v_cmp_eq_u32_e32 vcc, 0, v18
	v_mov_b32_e32 v18, 0x7f800001
	v_cndmask_b32_e32 v13, v18, v13, vcc
; %bb.727:                              ;   in Loop: Header=BB4_348 Depth=4
	s_or_b64 exec, exec, s[72:73]
.LBB4_728:                              ;   in Loop: Header=BB4_348 Depth=4
	s_or_b64 exec, exec, s[70:71]
.LBB4_729:                              ;   in Loop: Header=BB4_348 Depth=4
	s_or_b64 exec, exec, s[30:31]
	v_max_f32_e32 v13, v13, v13
	v_max_f32_e32 v15, v15, v15
	;; [unrolled: 1-line block ×3, first 2 shown]
	s_branch .LBB4_748
.LBB4_730:                              ;   in Loop: Header=BB4_348 Depth=4
                                        ; implicit-def: $vgpr15
	s_cbranch_execz .LBB4_748
; %bb.731:                              ;   in Loop: Header=BB4_348 Depth=4
	v_mov_b32_e32 v13, 0
	v_mov_b32_e32 v15, 0
	s_and_saveexec_b64 s[30:31], s[28:29]
	s_cbranch_execz .LBB4_739
; %bb.732:                              ;   in Loop: Header=BB4_348 Depth=4
	v_cmp_ne_u16_e32 vcc, s94, v14
	v_bfrev_b32_e32 v15, 1
	s_and_saveexec_b64 s[28:29], vcc
	s_cbranch_execz .LBB4_738
; %bb.733:                              ;   in Loop: Header=BB4_348 Depth=4
	v_and_b32_e32 v15, 0x7c, v16
	v_and_b32_e32 v18, 3, v16
	v_cmp_ne_u32_e32 vcc, s95, v15
                                        ; implicit-def: $vgpr15
	s_and_saveexec_b64 s[26:27], vcc
	s_xor_b64 s[70:71], exec, s[26:27]
	s_cbranch_execz .LBB4_735
; %bb.734:                              ;   in Loop: Header=BB4_348 Depth=4
	v_ffbh_u32_e32 v20, v18
	v_min_u32_e32 v20, 32, v20
	v_mov_b32_e32 v15, v43
	v_subrev_u32_e32 v22, 29, v20
	v_bfe_u32 v16, v16, 2, 5
	v_bfe_i32 v19, v14, 0, 16
	v_lshlrev_b64 v[14:15], v22, v[14:15]
	v_sub_u32_e32 v15, 30, v20
	v_cmp_eq_u32_e32 vcc, 0, v16
	v_cndmask_b32_e32 v15, v16, v15, vcc
	v_bfrev_b32_e32 v16, 28
	v_and_b32_e32 v14, 3, v14
	v_lshl_add_u32 v15, v15, 23, v16
	v_cndmask_b32_e32 v14, v18, v14, vcc
	v_and_or_b32 v15, v19, s96, v15
	v_lshl_or_b32 v15, v14, 21, v15
                                        ; implicit-def: $vgpr18
                                        ; implicit-def: $vgpr14
.LBB4_735:                              ;   in Loop: Header=BB4_348 Depth=4
	s_andn2_saveexec_b64 s[70:71], s[70:71]
; %bb.736:                              ;   in Loop: Header=BB4_348 Depth=4
	v_cmp_lt_i16_e32 vcc, -1, v14
	v_cndmask_b32_e32 v14, v6, v1, vcc
	v_cmp_eq_u32_e32 vcc, 0, v18
	v_mov_b32_e32 v15, 0x7f800001
	v_cndmask_b32_e32 v15, v15, v14, vcc
; %bb.737:                              ;   in Loop: Header=BB4_348 Depth=4
	s_or_b64 exec, exec, s[70:71]
.LBB4_738:                              ;   in Loop: Header=BB4_348 Depth=4
	s_or_b64 exec, exec, s[28:29]
.LBB4_739:                              ;   in Loop: Header=BB4_348 Depth=4
	s_or_b64 exec, exec, s[30:31]
	v_cmp_ne_u16_e32 vcc, 0, v12
	s_and_saveexec_b64 s[28:29], vcc
	s_cbranch_execz .LBB4_747
; %bb.740:                              ;   in Loop: Header=BB4_348 Depth=4
	v_cmp_ne_u16_e32 vcc, s94, v12
	v_bfrev_b32_e32 v13, 1
	s_and_saveexec_b64 s[30:31], vcc
	s_cbranch_execz .LBB4_746
; %bb.741:                              ;   in Loop: Header=BB4_348 Depth=4
	v_and_b32_e32 v13, 0x7c, v12
	v_and_b32_e32 v14, 3, v12
	v_cmp_ne_u32_e32 vcc, s95, v13
                                        ; implicit-def: $vgpr13
	s_and_saveexec_b64 s[26:27], vcc
	s_xor_b64 s[70:71], exec, s[26:27]
	s_cbranch_execz .LBB4_743
; %bb.742:                              ;   in Loop: Header=BB4_348 Depth=4
	v_ffbh_u32_e32 v19, v14
	v_min_u32_e32 v19, 32, v19
	v_and_b32_e32 v16, 0xff, v12
	v_mov_b32_e32 v13, v43
	v_subrev_u32_e32 v20, 29, v19
	v_bfe_u32 v16, v16, 2, 5
	v_bfe_i32 v18, v12, 0, 16
	v_lshlrev_b64 v[12:13], v20, v[12:13]
	v_sub_u32_e32 v13, 30, v19
	v_and_b32_e32 v12, 3, v12
	v_cmp_eq_u32_e32 vcc, 0, v16
	v_cndmask_b32_e32 v13, v16, v13, vcc
	v_cndmask_b32_e32 v12, v14, v12, vcc
	v_bfrev_b32_e32 v14, 28
	v_lshl_add_u32 v13, v13, 23, v14
	v_and_or_b32 v13, v18, s96, v13
	v_lshl_or_b32 v13, v12, 21, v13
                                        ; implicit-def: $vgpr14
                                        ; implicit-def: $vgpr12
.LBB4_743:                              ;   in Loop: Header=BB4_348 Depth=4
	s_andn2_saveexec_b64 s[70:71], s[70:71]
; %bb.744:                              ;   in Loop: Header=BB4_348 Depth=4
	v_cmp_lt_i16_e32 vcc, -1, v12
	v_cndmask_b32_e32 v12, v6, v1, vcc
	v_cmp_eq_u32_e32 vcc, 0, v14
	v_mov_b32_e32 v13, 0x7f800001
	v_cndmask_b32_e32 v13, v13, v12, vcc
; %bb.745:                              ;   in Loop: Header=BB4_348 Depth=4
	s_or_b64 exec, exec, s[70:71]
.LBB4_746:                              ;   in Loop: Header=BB4_348 Depth=4
	s_or_b64 exec, exec, s[30:31]
.LBB4_747:                              ;   in Loop: Header=BB4_348 Depth=4
	s_or_b64 exec, exec, s[28:29]
	v_max_f32_e32 v12, v13, v13
	v_max_f32_e32 v13, v15, v15
	v_min_f32_e32 v15, v13, v12
.LBB4_748:                              ;   in Loop: Header=BB4_348 Depth=4
	v_and_b32_sdwa v14, v15, s97 dst_sel:DWORD dst_unused:UNUSED_PAD src0_sel:BYTE_3 src1_sel:DWORD
	v_and_b32_e32 v18, 0x7f800000, v15
	v_mov_b32_e32 v19, v43
	v_and_b32_e32 v42, 0x7fffff, v15
	v_or_b32_e32 v13, 0x7b, v14
	v_cmp_ne_u64_e32 vcc, s[52:53], v[18:19]
	s_and_saveexec_b64 s[26:27], vcc
	s_xor_b64 s[30:31], exec, s[26:27]
	s_cbranch_execz .LBB4_762
; %bb.749:                              ;   in Loop: Header=BB4_348 Depth=4
	v_and_b32_e32 v18, 0x7fffffff, v15
	v_mov_b32_e32 v19, v43
	v_cmp_gt_u64_e32 vcc, s[54:55], v[18:19]
	s_and_saveexec_b64 s[26:27], vcc
	s_xor_b64 s[70:71], exec, s[26:27]
	s_cbranch_execz .LBB4_761
; %bb.750:                              ;   in Loop: Header=BB4_348 Depth=4
	v_cmp_ne_u32_e32 vcc, 0, v15
	v_mov_b32_e32 v13, 0
	s_and_saveexec_b64 s[72:73], vcc
	s_cbranch_execz .LBB4_760
; %bb.751:                              ;   in Loop: Header=BB4_348 Depth=4
	v_bfe_u32 v12, v15, 23, 8
	v_cmp_eq_u32_e32 vcc, 0, v12
	v_add_u32_e32 v13, 0xffffff81, v12
	v_cmp_gt_u32_e64 s[28:29], s38, v12
	v_sub_u32_e32 v12, 0x71, v12
	v_mov_b32_e32 v16, 0xffffff82
	v_cndmask_b32_e64 v12, 0, v12, s[28:29]
	v_cndmask_b32_e32 v16, v13, v16, vcc
	v_mov_b32_e32 v13, 0x70
	v_cndmask_b32_e32 v20, v12, v13, vcc
	v_add_u32_e32 v12, 21, v20
	v_or_b32_e32 v15, 0x800000, v42
	v_lshlrev_b64 v[12:13], v12, -1
	v_cndmask_b32_e32 v42, v15, v42, vcc
	v_not_b32_e32 v13, v13
	v_not_b32_e32 v12, v12
	v_add_u32_e32 v15, 20, v20
	v_and_b32_e32 v13, 0, v13
	v_and_b32_e32 v12, v42, v12
	v_lshlrev_b64 v[18:19], v15, 1
	v_cmp_eq_u64_e32 vcc, v[12:13], v[18:19]
	v_lshrrev_b64 v[12:13], v20, v[42:43]
	v_lshrrev_b32_e32 v15, 23, v12
	v_add3_u32 v18, v20, v16, v15
	v_bfe_u32 v15, v12, 21, 1
	v_add_u32_e32 v15, -1, v15
	v_cndmask_b32_e32 v15, 0, v15, vcc
	v_add_u32_e32 v15, v15, v12
	v_and_b32_e32 v15, 0x1fffff, v15
	v_add_co_u32_e32 v12, vcc, v15, v12
	v_add_u32_e32 v16, 14, v18
	v_addc_co_u32_e32 v13, vcc, 0, v13, vcc
	v_cmp_ne_u32_e32 vcc, 0, v16
                                        ; implicit-def: $vgpr15
	s_and_saveexec_b64 s[26:27], vcc
	s_xor_b64 s[28:29], exec, s[26:27]
; %bb.752:                              ;   in Loop: Header=BB4_348 Depth=4
	v_add_u32_e32 v15, 15, v18
	v_cmp_lt_u64_e32 vcc, s[56:57], v[12:13]
	v_cndmask_b32_e32 v15, v16, v15, vcc
	v_cndmask_b32_e64 v16, 0, 1, vcc
	v_lshrrev_b64 v[12:13], v16, v[12:13]
; %bb.753:                              ;   in Loop: Header=BB4_348 Depth=4
	s_andn2_saveexec_b64 s[28:29], s[28:29]
; %bb.754:                              ;   in Loop: Header=BB4_348 Depth=4
	v_bfe_u32 v15, v12, 23, 1
; %bb.755:                              ;   in Loop: Header=BB4_348 Depth=4
	s_or_b64 exec, exec, s[28:29]
	v_lshrrev_b64 v[12:13], 21, v[12:13]
	v_cmp_gt_i32_e32 vcc, 32, v15
	v_cndmask_b32_e32 v13, 0, v13, vcc
	v_cndmask_b32_e32 v12, 3, v12, vcc
	v_cmp_ne_u32_e32 vcc, 0, v15
	v_cmp_ne_u64_e64 s[28:29], 0, v[12:13]
	s_or_b64 s[26:27], vcc, s[28:29]
                                        ; implicit-def: $vgpr13
	s_and_saveexec_b64 s[28:29], s[26:27]
	s_xor_b64 s[28:29], exec, s[28:29]
; %bb.756:                              ;   in Loop: Header=BB4_348 Depth=4
	v_min_i32_e32 v13, 31, v15
	v_lshl_or_b32 v13, v13, 2, v14
	v_and_or_b32 v13, v12, 3, v13
                                        ; implicit-def: $vgpr14
; %bb.757:                              ;   in Loop: Header=BB4_348 Depth=4
	s_andn2_saveexec_b64 s[28:29], s[28:29]
; %bb.758:                              ;   in Loop: Header=BB4_348 Depth=4
	v_mov_b32_e32 v13, v14
; %bb.759:                              ;   in Loop: Header=BB4_348 Depth=4
	s_or_b64 exec, exec, s[28:29]
.LBB4_760:                              ;   in Loop: Header=BB4_348 Depth=4
	s_or_b64 exec, exec, s[72:73]
.LBB4_761:                              ;   in Loop: Header=BB4_348 Depth=4
	s_andn2_saveexec_b64 s[28:29], s[70:71]
	s_or_b64 exec, exec, s[28:29]
                                        ; implicit-def: $vgpr15
.LBB4_762:                              ;   in Loop: Header=BB4_348 Depth=4
	s_andn2_saveexec_b64 s[28:29], s[30:31]
	s_cbranch_execz .LBB4_347
; %bb.763:                              ;   in Loop: Header=BB4_348 Depth=4
	v_or_b32_sdwa v12, v15, s39 dst_sel:DWORD dst_unused:UNUSED_PAD src0_sel:BYTE_3 src1_sel:DWORD
	v_cmp_eq_u64_e32 vcc, 0, v[42:43]
	v_cndmask_b32_e32 v13, v12, v13, vcc
	s_branch .LBB4_347
.LBB4_764:                              ;   in Loop: Header=BB4_274 Depth=3
	s_and_saveexec_b64 s[28:29], s[10:11]
	s_cbranch_execnz .LBB4_3145
.LBB4_765:                              ;   in Loop: Header=BB4_274 Depth=3
	s_or_b64 exec, exec, s[28:29]
                                        ; implicit-def: $vgpr0
	s_and_saveexec_b64 s[26:27], s[24:25]
	s_xor_b64 s[30:31], exec, s[26:27]
	s_cbranch_execz .LBB4_3163
.LBB4_766:                              ;   in Loop: Header=BB4_274 Depth=3
	v_and_b32_e32 v3, 16, v34
	v_cmp_lt_i32_e32 vcc, 0, v35
	v_cmp_ne_u32_e64 s[28:29], 0, v3
	v_and_b32_e32 v0, 16, v34
	s_and_b64 s[26:27], s[28:29], vcc
	s_and_saveexec_b64 s[28:29], s[26:27]
	s_cbranch_execz .LBB4_768
; %bb.767:                              ;   in Loop: Header=BB4_274 Depth=3
	v_mov_b32_e32 v0, 1
	s_waitcnt vmcnt(0) lgkmcnt(0)
	buffer_wbinvl1_vol
.LBB4_768:                              ;   in Loop: Header=BB4_274 Depth=3
	s_or_b64 exec, exec, s[28:29]
	s_andn2_saveexec_b64 s[28:29], s[30:31]
	s_cbranch_execz .LBB4_3182
	s_branch .LBB4_3164
.LBB4_769:                              ;   in Loop: Header=BB4_274 Depth=3
	v_ashrrev_i32_e32 v0, 31, v35
	v_lshrrev_b32_e32 v0, 21, v0
	v_add_u32_e32 v0, v35, v0
	v_ashrrev_i32_e32 v3, 11, v0
	v_accvgpr_read_b32 v0, a31
	v_sub_u32_e32 v44, v3, v0
	v_cmp_lt_i32_e32 vcc, 0, v44
	s_and_saveexec_b64 s[34:35], vcc
	s_cbranch_execz .LBB4_2367
; %bb.770:                              ;   in Loop: Header=BB4_274 Depth=3
	s_trap 2
	ds_read_b128 v[8:11], v0
	ds_read_b64 v[4:5], v0
	v_accvgpr_read_b32 v12, a44
	v_accvgpr_read_b32 v13, a45
	s_bitcmp1_b32 s76, 0
	s_waitcnt lgkmcnt(0)
	v_add_co_u32_e32 v24, vcc, v8, v12
	v_addc_co_u32_e32 v25, vcc, v9, v13, vcc
	v_add_co_u32_e32 v40, vcc, v10, v12
	v_addc_co_u32_e32 v41, vcc, v11, v13, vcc
	v_add_co_u32_e32 v4, vcc, v4, v12
	v_accvgpr_write_b32 a53, v3
	v_addc_co_u32_e32 v5, vcc, v5, v13, vcc
	s_mov_b64 s[64:65], 0
	s_cselect_b64 s[66:67], -1, 0
	s_branch .LBB4_772
.LBB4_771:                              ;   in Loop: Header=BB4_772 Depth=4
	s_or_b64 exec, exec, s[28:29]
	v_lshlrev_b32_e32 v9, 16, v52
	v_lshlrev_b32_e32 v10, 8, v39
	v_perm_b32 v9, v38, v9, s82
	v_perm_b32 v10, v10, v58, s9
	v_or_b32_e32 v51, v9, v10
	v_and_b32_e32 v9, 0xff, v56
	v_lshlrev_b32_e32 v11, 8, v47
	v_lshlrev_b32_e32 v10, 24, v57
	;; [unrolled: 1-line block ×3, first 2 shown]
	v_perm_b32 v11, v11, v46, s9
	v_or3_b32 v50, v10, v9, v11
	v_and_b32_e32 v9, 0xff, v45
	v_lshlrev_b32_e32 v11, 8, v59
	v_lshlrev_b32_e32 v10, 24, v28
	;; [unrolled: 1-line block ×3, first 2 shown]
	v_perm_b32 v11, v11, v53, s9
	v_or3_b32 v52, v10, v9, v11
	v_lshlrev_b32_e32 v9, 8, v26
	v_perm_b32 v3, v9, v3, s9
	v_lshlrev_b32_e32 v9, 16, v27
	v_perm_b32 v9, v22, v9, s82
	v_or_b32_e32 v53, v9, v3
	v_lshlrev_b32_e32 v3, 16, v20
	v_lshlrev_b32_e32 v9, 8, v19
	v_perm_b32 v3, v18, v3, s82
	v_perm_b32 v0, v9, v0, s9
	v_or_b32_e32 v11, v3, v0
	v_and_b32_e32 v0, 0xff, v30
	v_lshlrev_b32_e32 v7, 8, v7
	v_lshlrev_b32_e32 v3, 24, v60
	v_lshlrev_b32_e32 v0, 16, v0
	v_perm_b32 v7, v7, v23, s9
	v_or3_b32 v10, v3, v0, v7
	v_and_b32_e32 v0, 0xff, v36
	v_lshlrev_b32_e32 v7, 8, v55
	v_lshlrev_b32_e32 v3, 24, v37
	;; [unrolled: 1-line block ×3, first 2 shown]
	v_perm_b32 v7, v7, v21, s9
	v_or3_b32 v12, v3, v0, v7
	v_lshlrev_b32_e32 v0, 8, v13
	v_lshlrev_b32_e32 v3, 16, v16
	v_perm_b32 v0, v0, v54, s9
	v_perm_b32 v3, v8, v3, s82
	v_accvgpr_read_b32 v58, a33
	v_or_b32_e32 v13, v3, v0
	v_add_co_u32_e32 v24, vcc, v24, v58
	v_accvgpr_read_b32 v0, a34
	v_addc_co_u32_e32 v25, vcc, v25, v0, vcc
	v_add_co_u32_e32 v40, vcc, v40, v58
	v_accvgpr_read_b32 v46, a24
	v_addc_co_u32_e32 v41, vcc, v41, v0, vcc
	v_sub_u32_e32 v44, v44, v46
	v_cmp_gt_i32_e32 vcc, 1, v44
	global_store_dwordx4 v[4:5], v[50:53], off glc slc
	global_store_dwordx4 v[4:5], v[10:13], off offset:1024 glc slc
	s_or_b64 s[64:65], vcc, s[64:65]
	v_add_co_u32_e32 v4, vcc, v4, v58
	v_addc_co_u32_e32 v5, vcc, v5, v0, vcc
	s_andn2_b64 exec, exec, s[64:65]
	s_cbranch_execz .LBB4_2366
.LBB4_772:                              ;   Parent Loop BB4_47 Depth=1
                                        ;     Parent Loop BB4_271 Depth=2
                                        ;       Parent Loop BB4_274 Depth=3
                                        ; =>      This Inner Loop Header: Depth=4
	global_load_dwordx4 v[20:23], v[24:25], off glc slc
	global_load_dwordx4 v[12:15], v[24:25], off offset:1024 glc slc
	global_load_dwordx4 v[16:19], v[40:41], off glc slc
	global_load_dwordx4 v[8:11], v[40:41], off offset:1024 glc slc
	s_and_b64 vcc, exec, s[66:67]
	s_waitcnt vmcnt(0)
	v_cmp_ne_u16_sdwa s[28:29], v20, v43 src0_sel:BYTE_0 src1_sel:DWORD
	s_cbranch_vccz .LBB4_790
; %bb.773:                              ;   in Loop: Header=BB4_772 Depth=4
	v_mov_b32_e32 v3, 0
	v_mov_b32_e32 v0, 0
	s_and_saveexec_b64 s[30:31], s[28:29]
	s_cbranch_execz .LBB4_781
; %bb.774:                              ;   in Loop: Header=BB4_772 Depth=4
	v_cmp_ne_u16_sdwa vcc, sext(v20), s94 src0_sel:BYTE_0 src1_sel:DWORD
	v_bfrev_b32_e32 v0, 1
	s_and_saveexec_b64 s[68:69], vcc
	s_cbranch_execz .LBB4_780
; %bb.775:                              ;   in Loop: Header=BB4_772 Depth=4
	v_and_b32_e32 v0, 0x7c, v20
	v_and_b32_e32 v7, 3, v20
	v_cmp_ne_u32_e32 vcc, s95, v0
                                        ; implicit-def: $vgpr0
	s_and_saveexec_b64 s[70:71], vcc
	s_xor_b64 s[70:71], exec, s[70:71]
	s_cbranch_execz .LBB4_777
; %bb.776:                              ;   in Loop: Header=BB4_772 Depth=4
	v_ffbh_u32_e32 v26, v7
	v_min_u32_e32 v28, 32, v26
	v_subrev_u32_e32 v26, 29, v28
	v_bfe_u32 v0, v20, 2, 5
	v_lshlrev_b64 v[26:27], v26, v[20:21]
	v_sub_u32_e32 v27, 30, v28
	v_cmp_eq_u32_e32 vcc, 0, v0
	v_and_b32_e32 v26, 3, v26
	v_cndmask_b32_e32 v0, v0, v27, vcc
	v_bfrev_b32_e32 v27, 28
	v_cndmask_b32_e32 v7, v7, v26, vcc
	v_lshlrev_b32_e32 v26, 24, v20
	v_lshl_add_u32 v0, v0, 23, v27
	v_and_or_b32 v0, v26, s96, v0
	v_lshl_or_b32 v0, v7, 21, v0
                                        ; implicit-def: $vgpr7
.LBB4_777:                              ;   in Loop: Header=BB4_772 Depth=4
	s_andn2_saveexec_b64 s[70:71], s[70:71]
; %bb.778:                              ;   in Loop: Header=BB4_772 Depth=4
	v_mov_b32_e32 v0, -1
	v_cmp_gt_i16_sdwa vcc, sext(v20), v0 src0_sel:BYTE_0 src1_sel:DWORD
	v_cndmask_b32_e32 v0, v6, v1, vcc
	v_cmp_eq_u32_e32 vcc, 0, v7
	v_mov_b32_e32 v7, 0x7f800001
	v_cndmask_b32_e32 v0, v7, v0, vcc
; %bb.779:                              ;   in Loop: Header=BB4_772 Depth=4
	s_or_b64 exec, exec, s[70:71]
.LBB4_780:                              ;   in Loop: Header=BB4_772 Depth=4
	s_or_b64 exec, exec, s[68:69]
.LBB4_781:                              ;   in Loop: Header=BB4_772 Depth=4
	s_or_b64 exec, exec, s[30:31]
	v_cmp_ne_u16_sdwa vcc, sext(v16), v43 src0_sel:BYTE_0 src1_sel:DWORD
	s_and_saveexec_b64 s[30:31], vcc
	s_cbranch_execz .LBB4_789
; %bb.782:                              ;   in Loop: Header=BB4_772 Depth=4
	v_cmp_ne_u16_sdwa vcc, sext(v16), s94 src0_sel:BYTE_0 src1_sel:DWORD
	v_bfrev_b32_e32 v3, 1
	s_and_saveexec_b64 s[68:69], vcc
	s_cbranch_execz .LBB4_788
; %bb.783:                              ;   in Loop: Header=BB4_772 Depth=4
	v_and_b32_e32 v3, 0x7c, v16
	v_and_b32_e32 v7, 3, v16
	v_cmp_ne_u32_e32 vcc, s95, v3
                                        ; implicit-def: $vgpr3
	s_and_saveexec_b64 s[70:71], vcc
	s_xor_b64 s[70:71], exec, s[70:71]
	s_cbranch_execz .LBB4_785
; %bb.784:                              ;   in Loop: Header=BB4_772 Depth=4
	v_ffbh_u32_e32 v26, v7
	v_min_u32_e32 v28, 32, v26
	v_subrev_u32_e32 v26, 29, v28
	v_bfe_u32 v3, v16, 2, 5
	v_lshlrev_b64 v[26:27], v26, v[16:17]
	v_sub_u32_e32 v27, 30, v28
	v_cmp_eq_u32_e32 vcc, 0, v3
	v_and_b32_e32 v26, 3, v26
	v_cndmask_b32_e32 v3, v3, v27, vcc
	v_bfrev_b32_e32 v27, 28
	v_cndmask_b32_e32 v7, v7, v26, vcc
	v_lshlrev_b32_e32 v26, 24, v16
	v_lshl_add_u32 v3, v3, 23, v27
	v_and_or_b32 v3, v26, s96, v3
	v_lshl_or_b32 v3, v7, 21, v3
                                        ; implicit-def: $vgpr7
.LBB4_785:                              ;   in Loop: Header=BB4_772 Depth=4
	s_andn2_saveexec_b64 s[70:71], s[70:71]
; %bb.786:                              ;   in Loop: Header=BB4_772 Depth=4
	v_mov_b32_e32 v3, -1
	v_cmp_gt_i16_sdwa vcc, sext(v16), v3 src0_sel:BYTE_0 src1_sel:DWORD
	v_cndmask_b32_e32 v3, v6, v1, vcc
	v_cmp_eq_u32_e32 vcc, 0, v7
	v_mov_b32_e32 v7, 0x7f800001
	v_cndmask_b32_e32 v3, v7, v3, vcc
; %bb.787:                              ;   in Loop: Header=BB4_772 Depth=4
	s_or_b64 exec, exec, s[70:71]
.LBB4_788:                              ;   in Loop: Header=BB4_772 Depth=4
	s_or_b64 exec, exec, s[68:69]
.LBB4_789:                              ;   in Loop: Header=BB4_772 Depth=4
	s_or_b64 exec, exec, s[30:31]
	v_max_f32_e32 v3, v3, v3
	v_max_f32_e32 v0, v0, v0
	;; [unrolled: 1-line block ×3, first 2 shown]
	s_branch .LBB4_808
.LBB4_790:                              ;   in Loop: Header=BB4_772 Depth=4
                                        ; implicit-def: $vgpr3
	s_cbranch_execz .LBB4_808
; %bb.791:                              ;   in Loop: Header=BB4_772 Depth=4
	v_mov_b32_e32 v3, 0
	v_mov_b32_e32 v0, 0
	s_and_saveexec_b64 s[30:31], s[28:29]
	s_cbranch_execz .LBB4_799
; %bb.792:                              ;   in Loop: Header=BB4_772 Depth=4
	v_cmp_ne_u16_sdwa vcc, sext(v20), s94 src0_sel:BYTE_0 src1_sel:DWORD
	v_bfrev_b32_e32 v0, 1
	s_and_saveexec_b64 s[28:29], vcc
	s_cbranch_execz .LBB4_798
; %bb.793:                              ;   in Loop: Header=BB4_772 Depth=4
	v_and_b32_e32 v0, 0x7c, v20
	v_and_b32_e32 v7, 3, v20
	v_cmp_ne_u32_e32 vcc, s95, v0
                                        ; implicit-def: $vgpr0
	s_and_saveexec_b64 s[68:69], vcc
	s_xor_b64 s[68:69], exec, s[68:69]
	s_cbranch_execz .LBB4_795
; %bb.794:                              ;   in Loop: Header=BB4_772 Depth=4
	v_ffbh_u32_e32 v26, v7
	v_min_u32_e32 v28, 32, v26
	v_subrev_u32_e32 v26, 29, v28
	v_bfe_u32 v0, v20, 2, 5
	v_lshlrev_b64 v[26:27], v26, v[20:21]
	v_sub_u32_e32 v27, 30, v28
	v_cmp_eq_u32_e32 vcc, 0, v0
	v_and_b32_e32 v26, 3, v26
	v_cndmask_b32_e32 v0, v0, v27, vcc
	v_bfrev_b32_e32 v27, 28
	v_cndmask_b32_e32 v7, v7, v26, vcc
	v_lshlrev_b32_e32 v26, 24, v20
	v_lshl_add_u32 v0, v0, 23, v27
	v_and_or_b32 v0, v26, s96, v0
	v_lshl_or_b32 v0, v7, 21, v0
                                        ; implicit-def: $vgpr7
.LBB4_795:                              ;   in Loop: Header=BB4_772 Depth=4
	s_andn2_saveexec_b64 s[68:69], s[68:69]
; %bb.796:                              ;   in Loop: Header=BB4_772 Depth=4
	v_mov_b32_e32 v0, -1
	v_cmp_gt_i16_sdwa vcc, sext(v20), v0 src0_sel:BYTE_0 src1_sel:DWORD
	v_cndmask_b32_e32 v0, v6, v1, vcc
	v_cmp_eq_u32_e32 vcc, 0, v7
	v_mov_b32_e32 v7, 0x7f800001
	v_cndmask_b32_e32 v0, v7, v0, vcc
; %bb.797:                              ;   in Loop: Header=BB4_772 Depth=4
	s_or_b64 exec, exec, s[68:69]
.LBB4_798:                              ;   in Loop: Header=BB4_772 Depth=4
	s_or_b64 exec, exec, s[28:29]
.LBB4_799:                              ;   in Loop: Header=BB4_772 Depth=4
	s_or_b64 exec, exec, s[30:31]
	v_cmp_ne_u16_sdwa vcc, sext(v16), v43 src0_sel:BYTE_0 src1_sel:DWORD
	s_and_saveexec_b64 s[28:29], vcc
	s_cbranch_execz .LBB4_807
; %bb.800:                              ;   in Loop: Header=BB4_772 Depth=4
	v_cmp_ne_u16_sdwa vcc, sext(v16), s94 src0_sel:BYTE_0 src1_sel:DWORD
	v_bfrev_b32_e32 v3, 1
	s_and_saveexec_b64 s[30:31], vcc
	s_cbranch_execz .LBB4_806
; %bb.801:                              ;   in Loop: Header=BB4_772 Depth=4
	v_and_b32_e32 v3, 0x7c, v16
	v_and_b32_e32 v7, 3, v16
	v_cmp_ne_u32_e32 vcc, s95, v3
                                        ; implicit-def: $vgpr3
	s_and_saveexec_b64 s[68:69], vcc
	s_xor_b64 s[68:69], exec, s[68:69]
	s_cbranch_execz .LBB4_803
; %bb.802:                              ;   in Loop: Header=BB4_772 Depth=4
	v_ffbh_u32_e32 v26, v7
	v_min_u32_e32 v28, 32, v26
	v_subrev_u32_e32 v26, 29, v28
	v_bfe_u32 v3, v16, 2, 5
	v_lshlrev_b64 v[26:27], v26, v[16:17]
	v_sub_u32_e32 v27, 30, v28
	v_cmp_eq_u32_e32 vcc, 0, v3
	v_and_b32_e32 v26, 3, v26
	v_cndmask_b32_e32 v3, v3, v27, vcc
	v_bfrev_b32_e32 v27, 28
	v_cndmask_b32_e32 v7, v7, v26, vcc
	v_lshlrev_b32_e32 v26, 24, v16
	v_lshl_add_u32 v3, v3, 23, v27
	v_and_or_b32 v3, v26, s96, v3
	v_lshl_or_b32 v3, v7, 21, v3
                                        ; implicit-def: $vgpr7
.LBB4_803:                              ;   in Loop: Header=BB4_772 Depth=4
	s_andn2_saveexec_b64 s[68:69], s[68:69]
; %bb.804:                              ;   in Loop: Header=BB4_772 Depth=4
	v_mov_b32_e32 v3, -1
	v_cmp_gt_i16_sdwa vcc, sext(v16), v3 src0_sel:BYTE_0 src1_sel:DWORD
	v_cndmask_b32_e32 v3, v6, v1, vcc
	v_cmp_eq_u32_e32 vcc, 0, v7
	v_mov_b32_e32 v7, 0x7f800001
	v_cndmask_b32_e32 v3, v7, v3, vcc
; %bb.805:                              ;   in Loop: Header=BB4_772 Depth=4
	s_or_b64 exec, exec, s[68:69]
.LBB4_806:                              ;   in Loop: Header=BB4_772 Depth=4
	s_or_b64 exec, exec, s[30:31]
.LBB4_807:                              ;   in Loop: Header=BB4_772 Depth=4
	s_or_b64 exec, exec, s[28:29]
	v_max_f32_e32 v3, v3, v3
	v_max_f32_e32 v0, v0, v0
	v_min_f32_e32 v3, v0, v3
.LBB4_808:                              ;   in Loop: Header=BB4_772 Depth=4
	v_and_b32_sdwa v0, v3, s97 dst_sel:DWORD dst_unused:UNUSED_PAD src0_sel:BYTE_3 src1_sel:DWORD
	v_and_b32_e32 v26, 0x7f800000, v3
	v_mov_b32_e32 v27, v43
	v_and_b32_e32 v42, 0x7fffff, v3
	v_or_b32_e32 v46, 0x7b, v0
	v_cmp_ne_u64_e32 vcc, s[52:53], v[26:27]
	s_and_saveexec_b64 s[28:29], vcc
	s_xor_b64 s[30:31], exec, s[28:29]
	s_cbranch_execz .LBB4_818
; %bb.809:                              ;   in Loop: Header=BB4_772 Depth=4
	v_and_b32_e32 v26, 0x7fffffff, v3
	v_mov_b32_e32 v27, v43
	v_cmp_gt_u64_e32 vcc, s[54:55], v[26:27]
	s_and_saveexec_b64 s[68:69], vcc
	s_cbranch_execz .LBB4_817
; %bb.810:                              ;   in Loop: Header=BB4_772 Depth=4
	v_cmp_ne_u32_e32 vcc, 0, v3
	v_mov_b32_e32 v46, 0
	s_and_saveexec_b64 s[70:71], vcc
	s_cbranch_execz .LBB4_816
; %bb.811:                              ;   in Loop: Header=BB4_772 Depth=4
	v_bfe_u32 v3, v3, 23, 8
	v_sub_u32_e32 v26, 0x71, v3
	v_cmp_gt_u32_e32 vcc, s38, v3
	v_add_u32_e32 v7, 0xffffff81, v3
	v_cndmask_b32_e32 v26, 0, v26, vcc
	v_cmp_eq_u32_e32 vcc, 0, v3
	v_mov_b32_e32 v3, 0xffffff82
	v_cndmask_b32_e32 v3, v7, v3, vcc
	v_mov_b32_e32 v7, 0x70
	v_or_b32_e32 v27, 0x800000, v42
	v_cndmask_b32_e32 v7, v26, v7, vcc
	v_cndmask_b32_e32 v42, v27, v42, vcc
	v_add_u32_e32 v26, 21, v7
	v_lshlrev_b64 v[26:27], v26, -1
	v_add_u32_e32 v28, 20, v7
	v_lshrrev_b64 v[38:39], v7, v[42:43]
	v_not_b32_e32 v27, v27
	v_not_b32_e32 v26, v26
	v_lshlrev_b64 v[36:37], v28, 1
	v_lshrrev_b32_e32 v28, 23, v38
	v_and_b32_e32 v27, 0, v27
	v_and_b32_e32 v26, v42, v26
	v_add3_u32 v28, v7, v3, v28
	v_bfe_u32 v3, v38, 21, 1
	v_add_u32_e32 v3, -1, v3
	v_cmp_eq_u64_e32 vcc, v[26:27], v[36:37]
	v_cndmask_b32_e32 v3, 0, v3, vcc
	v_add_u32_e32 v3, v3, v38
	v_and_b32_e32 v3, 0x1fffff, v3
	v_add_co_u32_e32 v26, vcc, v3, v38
	v_add_u32_e32 v7, 14, v28
	v_addc_co_u32_e32 v27, vcc, 0, v39, vcc
	v_cmp_ne_u32_e32 vcc, 0, v7
                                        ; implicit-def: $vgpr3
	s_and_saveexec_b64 s[28:29], vcc
	s_xor_b64 s[28:29], exec, s[28:29]
; %bb.812:                              ;   in Loop: Header=BB4_772 Depth=4
	v_add_u32_e32 v3, 15, v28
	v_cmp_lt_u64_e32 vcc, s[56:57], v[26:27]
	v_cndmask_b32_e32 v3, v7, v3, vcc
	v_cndmask_b32_e64 v7, 0, 1, vcc
	v_lshrrev_b64 v[26:27], v7, v[26:27]
; %bb.813:                              ;   in Loop: Header=BB4_772 Depth=4
	s_andn2_saveexec_b64 s[28:29], s[28:29]
; %bb.814:                              ;   in Loop: Header=BB4_772 Depth=4
	v_bfe_u32 v3, v26, 23, 1
; %bb.815:                              ;   in Loop: Header=BB4_772 Depth=4
	s_or_b64 exec, exec, s[28:29]
	v_lshrrev_b64 v[26:27], 21, v[26:27]
	v_cmp_gt_i32_e32 vcc, 32, v3
	v_cndmask_b32_e32 v27, 0, v27, vcc
	v_cndmask_b32_e32 v26, 3, v26, vcc
	v_cmp_eq_u32_e32 vcc, 0, v3
	v_min_i32_e32 v3, 31, v3
	v_cmp_eq_u64_e64 s[28:29], 0, v[26:27]
	v_lshlrev_b32_e32 v3, 2, v3
	v_and_or_b32 v3, v26, 3, v3
	s_and_b64 s[28:29], vcc, s[28:29]
	v_cndmask_b32_e64 v3, v3, 0, s[28:29]
	v_or_b32_e32 v46, v3, v0
.LBB4_816:                              ;   in Loop: Header=BB4_772 Depth=4
	s_or_b64 exec, exec, s[70:71]
.LBB4_817:                              ;   in Loop: Header=BB4_772 Depth=4
	s_or_b64 exec, exec, s[68:69]
                                        ; implicit-def: $vgpr3
.LBB4_818:                              ;   in Loop: Header=BB4_772 Depth=4
	s_andn2_saveexec_b64 s[28:29], s[30:31]
; %bb.819:                              ;   in Loop: Header=BB4_772 Depth=4
	v_or_b32_sdwa v0, v3, s39 dst_sel:DWORD dst_unused:UNUSED_PAD src0_sel:BYTE_3 src1_sel:DWORD
	v_cmp_eq_u64_e32 vcc, 0, v[42:43]
	v_cndmask_b32_e32 v46, v0, v46, vcc
; %bb.820:                              ;   in Loop: Header=BB4_772 Depth=4
	s_or_b64 exec, exec, s[28:29]
	v_lshrrev_b16_e32 v42, 8, v20
	v_lshrrev_b16_e32 v26, 8, v16
	v_cmp_ne_u16_e64 s[28:29], 0, v42
	s_and_b64 vcc, exec, s[66:67]
	s_cbranch_vccz .LBB4_838
; %bb.821:                              ;   in Loop: Header=BB4_772 Depth=4
	v_mov_b32_e32 v3, 0
	v_mov_b32_e32 v0, 0
	s_and_saveexec_b64 s[30:31], s[28:29]
	s_cbranch_execz .LBB4_829
; %bb.822:                              ;   in Loop: Header=BB4_772 Depth=4
	v_cmp_ne_u16_e32 vcc, s97, v42
	v_bfrev_b32_e32 v0, 1
	s_and_saveexec_b64 s[68:69], vcc
	s_cbranch_execz .LBB4_828
; %bb.823:                              ;   in Loop: Header=BB4_772 Depth=4
	v_and_b32_e32 v0, 0x7c, v42
	v_and_b32_e32 v7, 3, v42
	v_cmp_ne_u32_e32 vcc, s95, v0
                                        ; implicit-def: $vgpr0
	s_and_saveexec_b64 s[70:71], vcc
	s_xor_b64 s[70:71], exec, s[70:71]
	s_cbranch_execz .LBB4_825
; %bb.824:                              ;   in Loop: Header=BB4_772 Depth=4
	v_ffbh_u32_e32 v27, v7
	v_min_u32_e32 v27, 32, v27
	v_subrev_u32_e32 v28, 29, v27
	v_bfe_u32 v0, v42, 2, 5
	v_lshlrev_b64 v[36:37], v28, v[42:43]
	v_sub_u32_e32 v27, 30, v27
	v_and_b32_e32 v28, 3, v36
	v_cmp_eq_u32_e32 vcc, 0, v0
	v_cndmask_b32_e32 v0, v0, v27, vcc
	v_cndmask_b32_e32 v7, v7, v28, vcc
	v_bfrev_b32_e32 v28, 28
	v_lshlrev_b32_e32 v27, 16, v20
	v_lshl_add_u32 v0, v0, 23, v28
	v_and_or_b32 v0, v27, s96, v0
	v_lshl_or_b32 v0, v7, 21, v0
                                        ; implicit-def: $vgpr7
.LBB4_825:                              ;   in Loop: Header=BB4_772 Depth=4
	s_andn2_saveexec_b64 s[70:71], s[70:71]
; %bb.826:                              ;   in Loop: Header=BB4_772 Depth=4
	v_cmp_lt_i16_e32 vcc, -1, v20
	v_cndmask_b32_e32 v0, v6, v1, vcc
	v_cmp_eq_u32_e32 vcc, 0, v7
	v_mov_b32_e32 v7, 0x7f800001
	v_cndmask_b32_e32 v0, v7, v0, vcc
; %bb.827:                              ;   in Loop: Header=BB4_772 Depth=4
	s_or_b64 exec, exec, s[70:71]
.LBB4_828:                              ;   in Loop: Header=BB4_772 Depth=4
	s_or_b64 exec, exec, s[68:69]
.LBB4_829:                              ;   in Loop: Header=BB4_772 Depth=4
	s_or_b64 exec, exec, s[30:31]
	v_cmp_ne_u16_e32 vcc, 0, v26
	s_and_saveexec_b64 s[30:31], vcc
	s_cbranch_execz .LBB4_837
; %bb.830:                              ;   in Loop: Header=BB4_772 Depth=4
	v_cmp_ne_u16_e32 vcc, s97, v26
	v_bfrev_b32_e32 v3, 1
	s_and_saveexec_b64 s[68:69], vcc
	s_cbranch_execz .LBB4_836
; %bb.831:                              ;   in Loop: Header=BB4_772 Depth=4
	v_and_b32_e32 v3, 0x7c, v26
	v_and_b32_e32 v7, 3, v26
	v_cmp_ne_u32_e32 vcc, s95, v3
                                        ; implicit-def: $vgpr3
	s_and_saveexec_b64 s[70:71], vcc
	s_xor_b64 s[70:71], exec, s[70:71]
	s_cbranch_execz .LBB4_833
; %bb.832:                              ;   in Loop: Header=BB4_772 Depth=4
	v_ffbh_u32_e32 v28, v7
	v_min_u32_e32 v28, 32, v28
	v_mov_b32_e32 v27, v43
	v_subrev_u32_e32 v30, 29, v28
	v_bfe_u32 v3, v26, 2, 5
	v_lshlrev_b64 v[36:37], v30, v[26:27]
	v_sub_u32_e32 v27, 30, v28
	v_and_b32_e32 v28, 3, v36
	v_cmp_eq_u32_e32 vcc, 0, v3
	v_cndmask_b32_e32 v3, v3, v27, vcc
	v_cndmask_b32_e32 v7, v7, v28, vcc
	v_bfrev_b32_e32 v28, 28
	v_lshlrev_b32_e32 v27, 16, v16
	v_lshl_add_u32 v3, v3, 23, v28
	v_and_or_b32 v3, v27, s96, v3
	v_lshl_or_b32 v3, v7, 21, v3
                                        ; implicit-def: $vgpr7
.LBB4_833:                              ;   in Loop: Header=BB4_772 Depth=4
	s_andn2_saveexec_b64 s[70:71], s[70:71]
; %bb.834:                              ;   in Loop: Header=BB4_772 Depth=4
	v_cmp_lt_i16_e32 vcc, -1, v16
	v_cndmask_b32_e32 v3, v6, v1, vcc
	v_cmp_eq_u32_e32 vcc, 0, v7
	v_mov_b32_e32 v7, 0x7f800001
	v_cndmask_b32_e32 v3, v7, v3, vcc
; %bb.835:                              ;   in Loop: Header=BB4_772 Depth=4
	s_or_b64 exec, exec, s[70:71]
.LBB4_836:                              ;   in Loop: Header=BB4_772 Depth=4
	s_or_b64 exec, exec, s[68:69]
.LBB4_837:                              ;   in Loop: Header=BB4_772 Depth=4
	s_or_b64 exec, exec, s[30:31]
	v_max_f32_e32 v3, v3, v3
	v_max_f32_e32 v0, v0, v0
	v_max_f32_e32 v3, v0, v3
	s_branch .LBB4_856
.LBB4_838:                              ;   in Loop: Header=BB4_772 Depth=4
                                        ; implicit-def: $vgpr3
	s_cbranch_execz .LBB4_856
; %bb.839:                              ;   in Loop: Header=BB4_772 Depth=4
	v_mov_b32_e32 v3, 0
	v_mov_b32_e32 v0, 0
	s_and_saveexec_b64 s[30:31], s[28:29]
	s_cbranch_execz .LBB4_847
; %bb.840:                              ;   in Loop: Header=BB4_772 Depth=4
	v_cmp_ne_u16_e32 vcc, s97, v42
	v_bfrev_b32_e32 v0, 1
	s_and_saveexec_b64 s[28:29], vcc
	s_cbranch_execz .LBB4_846
; %bb.841:                              ;   in Loop: Header=BB4_772 Depth=4
	v_and_b32_e32 v0, 0x7c, v42
	v_and_b32_e32 v7, 3, v42
	v_cmp_ne_u32_e32 vcc, s95, v0
                                        ; implicit-def: $vgpr0
	s_and_saveexec_b64 s[68:69], vcc
	s_xor_b64 s[68:69], exec, s[68:69]
	s_cbranch_execz .LBB4_843
; %bb.842:                              ;   in Loop: Header=BB4_772 Depth=4
	v_ffbh_u32_e32 v27, v7
	v_min_u32_e32 v27, 32, v27
	v_subrev_u32_e32 v28, 29, v27
	v_bfe_u32 v0, v42, 2, 5
	v_lshlrev_b64 v[36:37], v28, v[42:43]
	v_sub_u32_e32 v27, 30, v27
	v_and_b32_e32 v28, 3, v36
	v_cmp_eq_u32_e32 vcc, 0, v0
	v_cndmask_b32_e32 v0, v0, v27, vcc
	v_cndmask_b32_e32 v7, v7, v28, vcc
	v_bfrev_b32_e32 v28, 28
	v_lshlrev_b32_e32 v27, 16, v20
	v_lshl_add_u32 v0, v0, 23, v28
	v_and_or_b32 v0, v27, s96, v0
	v_lshl_or_b32 v0, v7, 21, v0
                                        ; implicit-def: $vgpr7
.LBB4_843:                              ;   in Loop: Header=BB4_772 Depth=4
	s_andn2_saveexec_b64 s[68:69], s[68:69]
; %bb.844:                              ;   in Loop: Header=BB4_772 Depth=4
	v_cmp_lt_i16_e32 vcc, -1, v20
	v_cndmask_b32_e32 v0, v6, v1, vcc
	v_cmp_eq_u32_e32 vcc, 0, v7
	v_mov_b32_e32 v7, 0x7f800001
	v_cndmask_b32_e32 v0, v7, v0, vcc
; %bb.845:                              ;   in Loop: Header=BB4_772 Depth=4
	s_or_b64 exec, exec, s[68:69]
.LBB4_846:                              ;   in Loop: Header=BB4_772 Depth=4
	s_or_b64 exec, exec, s[28:29]
.LBB4_847:                              ;   in Loop: Header=BB4_772 Depth=4
	s_or_b64 exec, exec, s[30:31]
	v_cmp_ne_u16_e32 vcc, 0, v26
	s_and_saveexec_b64 s[28:29], vcc
	s_cbranch_execz .LBB4_855
; %bb.848:                              ;   in Loop: Header=BB4_772 Depth=4
	v_cmp_ne_u16_e32 vcc, s97, v26
	v_bfrev_b32_e32 v3, 1
	s_and_saveexec_b64 s[30:31], vcc
	s_cbranch_execz .LBB4_854
; %bb.849:                              ;   in Loop: Header=BB4_772 Depth=4
	v_and_b32_e32 v3, 0x7c, v26
	v_and_b32_e32 v7, 3, v26
	v_cmp_ne_u32_e32 vcc, s95, v3
                                        ; implicit-def: $vgpr3
	s_and_saveexec_b64 s[68:69], vcc
	s_xor_b64 s[68:69], exec, s[68:69]
	s_cbranch_execz .LBB4_851
; %bb.850:                              ;   in Loop: Header=BB4_772 Depth=4
	v_ffbh_u32_e32 v28, v7
	v_min_u32_e32 v28, 32, v28
	v_mov_b32_e32 v27, v43
	v_subrev_u32_e32 v30, 29, v28
	v_bfe_u32 v3, v26, 2, 5
	v_lshlrev_b64 v[26:27], v30, v[26:27]
	v_sub_u32_e32 v27, 30, v28
	v_cmp_eq_u32_e32 vcc, 0, v3
	v_and_b32_e32 v26, 3, v26
	v_cndmask_b32_e32 v3, v3, v27, vcc
	v_bfrev_b32_e32 v27, 28
	v_cndmask_b32_e32 v7, v7, v26, vcc
	v_lshlrev_b32_e32 v26, 16, v16
	v_lshl_add_u32 v3, v3, 23, v27
	v_and_or_b32 v3, v26, s96, v3
	v_lshl_or_b32 v3, v7, 21, v3
                                        ; implicit-def: $vgpr7
.LBB4_851:                              ;   in Loop: Header=BB4_772 Depth=4
	s_andn2_saveexec_b64 s[68:69], s[68:69]
; %bb.852:                              ;   in Loop: Header=BB4_772 Depth=4
	v_cmp_lt_i16_e32 vcc, -1, v16
	v_cndmask_b32_e32 v3, v6, v1, vcc
	v_cmp_eq_u32_e32 vcc, 0, v7
	v_mov_b32_e32 v7, 0x7f800001
	v_cndmask_b32_e32 v3, v7, v3, vcc
; %bb.853:                              ;   in Loop: Header=BB4_772 Depth=4
	s_or_b64 exec, exec, s[68:69]
.LBB4_854:                              ;   in Loop: Header=BB4_772 Depth=4
	s_or_b64 exec, exec, s[30:31]
.LBB4_855:                              ;   in Loop: Header=BB4_772 Depth=4
	s_or_b64 exec, exec, s[28:29]
	v_max_f32_e32 v3, v3, v3
	v_max_f32_e32 v0, v0, v0
	v_min_f32_e32 v3, v0, v3
.LBB4_856:                              ;   in Loop: Header=BB4_772 Depth=4
	v_and_b32_sdwa v0, v3, s97 dst_sel:DWORD dst_unused:UNUSED_PAD src0_sel:BYTE_3 src1_sel:DWORD
	v_and_b32_e32 v26, 0x7f800000, v3
	v_mov_b32_e32 v27, v43
	v_and_b32_e32 v42, 0x7fffff, v3
	v_or_b32_e32 v47, 0x7b, v0
	v_cmp_ne_u64_e32 vcc, s[52:53], v[26:27]
	s_and_saveexec_b64 s[28:29], vcc
	s_xor_b64 s[30:31], exec, s[28:29]
	s_cbranch_execz .LBB4_866
; %bb.857:                              ;   in Loop: Header=BB4_772 Depth=4
	v_and_b32_e32 v26, 0x7fffffff, v3
	v_mov_b32_e32 v27, v43
	v_cmp_gt_u64_e32 vcc, s[54:55], v[26:27]
	s_and_saveexec_b64 s[68:69], vcc
	s_cbranch_execz .LBB4_865
; %bb.858:                              ;   in Loop: Header=BB4_772 Depth=4
	v_cmp_ne_u32_e32 vcc, 0, v3
	v_mov_b32_e32 v47, 0
	s_and_saveexec_b64 s[70:71], vcc
	s_cbranch_execz .LBB4_864
; %bb.859:                              ;   in Loop: Header=BB4_772 Depth=4
	v_bfe_u32 v3, v3, 23, 8
	v_sub_u32_e32 v26, 0x71, v3
	v_cmp_gt_u32_e32 vcc, s38, v3
	v_add_u32_e32 v7, 0xffffff81, v3
	v_cndmask_b32_e32 v26, 0, v26, vcc
	v_cmp_eq_u32_e32 vcc, 0, v3
	v_mov_b32_e32 v3, 0xffffff82
	v_cndmask_b32_e32 v3, v7, v3, vcc
	v_mov_b32_e32 v7, 0x70
	v_or_b32_e32 v27, 0x800000, v42
	v_cndmask_b32_e32 v7, v26, v7, vcc
	v_cndmask_b32_e32 v42, v27, v42, vcc
	v_add_u32_e32 v26, 21, v7
	v_lshlrev_b64 v[26:27], v26, -1
	v_add_u32_e32 v28, 20, v7
	v_lshrrev_b64 v[38:39], v7, v[42:43]
	v_not_b32_e32 v27, v27
	v_not_b32_e32 v26, v26
	v_lshlrev_b64 v[36:37], v28, 1
	v_lshrrev_b32_e32 v28, 23, v38
	v_and_b32_e32 v27, 0, v27
	v_and_b32_e32 v26, v42, v26
	v_add3_u32 v28, v7, v3, v28
	v_bfe_u32 v3, v38, 21, 1
	v_add_u32_e32 v3, -1, v3
	v_cmp_eq_u64_e32 vcc, v[26:27], v[36:37]
	v_cndmask_b32_e32 v3, 0, v3, vcc
	v_add_u32_e32 v3, v3, v38
	v_and_b32_e32 v3, 0x1fffff, v3
	v_add_co_u32_e32 v26, vcc, v3, v38
	v_add_u32_e32 v7, 14, v28
	v_addc_co_u32_e32 v27, vcc, 0, v39, vcc
	v_cmp_ne_u32_e32 vcc, 0, v7
                                        ; implicit-def: $vgpr3
	s_and_saveexec_b64 s[28:29], vcc
	s_xor_b64 s[28:29], exec, s[28:29]
; %bb.860:                              ;   in Loop: Header=BB4_772 Depth=4
	v_add_u32_e32 v3, 15, v28
	v_cmp_lt_u64_e32 vcc, s[56:57], v[26:27]
	v_cndmask_b32_e32 v3, v7, v3, vcc
	v_cndmask_b32_e64 v7, 0, 1, vcc
	v_lshrrev_b64 v[26:27], v7, v[26:27]
; %bb.861:                              ;   in Loop: Header=BB4_772 Depth=4
	s_andn2_saveexec_b64 s[28:29], s[28:29]
; %bb.862:                              ;   in Loop: Header=BB4_772 Depth=4
	v_bfe_u32 v3, v26, 23, 1
; %bb.863:                              ;   in Loop: Header=BB4_772 Depth=4
	s_or_b64 exec, exec, s[28:29]
	v_lshrrev_b64 v[26:27], 21, v[26:27]
	v_cmp_gt_i32_e32 vcc, 32, v3
	v_cndmask_b32_e32 v27, 0, v27, vcc
	v_cndmask_b32_e32 v26, 3, v26, vcc
	v_cmp_eq_u32_e32 vcc, 0, v3
	v_min_i32_e32 v3, 31, v3
	v_cmp_eq_u64_e64 s[28:29], 0, v[26:27]
	v_lshlrev_b32_e32 v3, 2, v3
	v_and_or_b32 v3, v26, 3, v3
	s_and_b64 s[28:29], vcc, s[28:29]
	v_cndmask_b32_e64 v3, v3, 0, s[28:29]
	v_or_b32_e32 v47, v3, v0
.LBB4_864:                              ;   in Loop: Header=BB4_772 Depth=4
	s_or_b64 exec, exec, s[70:71]
.LBB4_865:                              ;   in Loop: Header=BB4_772 Depth=4
	s_or_b64 exec, exec, s[68:69]
                                        ; implicit-def: $vgpr3
.LBB4_866:                              ;   in Loop: Header=BB4_772 Depth=4
	s_andn2_saveexec_b64 s[28:29], s[30:31]
; %bb.867:                              ;   in Loop: Header=BB4_772 Depth=4
	v_or_b32_sdwa v0, v3, s39 dst_sel:DWORD dst_unused:UNUSED_PAD src0_sel:BYTE_3 src1_sel:DWORD
	v_cmp_eq_u64_e32 vcc, 0, v[42:43]
	v_cndmask_b32_e32 v47, v0, v47, vcc
; %bb.868:                              ;   in Loop: Header=BB4_772 Depth=4
	s_or_b64 exec, exec, s[28:29]
	v_lshrrev_b32_e32 v38, 16, v20
	v_lshrrev_b32_e32 v26, 16, v16
	v_cmp_ne_u16_sdwa s[28:29], v38, v43 src0_sel:BYTE_0 src1_sel:DWORD
	s_and_b64 vcc, exec, s[66:67]
	s_cbranch_vccz .LBB4_886
; %bb.869:                              ;   in Loop: Header=BB4_772 Depth=4
	v_mov_b32_e32 v3, 0
	v_mov_b32_e32 v0, 0
	s_and_saveexec_b64 s[30:31], s[28:29]
	s_cbranch_execz .LBB4_877
; %bb.870:                              ;   in Loop: Header=BB4_772 Depth=4
	v_cmp_ne_u16_sdwa vcc, v38, s97 src0_sel:BYTE_0 src1_sel:DWORD
	v_bfrev_b32_e32 v0, 1
	s_and_saveexec_b64 s[68:69], vcc
	s_cbranch_execz .LBB4_876
; %bb.871:                              ;   in Loop: Header=BB4_772 Depth=4
	v_and_b32_e32 v0, 0x7c0000, v20
	v_bfe_u32 v7, v20, 16, 2
	v_cmp_ne_u32_e32 vcc, s36, v0
                                        ; implicit-def: $vgpr0
	s_and_saveexec_b64 s[70:71], vcc
	s_xor_b64 s[70:71], exec, s[70:71]
	s_cbranch_execz .LBB4_873
; %bb.872:                              ;   in Loop: Header=BB4_772 Depth=4
	v_ffbh_u32_e32 v27, v7
	v_min_u32_e32 v27, 32, v27
	v_subrev_u32_e32 v28, 29, v27
	v_bfe_u32 v0, v20, 18, 5
	v_lshlrev_b64 v[36:37], v28, v[38:39]
	v_sub_u32_e32 v27, 30, v27
	v_and_b32_e32 v28, 3, v36
	v_cmp_eq_u32_e32 vcc, 0, v0
	v_cndmask_b32_e32 v0, v0, v27, vcc
	v_cndmask_b32_e32 v7, v7, v28, vcc
	v_bfrev_b32_e32 v28, 28
	v_lshlrev_b32_e32 v27, 24, v38
	v_lshl_add_u32 v0, v0, 23, v28
	v_and_or_b32 v0, v27, s96, v0
	v_lshl_or_b32 v0, v7, 21, v0
                                        ; implicit-def: $vgpr7
.LBB4_873:                              ;   in Loop: Header=BB4_772 Depth=4
	s_andn2_saveexec_b64 s[70:71], s[70:71]
; %bb.874:                              ;   in Loop: Header=BB4_772 Depth=4
	v_mov_b32_e32 v0, -1
	v_cmp_gt_i16_sdwa vcc, sext(v38), v0 src0_sel:BYTE_0 src1_sel:DWORD
	v_cndmask_b32_e32 v0, v6, v1, vcc
	v_cmp_eq_u32_e32 vcc, 0, v7
	v_mov_b32_e32 v7, 0x7f800001
	v_cndmask_b32_e32 v0, v7, v0, vcc
; %bb.875:                              ;   in Loop: Header=BB4_772 Depth=4
	s_or_b64 exec, exec, s[70:71]
.LBB4_876:                              ;   in Loop: Header=BB4_772 Depth=4
	s_or_b64 exec, exec, s[68:69]
.LBB4_877:                              ;   in Loop: Header=BB4_772 Depth=4
	s_or_b64 exec, exec, s[30:31]
	v_cmp_ne_u16_sdwa vcc, v26, v43 src0_sel:BYTE_0 src1_sel:DWORD
	s_and_saveexec_b64 s[30:31], vcc
	s_cbranch_execz .LBB4_885
; %bb.878:                              ;   in Loop: Header=BB4_772 Depth=4
	v_cmp_ne_u16_sdwa vcc, v26, s97 src0_sel:BYTE_0 src1_sel:DWORD
	v_bfrev_b32_e32 v3, 1
	s_and_saveexec_b64 s[68:69], vcc
	s_cbranch_execz .LBB4_884
; %bb.879:                              ;   in Loop: Header=BB4_772 Depth=4
	v_and_b32_e32 v3, 0x7c0000, v16
	v_bfe_u32 v7, v16, 16, 2
	v_cmp_ne_u32_e32 vcc, s36, v3
                                        ; implicit-def: $vgpr3
	s_and_saveexec_b64 s[70:71], vcc
	s_xor_b64 s[70:71], exec, s[70:71]
	s_cbranch_execz .LBB4_881
; %bb.880:                              ;   in Loop: Header=BB4_772 Depth=4
	v_ffbh_u32_e32 v27, v7
	v_min_u32_e32 v27, 32, v27
	v_subrev_u32_e32 v28, 29, v27
	v_bfe_u32 v3, v16, 18, 5
	v_lshlrev_b64 v[36:37], v28, v[26:27]
	v_sub_u32_e32 v27, 30, v27
	v_and_b32_e32 v28, 3, v36
	v_cmp_eq_u32_e32 vcc, 0, v3
	v_cndmask_b32_e32 v3, v3, v27, vcc
	v_cndmask_b32_e32 v7, v7, v28, vcc
	v_bfrev_b32_e32 v28, 28
	v_lshlrev_b32_e32 v27, 24, v26
	v_lshl_add_u32 v3, v3, 23, v28
	v_and_or_b32 v3, v27, s96, v3
	v_lshl_or_b32 v3, v7, 21, v3
                                        ; implicit-def: $vgpr7
.LBB4_881:                              ;   in Loop: Header=BB4_772 Depth=4
	s_andn2_saveexec_b64 s[70:71], s[70:71]
; %bb.882:                              ;   in Loop: Header=BB4_772 Depth=4
	v_mov_b32_e32 v3, -1
	v_cmp_gt_i16_sdwa vcc, sext(v26), v3 src0_sel:BYTE_0 src1_sel:DWORD
	v_cndmask_b32_e32 v3, v6, v1, vcc
	v_cmp_eq_u32_e32 vcc, 0, v7
	v_mov_b32_e32 v7, 0x7f800001
	v_cndmask_b32_e32 v3, v7, v3, vcc
; %bb.883:                              ;   in Loop: Header=BB4_772 Depth=4
	s_or_b64 exec, exec, s[70:71]
.LBB4_884:                              ;   in Loop: Header=BB4_772 Depth=4
	s_or_b64 exec, exec, s[68:69]
.LBB4_885:                              ;   in Loop: Header=BB4_772 Depth=4
	s_or_b64 exec, exec, s[30:31]
	v_max_f32_e32 v3, v3, v3
	v_max_f32_e32 v0, v0, v0
	;; [unrolled: 1-line block ×3, first 2 shown]
	s_branch .LBB4_904
.LBB4_886:                              ;   in Loop: Header=BB4_772 Depth=4
                                        ; implicit-def: $vgpr3
	s_cbranch_execz .LBB4_904
; %bb.887:                              ;   in Loop: Header=BB4_772 Depth=4
	v_mov_b32_e32 v3, 0
	v_mov_b32_e32 v0, 0
	s_and_saveexec_b64 s[30:31], s[28:29]
	s_cbranch_execz .LBB4_895
; %bb.888:                              ;   in Loop: Header=BB4_772 Depth=4
	v_cmp_ne_u16_sdwa vcc, v38, s97 src0_sel:BYTE_0 src1_sel:DWORD
	v_bfrev_b32_e32 v0, 1
	s_and_saveexec_b64 s[28:29], vcc
	s_cbranch_execz .LBB4_894
; %bb.889:                              ;   in Loop: Header=BB4_772 Depth=4
	v_and_b32_e32 v0, 0x7c0000, v20
	v_bfe_u32 v7, v20, 16, 2
	v_cmp_ne_u32_e32 vcc, s36, v0
                                        ; implicit-def: $vgpr0
	s_and_saveexec_b64 s[68:69], vcc
	s_xor_b64 s[68:69], exec, s[68:69]
	s_cbranch_execz .LBB4_891
; %bb.890:                              ;   in Loop: Header=BB4_772 Depth=4
	v_ffbh_u32_e32 v27, v7
	v_min_u32_e32 v27, 32, v27
	v_subrev_u32_e32 v28, 29, v27
	v_bfe_u32 v0, v20, 18, 5
	v_lshlrev_b64 v[36:37], v28, v[38:39]
	v_sub_u32_e32 v27, 30, v27
	v_and_b32_e32 v28, 3, v36
	v_cmp_eq_u32_e32 vcc, 0, v0
	v_cndmask_b32_e32 v0, v0, v27, vcc
	v_cndmask_b32_e32 v7, v7, v28, vcc
	v_bfrev_b32_e32 v28, 28
	v_lshlrev_b32_e32 v27, 24, v38
	v_lshl_add_u32 v0, v0, 23, v28
	v_and_or_b32 v0, v27, s96, v0
	v_lshl_or_b32 v0, v7, 21, v0
                                        ; implicit-def: $vgpr7
                                        ; implicit-def: $vgpr38
.LBB4_891:                              ;   in Loop: Header=BB4_772 Depth=4
	s_andn2_saveexec_b64 s[68:69], s[68:69]
; %bb.892:                              ;   in Loop: Header=BB4_772 Depth=4
	v_mov_b32_e32 v0, -1
	v_cmp_gt_i16_sdwa vcc, sext(v38), v0 src0_sel:BYTE_0 src1_sel:DWORD
	v_cndmask_b32_e32 v0, v6, v1, vcc
	v_cmp_eq_u32_e32 vcc, 0, v7
	v_mov_b32_e32 v7, 0x7f800001
	v_cndmask_b32_e32 v0, v7, v0, vcc
; %bb.893:                              ;   in Loop: Header=BB4_772 Depth=4
	s_or_b64 exec, exec, s[68:69]
.LBB4_894:                              ;   in Loop: Header=BB4_772 Depth=4
	s_or_b64 exec, exec, s[28:29]
.LBB4_895:                              ;   in Loop: Header=BB4_772 Depth=4
	s_or_b64 exec, exec, s[30:31]
	v_cmp_ne_u16_sdwa vcc, v26, v43 src0_sel:BYTE_0 src1_sel:DWORD
	s_and_saveexec_b64 s[28:29], vcc
	s_cbranch_execz .LBB4_903
; %bb.896:                              ;   in Loop: Header=BB4_772 Depth=4
	v_cmp_ne_u16_sdwa vcc, v26, s97 src0_sel:BYTE_0 src1_sel:DWORD
	v_bfrev_b32_e32 v3, 1
	s_and_saveexec_b64 s[30:31], vcc
	s_cbranch_execz .LBB4_902
; %bb.897:                              ;   in Loop: Header=BB4_772 Depth=4
	v_and_b32_e32 v3, 0x7c0000, v16
	v_bfe_u32 v7, v16, 16, 2
	v_cmp_ne_u32_e32 vcc, s36, v3
                                        ; implicit-def: $vgpr3
	s_and_saveexec_b64 s[68:69], vcc
	s_xor_b64 s[68:69], exec, s[68:69]
	s_cbranch_execz .LBB4_899
; %bb.898:                              ;   in Loop: Header=BB4_772 Depth=4
	v_ffbh_u32_e32 v27, v7
	v_min_u32_e32 v27, 32, v27
	v_bfe_u32 v3, v16, 18, 5
	v_subrev_u32_e32 v28, 29, v27
	v_lshlrev_b64 v[36:37], v28, v[26:27]
	v_sub_u32_e32 v27, 30, v27
	v_cmp_eq_u32_e32 vcc, 0, v3
	v_cndmask_b32_e32 v3, v3, v27, vcc
	v_bfrev_b32_e32 v27, 28
	v_and_b32_e32 v28, 3, v36
	v_lshlrev_b32_e32 v26, 24, v26
	v_lshl_add_u32 v3, v3, 23, v27
	v_cndmask_b32_e32 v7, v7, v28, vcc
	v_and_or_b32 v3, v26, s96, v3
	v_lshl_or_b32 v3, v7, 21, v3
                                        ; implicit-def: $vgpr7
                                        ; implicit-def: $vgpr26
.LBB4_899:                              ;   in Loop: Header=BB4_772 Depth=4
	s_andn2_saveexec_b64 s[68:69], s[68:69]
; %bb.900:                              ;   in Loop: Header=BB4_772 Depth=4
	v_mov_b32_e32 v3, -1
	v_cmp_gt_i16_sdwa vcc, sext(v26), v3 src0_sel:BYTE_0 src1_sel:DWORD
	v_cndmask_b32_e32 v3, v6, v1, vcc
	v_cmp_eq_u32_e32 vcc, 0, v7
	v_mov_b32_e32 v7, 0x7f800001
	v_cndmask_b32_e32 v3, v7, v3, vcc
; %bb.901:                              ;   in Loop: Header=BB4_772 Depth=4
	s_or_b64 exec, exec, s[68:69]
.LBB4_902:                              ;   in Loop: Header=BB4_772 Depth=4
	s_or_b64 exec, exec, s[30:31]
.LBB4_903:                              ;   in Loop: Header=BB4_772 Depth=4
	s_or_b64 exec, exec, s[28:29]
	v_max_f32_e32 v3, v3, v3
	v_max_f32_e32 v0, v0, v0
	v_min_f32_e32 v3, v0, v3
.LBB4_904:                              ;   in Loop: Header=BB4_772 Depth=4
	v_and_b32_sdwa v0, v3, s97 dst_sel:DWORD dst_unused:UNUSED_PAD src0_sel:BYTE_3 src1_sel:DWORD
	v_and_b32_e32 v26, 0x7f800000, v3
	v_mov_b32_e32 v27, v43
	v_and_b32_e32 v42, 0x7fffff, v3
	v_or_b32_e32 v56, 0x7b, v0
	v_cmp_ne_u64_e32 vcc, s[52:53], v[26:27]
	s_and_saveexec_b64 s[28:29], vcc
	s_xor_b64 s[30:31], exec, s[28:29]
	s_cbranch_execz .LBB4_914
; %bb.905:                              ;   in Loop: Header=BB4_772 Depth=4
	v_and_b32_e32 v26, 0x7fffffff, v3
	v_mov_b32_e32 v27, v43
	v_cmp_gt_u64_e32 vcc, s[54:55], v[26:27]
	s_and_saveexec_b64 s[68:69], vcc
	s_cbranch_execz .LBB4_913
; %bb.906:                              ;   in Loop: Header=BB4_772 Depth=4
	v_cmp_ne_u32_e32 vcc, 0, v3
	v_mov_b32_e32 v56, 0
	s_and_saveexec_b64 s[70:71], vcc
	s_cbranch_execz .LBB4_912
; %bb.907:                              ;   in Loop: Header=BB4_772 Depth=4
	v_bfe_u32 v3, v3, 23, 8
	v_sub_u32_e32 v26, 0x71, v3
	v_cmp_gt_u32_e32 vcc, s38, v3
	v_add_u32_e32 v7, 0xffffff81, v3
	v_cndmask_b32_e32 v26, 0, v26, vcc
	v_cmp_eq_u32_e32 vcc, 0, v3
	v_mov_b32_e32 v3, 0xffffff82
	v_cndmask_b32_e32 v3, v7, v3, vcc
	v_mov_b32_e32 v7, 0x70
	v_or_b32_e32 v27, 0x800000, v42
	v_cndmask_b32_e32 v7, v26, v7, vcc
	v_cndmask_b32_e32 v42, v27, v42, vcc
	v_add_u32_e32 v26, 21, v7
	v_lshlrev_b64 v[26:27], v26, -1
	v_add_u32_e32 v28, 20, v7
	v_lshrrev_b64 v[38:39], v7, v[42:43]
	v_not_b32_e32 v27, v27
	v_not_b32_e32 v26, v26
	v_lshlrev_b64 v[36:37], v28, 1
	v_lshrrev_b32_e32 v28, 23, v38
	v_and_b32_e32 v27, 0, v27
	v_and_b32_e32 v26, v42, v26
	v_add3_u32 v28, v7, v3, v28
	v_bfe_u32 v3, v38, 21, 1
	v_add_u32_e32 v3, -1, v3
	v_cmp_eq_u64_e32 vcc, v[26:27], v[36:37]
	v_cndmask_b32_e32 v3, 0, v3, vcc
	v_add_u32_e32 v3, v3, v38
	v_and_b32_e32 v3, 0x1fffff, v3
	v_add_co_u32_e32 v26, vcc, v3, v38
	v_add_u32_e32 v7, 14, v28
	v_addc_co_u32_e32 v27, vcc, 0, v39, vcc
	v_cmp_ne_u32_e32 vcc, 0, v7
                                        ; implicit-def: $vgpr3
	s_and_saveexec_b64 s[28:29], vcc
	s_xor_b64 s[28:29], exec, s[28:29]
; %bb.908:                              ;   in Loop: Header=BB4_772 Depth=4
	v_add_u32_e32 v3, 15, v28
	v_cmp_lt_u64_e32 vcc, s[56:57], v[26:27]
	v_cndmask_b32_e32 v3, v7, v3, vcc
	v_cndmask_b32_e64 v7, 0, 1, vcc
	v_lshrrev_b64 v[26:27], v7, v[26:27]
; %bb.909:                              ;   in Loop: Header=BB4_772 Depth=4
	s_andn2_saveexec_b64 s[28:29], s[28:29]
; %bb.910:                              ;   in Loop: Header=BB4_772 Depth=4
	v_bfe_u32 v3, v26, 23, 1
; %bb.911:                              ;   in Loop: Header=BB4_772 Depth=4
	s_or_b64 exec, exec, s[28:29]
	v_lshrrev_b64 v[26:27], 21, v[26:27]
	v_cmp_gt_i32_e32 vcc, 32, v3
	v_cndmask_b32_e32 v27, 0, v27, vcc
	v_cndmask_b32_e32 v26, 3, v26, vcc
	v_cmp_eq_u32_e32 vcc, 0, v3
	v_min_i32_e32 v3, 31, v3
	v_cmp_eq_u64_e64 s[28:29], 0, v[26:27]
	v_lshlrev_b32_e32 v3, 2, v3
	v_and_or_b32 v3, v26, 3, v3
	s_and_b64 s[28:29], vcc, s[28:29]
	v_cndmask_b32_e64 v3, v3, 0, s[28:29]
	v_or_b32_e32 v56, v3, v0
.LBB4_912:                              ;   in Loop: Header=BB4_772 Depth=4
	s_or_b64 exec, exec, s[70:71]
.LBB4_913:                              ;   in Loop: Header=BB4_772 Depth=4
	s_or_b64 exec, exec, s[68:69]
                                        ; implicit-def: $vgpr3
.LBB4_914:                              ;   in Loop: Header=BB4_772 Depth=4
	s_andn2_saveexec_b64 s[28:29], s[30:31]
; %bb.915:                              ;   in Loop: Header=BB4_772 Depth=4
	v_or_b32_sdwa v0, v3, s39 dst_sel:DWORD dst_unused:UNUSED_PAD src0_sel:BYTE_3 src1_sel:DWORD
	v_cmp_eq_u64_e32 vcc, 0, v[42:43]
	v_cndmask_b32_e32 v56, v0, v56, vcc
; %bb.916:                              ;   in Loop: Header=BB4_772 Depth=4
	s_or_b64 exec, exec, s[28:29]
	v_lshrrev_b32_e32 v38, 24, v20
	v_lshrrev_b32_e32 v26, 24, v16
	v_cmp_lt_u32_e64 s[28:29], s43, v20
	s_and_b64 vcc, exec, s[66:67]
	s_cbranch_vccz .LBB4_934
; %bb.917:                              ;   in Loop: Header=BB4_772 Depth=4
	v_mov_b32_e32 v3, 0
	v_mov_b32_e32 v0, 0
	s_and_saveexec_b64 s[30:31], s[28:29]
	s_cbranch_execz .LBB4_925
; %bb.918:                              ;   in Loop: Header=BB4_772 Depth=4
	v_cmp_ne_u32_e32 vcc, s97, v38
	v_bfrev_b32_e32 v0, 1
	s_and_saveexec_b64 s[68:69], vcc
	s_cbranch_execz .LBB4_924
; %bb.919:                              ;   in Loop: Header=BB4_772 Depth=4
	v_and_b32_e32 v0, 0x7c000000, v20
	v_bfe_u32 v7, v20, 24, 2
	v_cmp_ne_u32_e32 vcc, s37, v0
                                        ; implicit-def: $vgpr0
	s_and_saveexec_b64 s[70:71], vcc
	s_xor_b64 s[70:71], exec, s[70:71]
	s_cbranch_execz .LBB4_921
; %bb.920:                              ;   in Loop: Header=BB4_772 Depth=4
	v_ffbh_u32_e32 v27, v7
	v_bfe_u32 v0, v20, 26, 5
	v_min_u32_e32 v27, 32, v27
	v_subrev_u32_e32 v28, 29, v27
	v_sub_u32_e32 v27, 30, v27
	v_cmp_eq_u32_e32 vcc, 0, v0
	v_lshlrev_b64 v[36:37], v28, v[38:39]
	v_cndmask_b32_e32 v0, v0, v27, vcc
	v_bfrev_b32_e32 v27, 28
	v_and_b32_e32 v28, 3, v36
	v_lshl_add_u32 v0, v0, 23, v27
	v_cndmask_b32_e32 v7, v7, v28, vcc
	v_and_or_b32 v0, v20, s96, v0
	v_lshl_or_b32 v0, v7, 21, v0
                                        ; implicit-def: $vgpr7
.LBB4_921:                              ;   in Loop: Header=BB4_772 Depth=4
	s_andn2_saveexec_b64 s[70:71], s[70:71]
; %bb.922:                              ;   in Loop: Header=BB4_772 Depth=4
	v_cmp_lt_i32_e32 vcc, -1, v20
	v_cndmask_b32_e32 v0, v6, v1, vcc
	v_cmp_eq_u32_e32 vcc, 0, v7
	v_mov_b32_e32 v7, 0x7f800001
	v_cndmask_b32_e32 v0, v7, v0, vcc
; %bb.923:                              ;   in Loop: Header=BB4_772 Depth=4
	s_or_b64 exec, exec, s[70:71]
.LBB4_924:                              ;   in Loop: Header=BB4_772 Depth=4
	s_or_b64 exec, exec, s[68:69]
.LBB4_925:                              ;   in Loop: Header=BB4_772 Depth=4
	s_or_b64 exec, exec, s[30:31]
	v_cmp_lt_u32_e32 vcc, s43, v16
	s_and_saveexec_b64 s[30:31], vcc
	s_cbranch_execz .LBB4_933
; %bb.926:                              ;   in Loop: Header=BB4_772 Depth=4
	v_cmp_ne_u32_e32 vcc, s97, v26
	v_bfrev_b32_e32 v3, 1
	s_and_saveexec_b64 s[68:69], vcc
	s_cbranch_execz .LBB4_932
; %bb.927:                              ;   in Loop: Header=BB4_772 Depth=4
	v_and_b32_e32 v3, 0x7c000000, v16
	v_bfe_u32 v7, v16, 24, 2
	v_cmp_ne_u32_e32 vcc, s37, v3
                                        ; implicit-def: $vgpr3
	s_and_saveexec_b64 s[70:71], vcc
	s_xor_b64 s[70:71], exec, s[70:71]
	s_cbranch_execz .LBB4_929
; %bb.928:                              ;   in Loop: Header=BB4_772 Depth=4
	v_ffbh_u32_e32 v27, v7
	v_min_u32_e32 v27, 32, v27
	v_bfe_u32 v3, v16, 26, 5
	v_subrev_u32_e32 v28, 29, v27
	v_lshlrev_b64 v[36:37], v28, v[26:27]
	v_sub_u32_e32 v27, 30, v27
	v_cmp_eq_u32_e32 vcc, 0, v3
	v_cndmask_b32_e32 v3, v3, v27, vcc
	v_bfrev_b32_e32 v27, 28
	v_and_b32_e32 v28, 3, v36
	v_lshl_add_u32 v3, v3, 23, v27
	v_cndmask_b32_e32 v7, v7, v28, vcc
	v_and_or_b32 v3, v16, s96, v3
	v_lshl_or_b32 v3, v7, 21, v3
                                        ; implicit-def: $vgpr7
.LBB4_929:                              ;   in Loop: Header=BB4_772 Depth=4
	s_andn2_saveexec_b64 s[70:71], s[70:71]
; %bb.930:                              ;   in Loop: Header=BB4_772 Depth=4
	v_cmp_lt_i32_e32 vcc, -1, v16
	v_cndmask_b32_e32 v3, v6, v1, vcc
	v_cmp_eq_u32_e32 vcc, 0, v7
	v_mov_b32_e32 v7, 0x7f800001
	v_cndmask_b32_e32 v3, v7, v3, vcc
; %bb.931:                              ;   in Loop: Header=BB4_772 Depth=4
	s_or_b64 exec, exec, s[70:71]
.LBB4_932:                              ;   in Loop: Header=BB4_772 Depth=4
	s_or_b64 exec, exec, s[68:69]
.LBB4_933:                              ;   in Loop: Header=BB4_772 Depth=4
	s_or_b64 exec, exec, s[30:31]
	v_max_f32_e32 v3, v3, v3
	v_max_f32_e32 v0, v0, v0
	v_max_f32_e32 v3, v0, v3
	s_branch .LBB4_952
.LBB4_934:                              ;   in Loop: Header=BB4_772 Depth=4
                                        ; implicit-def: $vgpr3
	s_cbranch_execz .LBB4_952
; %bb.935:                              ;   in Loop: Header=BB4_772 Depth=4
	v_mov_b32_e32 v3, 0
	v_mov_b32_e32 v0, 0
	s_and_saveexec_b64 s[30:31], s[28:29]
	s_cbranch_execz .LBB4_943
; %bb.936:                              ;   in Loop: Header=BB4_772 Depth=4
	v_cmp_ne_u32_e32 vcc, s97, v38
	v_bfrev_b32_e32 v0, 1
	s_and_saveexec_b64 s[28:29], vcc
	s_cbranch_execz .LBB4_942
; %bb.937:                              ;   in Loop: Header=BB4_772 Depth=4
	v_and_b32_e32 v0, 0x7c000000, v20
	v_bfe_u32 v7, v20, 24, 2
	v_cmp_ne_u32_e32 vcc, s37, v0
                                        ; implicit-def: $vgpr0
	s_and_saveexec_b64 s[68:69], vcc
	s_xor_b64 s[68:69], exec, s[68:69]
	s_cbranch_execz .LBB4_939
; %bb.938:                              ;   in Loop: Header=BB4_772 Depth=4
	v_ffbh_u32_e32 v27, v7
	v_bfe_u32 v0, v20, 26, 5
	v_min_u32_e32 v27, 32, v27
	v_subrev_u32_e32 v28, 29, v27
	v_sub_u32_e32 v27, 30, v27
	v_cmp_eq_u32_e32 vcc, 0, v0
	v_lshlrev_b64 v[36:37], v28, v[38:39]
	v_cndmask_b32_e32 v0, v0, v27, vcc
	v_bfrev_b32_e32 v27, 28
	v_and_b32_e32 v28, 3, v36
	v_lshl_add_u32 v0, v0, 23, v27
	v_cndmask_b32_e32 v7, v7, v28, vcc
	v_and_or_b32 v0, v20, s96, v0
	v_lshl_or_b32 v0, v7, 21, v0
                                        ; implicit-def: $vgpr7
.LBB4_939:                              ;   in Loop: Header=BB4_772 Depth=4
	s_andn2_saveexec_b64 s[68:69], s[68:69]
; %bb.940:                              ;   in Loop: Header=BB4_772 Depth=4
	v_cmp_lt_i32_e32 vcc, -1, v20
	v_cndmask_b32_e32 v0, v6, v1, vcc
	v_cmp_eq_u32_e32 vcc, 0, v7
	v_mov_b32_e32 v7, 0x7f800001
	v_cndmask_b32_e32 v0, v7, v0, vcc
; %bb.941:                              ;   in Loop: Header=BB4_772 Depth=4
	s_or_b64 exec, exec, s[68:69]
.LBB4_942:                              ;   in Loop: Header=BB4_772 Depth=4
	s_or_b64 exec, exec, s[28:29]
.LBB4_943:                              ;   in Loop: Header=BB4_772 Depth=4
	s_or_b64 exec, exec, s[30:31]
	v_cmp_lt_u32_e32 vcc, s43, v16
	s_and_saveexec_b64 s[28:29], vcc
	s_cbranch_execz .LBB4_951
; %bb.944:                              ;   in Loop: Header=BB4_772 Depth=4
	v_cmp_ne_u32_e32 vcc, s97, v26
	v_bfrev_b32_e32 v3, 1
	s_and_saveexec_b64 s[30:31], vcc
	s_cbranch_execz .LBB4_950
; %bb.945:                              ;   in Loop: Header=BB4_772 Depth=4
	v_and_b32_e32 v3, 0x7c000000, v16
	v_bfe_u32 v7, v16, 24, 2
	v_cmp_ne_u32_e32 vcc, s37, v3
                                        ; implicit-def: $vgpr3
	s_and_saveexec_b64 s[68:69], vcc
	s_xor_b64 s[68:69], exec, s[68:69]
	s_cbranch_execz .LBB4_947
; %bb.946:                              ;   in Loop: Header=BB4_772 Depth=4
	v_ffbh_u32_e32 v27, v7
	v_min_u32_e32 v28, 32, v27
	v_subrev_u32_e32 v27, 29, v28
	v_bfe_u32 v3, v16, 26, 5
	v_lshlrev_b64 v[26:27], v27, v[26:27]
	v_sub_u32_e32 v27, 30, v28
	v_and_b32_e32 v26, 3, v26
	v_cmp_eq_u32_e32 vcc, 0, v3
	v_cndmask_b32_e32 v3, v3, v27, vcc
	v_cndmask_b32_e32 v7, v7, v26, vcc
	v_bfrev_b32_e32 v26, 28
	v_lshl_add_u32 v3, v3, 23, v26
	v_and_or_b32 v3, v16, s96, v3
	v_lshl_or_b32 v3, v7, 21, v3
                                        ; implicit-def: $vgpr7
.LBB4_947:                              ;   in Loop: Header=BB4_772 Depth=4
	s_andn2_saveexec_b64 s[68:69], s[68:69]
; %bb.948:                              ;   in Loop: Header=BB4_772 Depth=4
	v_cmp_lt_i32_e32 vcc, -1, v16
	v_cndmask_b32_e32 v3, v6, v1, vcc
	v_cmp_eq_u32_e32 vcc, 0, v7
	v_mov_b32_e32 v7, 0x7f800001
	v_cndmask_b32_e32 v3, v7, v3, vcc
; %bb.949:                              ;   in Loop: Header=BB4_772 Depth=4
	s_or_b64 exec, exec, s[68:69]
.LBB4_950:                              ;   in Loop: Header=BB4_772 Depth=4
	s_or_b64 exec, exec, s[30:31]
.LBB4_951:                              ;   in Loop: Header=BB4_772 Depth=4
	s_or_b64 exec, exec, s[28:29]
	v_max_f32_e32 v3, v3, v3
	v_max_f32_e32 v0, v0, v0
	v_min_f32_e32 v3, v0, v3
.LBB4_952:                              ;   in Loop: Header=BB4_772 Depth=4
	v_and_b32_sdwa v0, v3, s97 dst_sel:DWORD dst_unused:UNUSED_PAD src0_sel:BYTE_3 src1_sel:DWORD
	v_and_b32_e32 v26, 0x7f800000, v3
	v_mov_b32_e32 v27, v43
	v_and_b32_e32 v42, 0x7fffff, v3
	v_or_b32_e32 v57, 0x7b, v0
	v_cmp_ne_u64_e32 vcc, s[52:53], v[26:27]
	s_and_saveexec_b64 s[28:29], vcc
	s_xor_b64 s[30:31], exec, s[28:29]
	s_cbranch_execz .LBB4_962
; %bb.953:                              ;   in Loop: Header=BB4_772 Depth=4
	v_and_b32_e32 v26, 0x7fffffff, v3
	v_mov_b32_e32 v27, v43
	v_cmp_gt_u64_e32 vcc, s[54:55], v[26:27]
	s_and_saveexec_b64 s[68:69], vcc
	s_cbranch_execz .LBB4_961
; %bb.954:                              ;   in Loop: Header=BB4_772 Depth=4
	v_cmp_ne_u32_e32 vcc, 0, v3
	v_mov_b32_e32 v57, 0
	s_and_saveexec_b64 s[70:71], vcc
	s_cbranch_execz .LBB4_960
; %bb.955:                              ;   in Loop: Header=BB4_772 Depth=4
	v_bfe_u32 v3, v3, 23, 8
	v_sub_u32_e32 v26, 0x71, v3
	v_cmp_gt_u32_e32 vcc, s38, v3
	v_add_u32_e32 v7, 0xffffff81, v3
	v_cndmask_b32_e32 v26, 0, v26, vcc
	v_cmp_eq_u32_e32 vcc, 0, v3
	v_mov_b32_e32 v3, 0xffffff82
	v_cndmask_b32_e32 v3, v7, v3, vcc
	v_mov_b32_e32 v7, 0x70
	v_or_b32_e32 v27, 0x800000, v42
	v_cndmask_b32_e32 v7, v26, v7, vcc
	v_cndmask_b32_e32 v42, v27, v42, vcc
	v_add_u32_e32 v26, 21, v7
	v_lshlrev_b64 v[26:27], v26, -1
	v_add_u32_e32 v28, 20, v7
	v_lshrrev_b64 v[38:39], v7, v[42:43]
	v_not_b32_e32 v27, v27
	v_not_b32_e32 v26, v26
	v_lshlrev_b64 v[36:37], v28, 1
	v_lshrrev_b32_e32 v28, 23, v38
	v_and_b32_e32 v27, 0, v27
	v_and_b32_e32 v26, v42, v26
	v_add3_u32 v28, v7, v3, v28
	v_bfe_u32 v3, v38, 21, 1
	v_add_u32_e32 v3, -1, v3
	v_cmp_eq_u64_e32 vcc, v[26:27], v[36:37]
	v_cndmask_b32_e32 v3, 0, v3, vcc
	v_add_u32_e32 v3, v3, v38
	v_and_b32_e32 v3, 0x1fffff, v3
	v_add_co_u32_e32 v26, vcc, v3, v38
	v_add_u32_e32 v7, 14, v28
	v_addc_co_u32_e32 v27, vcc, 0, v39, vcc
	v_cmp_ne_u32_e32 vcc, 0, v7
                                        ; implicit-def: $vgpr3
	s_and_saveexec_b64 s[28:29], vcc
	s_xor_b64 s[28:29], exec, s[28:29]
; %bb.956:                              ;   in Loop: Header=BB4_772 Depth=4
	v_add_u32_e32 v3, 15, v28
	v_cmp_lt_u64_e32 vcc, s[56:57], v[26:27]
	v_cndmask_b32_e32 v3, v7, v3, vcc
	v_cndmask_b32_e64 v7, 0, 1, vcc
	v_lshrrev_b64 v[26:27], v7, v[26:27]
; %bb.957:                              ;   in Loop: Header=BB4_772 Depth=4
	s_andn2_saveexec_b64 s[28:29], s[28:29]
; %bb.958:                              ;   in Loop: Header=BB4_772 Depth=4
	v_bfe_u32 v3, v26, 23, 1
; %bb.959:                              ;   in Loop: Header=BB4_772 Depth=4
	s_or_b64 exec, exec, s[28:29]
	v_lshrrev_b64 v[26:27], 21, v[26:27]
	v_cmp_gt_i32_e32 vcc, 32, v3
	v_cndmask_b32_e32 v27, 0, v27, vcc
	v_cndmask_b32_e32 v26, 3, v26, vcc
	v_cmp_eq_u32_e32 vcc, 0, v3
	v_min_i32_e32 v3, 31, v3
	v_cmp_eq_u64_e64 s[28:29], 0, v[26:27]
	v_lshlrev_b32_e32 v3, 2, v3
	v_and_or_b32 v3, v26, 3, v3
	s_and_b64 s[28:29], vcc, s[28:29]
	v_cndmask_b32_e64 v3, v3, 0, s[28:29]
	v_or_b32_e32 v57, v3, v0
.LBB4_960:                              ;   in Loop: Header=BB4_772 Depth=4
	s_or_b64 exec, exec, s[70:71]
.LBB4_961:                              ;   in Loop: Header=BB4_772 Depth=4
	s_or_b64 exec, exec, s[68:69]
                                        ; implicit-def: $vgpr3
.LBB4_962:                              ;   in Loop: Header=BB4_772 Depth=4
	s_andn2_saveexec_b64 s[28:29], s[30:31]
; %bb.963:                              ;   in Loop: Header=BB4_772 Depth=4
	v_or_b32_sdwa v0, v3, s39 dst_sel:DWORD dst_unused:UNUSED_PAD src0_sel:BYTE_3 src1_sel:DWORD
	v_cmp_eq_u64_e32 vcc, 0, v[42:43]
	v_cndmask_b32_e32 v57, v0, v57, vcc
; %bb.964:                              ;   in Loop: Header=BB4_772 Depth=4
	s_or_b64 exec, exec, s[28:29]
	v_mov_b32_e32 v42, v21
	v_mov_b32_e32 v26, v17
	;; [unrolled: 1-line block ×3, first 2 shown]
	v_cmp_ne_u16_sdwa s[28:29], v21, v43 src0_sel:BYTE_0 src1_sel:DWORD
	s_and_b64 vcc, exec, s[66:67]
	s_cbranch_vccz .LBB4_982
; %bb.965:                              ;   in Loop: Header=BB4_772 Depth=4
	v_mov_b32_e32 v3, 0
	v_mov_b32_e32 v0, 0
	s_and_saveexec_b64 s[30:31], s[28:29]
	s_cbranch_execz .LBB4_973
; %bb.966:                              ;   in Loop: Header=BB4_772 Depth=4
	v_cmp_ne_u16_sdwa vcc, v21, s97 src0_sel:BYTE_0 src1_sel:DWORD
	v_bfrev_b32_e32 v0, 1
	s_and_saveexec_b64 s[68:69], vcc
	s_cbranch_execz .LBB4_972
; %bb.967:                              ;   in Loop: Header=BB4_772 Depth=4
	v_and_b32_e32 v0, 0x7c, v21
	v_and_b32_e32 v7, 3, v21
	v_cmp_ne_u32_e32 vcc, s95, v0
                                        ; implicit-def: $vgpr0
	s_and_saveexec_b64 s[70:71], vcc
	s_xor_b64 s[70:71], exec, s[70:71]
	s_cbranch_execz .LBB4_969
; %bb.968:                              ;   in Loop: Header=BB4_772 Depth=4
	v_ffbh_u32_e32 v28, v7
	v_min_u32_e32 v28, 32, v28
	v_subrev_u32_e32 v30, 29, v28
	v_bfe_u32 v0, v21, 2, 5
	v_lshlrev_b64 v[36:37], v30, v[42:43]
	v_sub_u32_e32 v28, 30, v28
	v_and_b32_e32 v30, 3, v36
	v_cmp_eq_u32_e32 vcc, 0, v0
	v_cndmask_b32_e32 v0, v0, v28, vcc
	v_cndmask_b32_e32 v7, v7, v30, vcc
	v_bfrev_b32_e32 v30, 28
	v_lshlrev_b32_e32 v28, 24, v21
	v_lshl_add_u32 v0, v0, 23, v30
	v_and_or_b32 v0, v28, s96, v0
	v_lshl_or_b32 v0, v7, 21, v0
                                        ; implicit-def: $vgpr7
.LBB4_969:                              ;   in Loop: Header=BB4_772 Depth=4
	s_andn2_saveexec_b64 s[70:71], s[70:71]
; %bb.970:                              ;   in Loop: Header=BB4_772 Depth=4
	v_mov_b32_e32 v0, -1
	v_cmp_gt_i16_sdwa vcc, sext(v21), v0 src0_sel:BYTE_0 src1_sel:DWORD
	v_cndmask_b32_e32 v0, v6, v1, vcc
	v_cmp_eq_u32_e32 vcc, 0, v7
	v_mov_b32_e32 v7, 0x7f800001
	v_cndmask_b32_e32 v0, v7, v0, vcc
; %bb.971:                              ;   in Loop: Header=BB4_772 Depth=4
	s_or_b64 exec, exec, s[70:71]
.LBB4_972:                              ;   in Loop: Header=BB4_772 Depth=4
	s_or_b64 exec, exec, s[68:69]
.LBB4_973:                              ;   in Loop: Header=BB4_772 Depth=4
	s_or_b64 exec, exec, s[30:31]
	v_cmp_ne_u16_sdwa vcc, v17, v43 src0_sel:BYTE_0 src1_sel:DWORD
	s_and_saveexec_b64 s[30:31], vcc
	s_cbranch_execz .LBB4_981
; %bb.974:                              ;   in Loop: Header=BB4_772 Depth=4
	v_cmp_ne_u16_sdwa vcc, v17, s97 src0_sel:BYTE_0 src1_sel:DWORD
	v_bfrev_b32_e32 v3, 1
	s_and_saveexec_b64 s[68:69], vcc
	s_cbranch_execz .LBB4_980
; %bb.975:                              ;   in Loop: Header=BB4_772 Depth=4
	v_and_b32_e32 v3, 0x7c, v17
	v_and_b32_e32 v7, 3, v17
	v_cmp_ne_u32_e32 vcc, s95, v3
                                        ; implicit-def: $vgpr3
	s_and_saveexec_b64 s[70:71], vcc
	s_xor_b64 s[70:71], exec, s[70:71]
	s_cbranch_execz .LBB4_977
; %bb.976:                              ;   in Loop: Header=BB4_772 Depth=4
	v_ffbh_u32_e32 v28, v7
	v_min_u32_e32 v28, 32, v28
	v_subrev_u32_e32 v30, 29, v28
	v_bfe_u32 v3, v17, 2, 5
	v_lshlrev_b64 v[36:37], v30, v[26:27]
	v_sub_u32_e32 v28, 30, v28
	v_and_b32_e32 v30, 3, v36
	v_cmp_eq_u32_e32 vcc, 0, v3
	v_cndmask_b32_e32 v3, v3, v28, vcc
	v_cndmask_b32_e32 v7, v7, v30, vcc
	v_bfrev_b32_e32 v30, 28
	v_lshlrev_b32_e32 v28, 24, v17
	v_lshl_add_u32 v3, v3, 23, v30
	v_and_or_b32 v3, v28, s96, v3
	v_lshl_or_b32 v3, v7, 21, v3
                                        ; implicit-def: $vgpr7
.LBB4_977:                              ;   in Loop: Header=BB4_772 Depth=4
	s_andn2_saveexec_b64 s[70:71], s[70:71]
; %bb.978:                              ;   in Loop: Header=BB4_772 Depth=4
	v_mov_b32_e32 v3, -1
	v_cmp_gt_i16_sdwa vcc, sext(v17), v3 src0_sel:BYTE_0 src1_sel:DWORD
	v_cndmask_b32_e32 v3, v6, v1, vcc
	v_cmp_eq_u32_e32 vcc, 0, v7
	v_mov_b32_e32 v7, 0x7f800001
	v_cndmask_b32_e32 v3, v7, v3, vcc
; %bb.979:                              ;   in Loop: Header=BB4_772 Depth=4
	s_or_b64 exec, exec, s[70:71]
.LBB4_980:                              ;   in Loop: Header=BB4_772 Depth=4
	s_or_b64 exec, exec, s[68:69]
.LBB4_981:                              ;   in Loop: Header=BB4_772 Depth=4
	s_or_b64 exec, exec, s[30:31]
	v_max_f32_e32 v3, v3, v3
	v_max_f32_e32 v0, v0, v0
	;; [unrolled: 1-line block ×3, first 2 shown]
	s_branch .LBB4_1000
.LBB4_982:                              ;   in Loop: Header=BB4_772 Depth=4
                                        ; implicit-def: $vgpr3
	s_cbranch_execz .LBB4_1000
; %bb.983:                              ;   in Loop: Header=BB4_772 Depth=4
	v_mov_b32_e32 v3, 0
	v_mov_b32_e32 v0, 0
	s_and_saveexec_b64 s[30:31], s[28:29]
	s_cbranch_execz .LBB4_991
; %bb.984:                              ;   in Loop: Header=BB4_772 Depth=4
	v_cmp_ne_u16_sdwa vcc, v21, s97 src0_sel:BYTE_0 src1_sel:DWORD
	v_bfrev_b32_e32 v0, 1
	s_and_saveexec_b64 s[28:29], vcc
	s_cbranch_execz .LBB4_990
; %bb.985:                              ;   in Loop: Header=BB4_772 Depth=4
	v_and_b32_e32 v0, 0x7c, v21
	v_and_b32_e32 v7, 3, v21
	v_cmp_ne_u32_e32 vcc, s95, v0
                                        ; implicit-def: $vgpr0
	s_and_saveexec_b64 s[68:69], vcc
	s_xor_b64 s[68:69], exec, s[68:69]
	s_cbranch_execz .LBB4_987
; %bb.986:                              ;   in Loop: Header=BB4_772 Depth=4
	v_ffbh_u32_e32 v28, v7
	v_min_u32_e32 v28, 32, v28
	v_subrev_u32_e32 v30, 29, v28
	v_bfe_u32 v0, v21, 2, 5
	v_lshlrev_b64 v[36:37], v30, v[42:43]
	v_sub_u32_e32 v28, 30, v28
	v_and_b32_e32 v30, 3, v36
	v_cmp_eq_u32_e32 vcc, 0, v0
	v_cndmask_b32_e32 v0, v0, v28, vcc
	v_cndmask_b32_e32 v7, v7, v30, vcc
	v_bfrev_b32_e32 v30, 28
	v_lshlrev_b32_e32 v28, 24, v21
	v_lshl_add_u32 v0, v0, 23, v30
	v_and_or_b32 v0, v28, s96, v0
	v_lshl_or_b32 v0, v7, 21, v0
                                        ; implicit-def: $vgpr7
.LBB4_987:                              ;   in Loop: Header=BB4_772 Depth=4
	s_andn2_saveexec_b64 s[68:69], s[68:69]
; %bb.988:                              ;   in Loop: Header=BB4_772 Depth=4
	v_mov_b32_e32 v0, -1
	v_cmp_gt_i16_sdwa vcc, sext(v21), v0 src0_sel:BYTE_0 src1_sel:DWORD
	v_cndmask_b32_e32 v0, v6, v1, vcc
	v_cmp_eq_u32_e32 vcc, 0, v7
	v_mov_b32_e32 v7, 0x7f800001
	v_cndmask_b32_e32 v0, v7, v0, vcc
; %bb.989:                              ;   in Loop: Header=BB4_772 Depth=4
	s_or_b64 exec, exec, s[68:69]
.LBB4_990:                              ;   in Loop: Header=BB4_772 Depth=4
	s_or_b64 exec, exec, s[28:29]
.LBB4_991:                              ;   in Loop: Header=BB4_772 Depth=4
	s_or_b64 exec, exec, s[30:31]
	v_cmp_ne_u16_sdwa vcc, v17, v43 src0_sel:BYTE_0 src1_sel:DWORD
	s_and_saveexec_b64 s[28:29], vcc
	s_cbranch_execz .LBB4_999
; %bb.992:                              ;   in Loop: Header=BB4_772 Depth=4
	v_cmp_ne_u16_sdwa vcc, v17, s97 src0_sel:BYTE_0 src1_sel:DWORD
	v_bfrev_b32_e32 v3, 1
	s_and_saveexec_b64 s[30:31], vcc
	s_cbranch_execz .LBB4_998
; %bb.993:                              ;   in Loop: Header=BB4_772 Depth=4
	v_and_b32_e32 v3, 0x7c, v17
	v_and_b32_e32 v7, 3, v17
	v_cmp_ne_u32_e32 vcc, s95, v3
                                        ; implicit-def: $vgpr3
	s_and_saveexec_b64 s[68:69], vcc
	s_xor_b64 s[68:69], exec, s[68:69]
	s_cbranch_execz .LBB4_995
; %bb.994:                              ;   in Loop: Header=BB4_772 Depth=4
	v_ffbh_u32_e32 v28, v7
	v_min_u32_e32 v28, 32, v28
	v_subrev_u32_e32 v30, 29, v28
	v_bfe_u32 v3, v17, 2, 5
	v_lshlrev_b64 v[36:37], v30, v[26:27]
	v_sub_u32_e32 v27, 30, v28
	v_and_b32_e32 v28, 3, v36
	v_cmp_eq_u32_e32 vcc, 0, v3
	v_cndmask_b32_e32 v3, v3, v27, vcc
	v_cndmask_b32_e32 v7, v7, v28, vcc
	v_bfrev_b32_e32 v28, 28
	v_lshlrev_b32_e32 v27, 24, v17
	v_lshl_add_u32 v3, v3, 23, v28
	v_and_or_b32 v3, v27, s96, v3
	v_lshl_or_b32 v3, v7, 21, v3
                                        ; implicit-def: $vgpr7
.LBB4_995:                              ;   in Loop: Header=BB4_772 Depth=4
	s_andn2_saveexec_b64 s[68:69], s[68:69]
; %bb.996:                              ;   in Loop: Header=BB4_772 Depth=4
	v_mov_b32_e32 v3, -1
	v_cmp_gt_i16_sdwa vcc, sext(v17), v3 src0_sel:BYTE_0 src1_sel:DWORD
	v_cndmask_b32_e32 v3, v6, v1, vcc
	v_cmp_eq_u32_e32 vcc, 0, v7
	v_mov_b32_e32 v7, 0x7f800001
	v_cndmask_b32_e32 v3, v7, v3, vcc
; %bb.997:                              ;   in Loop: Header=BB4_772 Depth=4
	s_or_b64 exec, exec, s[68:69]
.LBB4_998:                              ;   in Loop: Header=BB4_772 Depth=4
	s_or_b64 exec, exec, s[30:31]
.LBB4_999:                              ;   in Loop: Header=BB4_772 Depth=4
	s_or_b64 exec, exec, s[28:29]
	v_max_f32_e32 v3, v3, v3
	v_max_f32_e32 v0, v0, v0
	v_min_f32_e32 v3, v0, v3
.LBB4_1000:                             ;   in Loop: Header=BB4_772 Depth=4
	v_and_b32_sdwa v0, v3, s97 dst_sel:DWORD dst_unused:UNUSED_PAD src0_sel:BYTE_3 src1_sel:DWORD
	v_and_b32_e32 v36, 0x7f800000, v3
	v_mov_b32_e32 v37, v43
	v_and_b32_e32 v38, 0x7fffff, v3
	v_mov_b32_e32 v39, v43
	v_or_b32_e32 v58, 0x7b, v0
	v_cmp_ne_u64_e32 vcc, s[52:53], v[36:37]
	s_and_saveexec_b64 s[28:29], vcc
	s_xor_b64 s[30:31], exec, s[28:29]
	s_cbranch_execz .LBB4_1010
; %bb.1001:                             ;   in Loop: Header=BB4_772 Depth=4
	v_and_b32_e32 v36, 0x7fffffff, v3
	v_mov_b32_e32 v37, v43
	v_cmp_gt_u64_e32 vcc, s[54:55], v[36:37]
	s_and_saveexec_b64 s[68:69], vcc
	s_cbranch_execz .LBB4_1009
; %bb.1002:                             ;   in Loop: Header=BB4_772 Depth=4
	v_cmp_ne_u32_e32 vcc, 0, v3
	v_mov_b32_e32 v58, 0
	s_and_saveexec_b64 s[70:71], vcc
	s_cbranch_execz .LBB4_1008
; %bb.1003:                             ;   in Loop: Header=BB4_772 Depth=4
	v_bfe_u32 v3, v3, 23, 8
	v_sub_u32_e32 v27, 0x71, v3
	v_cmp_gt_u32_e32 vcc, s38, v3
	v_add_u32_e32 v7, 0xffffff81, v3
	v_cndmask_b32_e32 v27, 0, v27, vcc
	v_cmp_eq_u32_e32 vcc, 0, v3
	v_mov_b32_e32 v3, 0xffffff82
	v_cndmask_b32_e32 v3, v7, v3, vcc
	v_mov_b32_e32 v7, 0x70
	v_cndmask_b32_e32 v7, v27, v7, vcc
	v_add_u32_e32 v27, 21, v7
	v_or_b32_e32 v28, 0x800000, v38
	v_lshlrev_b64 v[36:37], v27, -1
	v_cndmask_b32_e32 v38, v28, v38, vcc
	v_not_b32_e32 v27, v37
	v_not_b32_e32 v28, v36
	v_and_b32_e32 v37, 0, v27
	v_and_b32_e32 v36, v38, v28
	v_add_u32_e32 v27, 20, v7
	v_lshrrev_b64 v[38:39], v7, v[38:39]
	v_lshlrev_b64 v[50:51], v27, 1
	v_lshrrev_b32_e32 v27, 23, v38
	v_add3_u32 v27, v7, v3, v27
	v_bfe_u32 v3, v38, 21, 1
	v_add_u32_e32 v3, -1, v3
	v_cmp_eq_u64_e32 vcc, v[36:37], v[50:51]
	v_cndmask_b32_e32 v3, 0, v3, vcc
	v_add_u32_e32 v3, v3, v38
	v_and_b32_e32 v3, 0x1fffff, v3
	v_add_co_u32_e32 v38, vcc, v3, v38
	v_add_u32_e32 v7, 14, v27
	v_addc_co_u32_e32 v39, vcc, 0, v39, vcc
	v_cmp_ne_u32_e32 vcc, 0, v7
                                        ; implicit-def: $vgpr3
	s_and_saveexec_b64 s[28:29], vcc
	s_xor_b64 s[28:29], exec, s[28:29]
; %bb.1004:                             ;   in Loop: Header=BB4_772 Depth=4
	v_add_u32_e32 v3, 15, v27
	v_cmp_lt_u64_e32 vcc, s[56:57], v[38:39]
	v_cndmask_b32_e32 v3, v7, v3, vcc
	v_cndmask_b32_e64 v7, 0, 1, vcc
	v_lshrrev_b64 v[38:39], v7, v[38:39]
; %bb.1005:                             ;   in Loop: Header=BB4_772 Depth=4
	s_andn2_saveexec_b64 s[28:29], s[28:29]
; %bb.1006:                             ;   in Loop: Header=BB4_772 Depth=4
	v_bfe_u32 v3, v38, 23, 1
; %bb.1007:                             ;   in Loop: Header=BB4_772 Depth=4
	s_or_b64 exec, exec, s[28:29]
	v_lshrrev_b64 v[36:37], 21, v[38:39]
	v_cmp_gt_i32_e32 vcc, 32, v3
	v_cndmask_b32_e32 v37, 0, v37, vcc
	v_cndmask_b32_e32 v36, 3, v36, vcc
	v_cmp_eq_u32_e32 vcc, 0, v3
	v_min_i32_e32 v3, 31, v3
	v_cmp_eq_u64_e64 s[28:29], 0, v[36:37]
	v_lshlrev_b32_e32 v3, 2, v3
	v_and_or_b32 v3, v36, 3, v3
	s_and_b64 s[28:29], vcc, s[28:29]
	v_cndmask_b32_e64 v3, v3, 0, s[28:29]
	v_or_b32_e32 v58, v3, v0
.LBB4_1008:                             ;   in Loop: Header=BB4_772 Depth=4
	s_or_b64 exec, exec, s[70:71]
.LBB4_1009:                             ;   in Loop: Header=BB4_772 Depth=4
	s_or_b64 exec, exec, s[68:69]
                                        ; implicit-def: $vgpr3
                                        ; implicit-def: $vgpr38_vgpr39
.LBB4_1010:                             ;   in Loop: Header=BB4_772 Depth=4
	s_andn2_saveexec_b64 s[28:29], s[30:31]
; %bb.1011:                             ;   in Loop: Header=BB4_772 Depth=4
	v_or_b32_sdwa v0, v3, s39 dst_sel:DWORD dst_unused:UNUSED_PAD src0_sel:BYTE_3 src1_sel:DWORD
	v_cmp_eq_u64_e32 vcc, 0, v[38:39]
	v_cndmask_b32_e32 v58, v0, v58, vcc
; %bb.1012:                             ;   in Loop: Header=BB4_772 Depth=4
	s_or_b64 exec, exec, s[28:29]
	v_lshrrev_b16_e32 v52, 8, v42
	v_lshrrev_b16_e32 v38, 8, v26
	v_cmp_ne_u16_e64 s[28:29], 0, v52
	s_and_b64 vcc, exec, s[66:67]
	s_cbranch_vccz .LBB4_1030
; %bb.1013:                             ;   in Loop: Header=BB4_772 Depth=4
	v_mov_b32_e32 v3, 0
	v_mov_b32_e32 v0, 0
	s_and_saveexec_b64 s[30:31], s[28:29]
	s_cbranch_execz .LBB4_1021
; %bb.1014:                             ;   in Loop: Header=BB4_772 Depth=4
	v_cmp_ne_u16_e32 vcc, s97, v52
	v_bfrev_b32_e32 v0, 1
	s_and_saveexec_b64 s[68:69], vcc
	s_cbranch_execz .LBB4_1020
; %bb.1015:                             ;   in Loop: Header=BB4_772 Depth=4
	v_and_b32_e32 v0, 0x7c, v52
	v_and_b32_e32 v7, 3, v52
	v_cmp_ne_u32_e32 vcc, s95, v0
                                        ; implicit-def: $vgpr0
	s_and_saveexec_b64 s[70:71], vcc
	s_xor_b64 s[70:71], exec, s[70:71]
	s_cbranch_execz .LBB4_1017
; %bb.1016:                             ;   in Loop: Header=BB4_772 Depth=4
	v_ffbh_u32_e32 v27, v7
	v_min_u32_e32 v27, 32, v27
	v_mov_b32_e32 v53, v43
	v_subrev_u32_e32 v28, 29, v27
	v_bfe_u32 v0, v52, 2, 5
	v_lshlrev_b64 v[36:37], v28, v[52:53]
	v_sub_u32_e32 v27, 30, v27
	v_and_b32_e32 v28, 3, v36
	v_cmp_eq_u32_e32 vcc, 0, v0
	v_cndmask_b32_e32 v0, v0, v27, vcc
	v_cndmask_b32_e32 v7, v7, v28, vcc
	v_bfrev_b32_e32 v28, 28
	v_lshlrev_b32_e32 v27, 16, v42
	v_lshl_add_u32 v0, v0, 23, v28
	v_and_or_b32 v0, v27, s96, v0
	v_lshl_or_b32 v0, v7, 21, v0
                                        ; implicit-def: $vgpr7
.LBB4_1017:                             ;   in Loop: Header=BB4_772 Depth=4
	s_andn2_saveexec_b64 s[70:71], s[70:71]
; %bb.1018:                             ;   in Loop: Header=BB4_772 Depth=4
	v_cmp_lt_i16_e32 vcc, -1, v42
	v_cndmask_b32_e32 v0, v6, v1, vcc
	v_cmp_eq_u32_e32 vcc, 0, v7
	v_mov_b32_e32 v7, 0x7f800001
	v_cndmask_b32_e32 v0, v7, v0, vcc
; %bb.1019:                             ;   in Loop: Header=BB4_772 Depth=4
	s_or_b64 exec, exec, s[70:71]
.LBB4_1020:                             ;   in Loop: Header=BB4_772 Depth=4
	s_or_b64 exec, exec, s[68:69]
.LBB4_1021:                             ;   in Loop: Header=BB4_772 Depth=4
	s_or_b64 exec, exec, s[30:31]
	v_cmp_ne_u16_e32 vcc, 0, v38
	s_and_saveexec_b64 s[30:31], vcc
	s_cbranch_execz .LBB4_1029
; %bb.1022:                             ;   in Loop: Header=BB4_772 Depth=4
	v_cmp_ne_u16_e32 vcc, s97, v38
	v_bfrev_b32_e32 v3, 1
	s_and_saveexec_b64 s[68:69], vcc
	s_cbranch_execz .LBB4_1028
; %bb.1023:                             ;   in Loop: Header=BB4_772 Depth=4
	v_and_b32_e32 v3, 0x7c, v38
	v_and_b32_e32 v7, 3, v38
	v_cmp_ne_u32_e32 vcc, s95, v3
                                        ; implicit-def: $vgpr3
	s_and_saveexec_b64 s[70:71], vcc
	s_xor_b64 s[70:71], exec, s[70:71]
	s_cbranch_execz .LBB4_1025
; %bb.1024:                             ;   in Loop: Header=BB4_772 Depth=4
	v_ffbh_u32_e32 v27, v7
	v_min_u32_e32 v27, 32, v27
	v_mov_b32_e32 v39, v43
	v_subrev_u32_e32 v28, 29, v27
	v_bfe_u32 v3, v38, 2, 5
	v_lshlrev_b64 v[36:37], v28, v[38:39]
	v_sub_u32_e32 v27, 30, v27
	v_and_b32_e32 v28, 3, v36
	v_cmp_eq_u32_e32 vcc, 0, v3
	v_cndmask_b32_e32 v3, v3, v27, vcc
	v_cndmask_b32_e32 v7, v7, v28, vcc
	v_bfrev_b32_e32 v28, 28
	v_lshlrev_b32_e32 v27, 16, v26
	v_lshl_add_u32 v3, v3, 23, v28
	v_and_or_b32 v3, v27, s96, v3
	v_lshl_or_b32 v3, v7, 21, v3
                                        ; implicit-def: $vgpr7
.LBB4_1025:                             ;   in Loop: Header=BB4_772 Depth=4
	s_andn2_saveexec_b64 s[70:71], s[70:71]
; %bb.1026:                             ;   in Loop: Header=BB4_772 Depth=4
	v_cmp_lt_i16_e32 vcc, -1, v26
	v_cndmask_b32_e32 v3, v6, v1, vcc
	v_cmp_eq_u32_e32 vcc, 0, v7
	v_mov_b32_e32 v7, 0x7f800001
	v_cndmask_b32_e32 v3, v7, v3, vcc
; %bb.1027:                             ;   in Loop: Header=BB4_772 Depth=4
	s_or_b64 exec, exec, s[70:71]
.LBB4_1028:                             ;   in Loop: Header=BB4_772 Depth=4
	s_or_b64 exec, exec, s[68:69]
.LBB4_1029:                             ;   in Loop: Header=BB4_772 Depth=4
	s_or_b64 exec, exec, s[30:31]
	v_max_f32_e32 v3, v3, v3
	v_max_f32_e32 v0, v0, v0
	;; [unrolled: 1-line block ×3, first 2 shown]
	s_branch .LBB4_1048
.LBB4_1030:                             ;   in Loop: Header=BB4_772 Depth=4
                                        ; implicit-def: $vgpr3
	s_cbranch_execz .LBB4_1048
; %bb.1031:                             ;   in Loop: Header=BB4_772 Depth=4
	v_mov_b32_e32 v3, 0
	v_mov_b32_e32 v0, 0
	s_and_saveexec_b64 s[30:31], s[28:29]
	s_cbranch_execz .LBB4_1039
; %bb.1032:                             ;   in Loop: Header=BB4_772 Depth=4
	v_cmp_ne_u16_e32 vcc, s97, v52
	v_bfrev_b32_e32 v0, 1
	s_and_saveexec_b64 s[28:29], vcc
	s_cbranch_execz .LBB4_1038
; %bb.1033:                             ;   in Loop: Header=BB4_772 Depth=4
	v_and_b32_e32 v0, 0x7c, v52
	v_and_b32_e32 v7, 3, v52
	v_cmp_ne_u32_e32 vcc, s95, v0
                                        ; implicit-def: $vgpr0
	s_and_saveexec_b64 s[68:69], vcc
	s_xor_b64 s[68:69], exec, s[68:69]
	s_cbranch_execz .LBB4_1035
; %bb.1034:                             ;   in Loop: Header=BB4_772 Depth=4
	v_ffbh_u32_e32 v27, v7
	v_min_u32_e32 v27, 32, v27
	v_mov_b32_e32 v53, v43
	v_subrev_u32_e32 v28, 29, v27
	v_bfe_u32 v0, v52, 2, 5
	v_lshlrev_b64 v[36:37], v28, v[52:53]
	v_sub_u32_e32 v27, 30, v27
	v_and_b32_e32 v28, 3, v36
	v_cmp_eq_u32_e32 vcc, 0, v0
	v_cndmask_b32_e32 v0, v0, v27, vcc
	v_cndmask_b32_e32 v7, v7, v28, vcc
	v_bfrev_b32_e32 v28, 28
	v_lshlrev_b32_e32 v27, 16, v42
	v_lshl_add_u32 v0, v0, 23, v28
	v_and_or_b32 v0, v27, s96, v0
	v_lshl_or_b32 v0, v7, 21, v0
                                        ; implicit-def: $vgpr7
.LBB4_1035:                             ;   in Loop: Header=BB4_772 Depth=4
	s_andn2_saveexec_b64 s[68:69], s[68:69]
; %bb.1036:                             ;   in Loop: Header=BB4_772 Depth=4
	v_cmp_lt_i16_e32 vcc, -1, v42
	v_cndmask_b32_e32 v0, v6, v1, vcc
	v_cmp_eq_u32_e32 vcc, 0, v7
	v_mov_b32_e32 v7, 0x7f800001
	v_cndmask_b32_e32 v0, v7, v0, vcc
; %bb.1037:                             ;   in Loop: Header=BB4_772 Depth=4
	s_or_b64 exec, exec, s[68:69]
.LBB4_1038:                             ;   in Loop: Header=BB4_772 Depth=4
	s_or_b64 exec, exec, s[28:29]
.LBB4_1039:                             ;   in Loop: Header=BB4_772 Depth=4
	s_or_b64 exec, exec, s[30:31]
	v_cmp_ne_u16_e32 vcc, 0, v38
	s_and_saveexec_b64 s[28:29], vcc
	s_cbranch_execz .LBB4_1047
; %bb.1040:                             ;   in Loop: Header=BB4_772 Depth=4
	v_cmp_ne_u16_e32 vcc, s97, v38
	v_bfrev_b32_e32 v3, 1
	s_and_saveexec_b64 s[30:31], vcc
	s_cbranch_execz .LBB4_1046
; %bb.1041:                             ;   in Loop: Header=BB4_772 Depth=4
	v_and_b32_e32 v3, 0x7c, v38
	v_and_b32_e32 v7, 3, v38
	v_cmp_ne_u32_e32 vcc, s95, v3
                                        ; implicit-def: $vgpr3
	s_and_saveexec_b64 s[68:69], vcc
	s_xor_b64 s[68:69], exec, s[68:69]
	s_cbranch_execz .LBB4_1043
; %bb.1042:                             ;   in Loop: Header=BB4_772 Depth=4
	v_ffbh_u32_e32 v27, v7
	v_bfe_u32 v3, v38, 2, 5
	v_min_u32_e32 v27, 32, v27
	v_mov_b32_e32 v39, v43
	v_subrev_u32_e32 v28, 29, v27
	v_sub_u32_e32 v27, 30, v27
	v_cmp_eq_u32_e32 vcc, 0, v3
	v_lshlrev_b64 v[36:37], v28, v[38:39]
	v_cndmask_b32_e32 v3, v3, v27, vcc
	v_bfrev_b32_e32 v27, 28
	v_and_b32_e32 v28, 3, v36
	v_lshlrev_b32_e32 v26, 16, v26
	v_lshl_add_u32 v3, v3, 23, v27
	v_cndmask_b32_e32 v7, v7, v28, vcc
	v_and_or_b32 v3, v26, s96, v3
	v_lshl_or_b32 v3, v7, 21, v3
                                        ; implicit-def: $vgpr7
                                        ; implicit-def: $vgpr26_vgpr27
.LBB4_1043:                             ;   in Loop: Header=BB4_772 Depth=4
	s_andn2_saveexec_b64 s[68:69], s[68:69]
; %bb.1044:                             ;   in Loop: Header=BB4_772 Depth=4
	v_cmp_lt_i16_e32 vcc, -1, v26
	v_cndmask_b32_e32 v3, v6, v1, vcc
	v_cmp_eq_u32_e32 vcc, 0, v7
	v_mov_b32_e32 v7, 0x7f800001
	v_cndmask_b32_e32 v3, v7, v3, vcc
; %bb.1045:                             ;   in Loop: Header=BB4_772 Depth=4
	s_or_b64 exec, exec, s[68:69]
.LBB4_1046:                             ;   in Loop: Header=BB4_772 Depth=4
	s_or_b64 exec, exec, s[30:31]
.LBB4_1047:                             ;   in Loop: Header=BB4_772 Depth=4
	s_or_b64 exec, exec, s[28:29]
	v_max_f32_e32 v3, v3, v3
	v_max_f32_e32 v0, v0, v0
	v_min_f32_e32 v3, v0, v3
.LBB4_1048:                             ;   in Loop: Header=BB4_772 Depth=4
	v_and_b32_sdwa v0, v3, s97 dst_sel:DWORD dst_unused:UNUSED_PAD src0_sel:BYTE_3 src1_sel:DWORD
	v_and_b32_e32 v26, 0x7f800000, v3
	v_mov_b32_e32 v27, v43
	v_and_b32_e32 v42, 0x7fffff, v3
	v_or_b32_e32 v39, 0x7b, v0
	v_cmp_ne_u64_e32 vcc, s[52:53], v[26:27]
	s_and_saveexec_b64 s[28:29], vcc
	s_xor_b64 s[30:31], exec, s[28:29]
	s_cbranch_execz .LBB4_1058
; %bb.1049:                             ;   in Loop: Header=BB4_772 Depth=4
	v_and_b32_e32 v26, 0x7fffffff, v3
	v_mov_b32_e32 v27, v43
	v_cmp_gt_u64_e32 vcc, s[54:55], v[26:27]
	s_and_saveexec_b64 s[68:69], vcc
	s_cbranch_execz .LBB4_1057
; %bb.1050:                             ;   in Loop: Header=BB4_772 Depth=4
	v_cmp_ne_u32_e32 vcc, 0, v3
	v_mov_b32_e32 v39, 0
	s_and_saveexec_b64 s[70:71], vcc
	s_cbranch_execz .LBB4_1056
; %bb.1051:                             ;   in Loop: Header=BB4_772 Depth=4
	v_bfe_u32 v3, v3, 23, 8
	v_sub_u32_e32 v26, 0x71, v3
	v_cmp_gt_u32_e32 vcc, s38, v3
	v_add_u32_e32 v7, 0xffffff81, v3
	v_cndmask_b32_e32 v26, 0, v26, vcc
	v_cmp_eq_u32_e32 vcc, 0, v3
	v_mov_b32_e32 v3, 0xffffff82
	v_cndmask_b32_e32 v3, v7, v3, vcc
	v_mov_b32_e32 v7, 0x70
	v_or_b32_e32 v27, 0x800000, v42
	v_cndmask_b32_e32 v7, v26, v7, vcc
	v_cndmask_b32_e32 v42, v27, v42, vcc
	v_add_u32_e32 v26, 21, v7
	v_lshlrev_b64 v[26:27], v26, -1
	v_add_u32_e32 v28, 20, v7
	v_lshrrev_b64 v[38:39], v7, v[42:43]
	v_not_b32_e32 v27, v27
	v_not_b32_e32 v26, v26
	v_lshlrev_b64 v[36:37], v28, 1
	v_lshrrev_b32_e32 v28, 23, v38
	v_and_b32_e32 v27, 0, v27
	v_and_b32_e32 v26, v42, v26
	v_add3_u32 v28, v7, v3, v28
	v_bfe_u32 v3, v38, 21, 1
	v_add_u32_e32 v3, -1, v3
	v_cmp_eq_u64_e32 vcc, v[26:27], v[36:37]
	v_cndmask_b32_e32 v3, 0, v3, vcc
	v_add_u32_e32 v3, v3, v38
	v_and_b32_e32 v3, 0x1fffff, v3
	v_add_co_u32_e32 v26, vcc, v3, v38
	v_add_u32_e32 v7, 14, v28
	v_addc_co_u32_e32 v27, vcc, 0, v39, vcc
	v_cmp_ne_u32_e32 vcc, 0, v7
                                        ; implicit-def: $vgpr3
	s_and_saveexec_b64 s[28:29], vcc
	s_xor_b64 s[28:29], exec, s[28:29]
; %bb.1052:                             ;   in Loop: Header=BB4_772 Depth=4
	v_add_u32_e32 v3, 15, v28
	v_cmp_lt_u64_e32 vcc, s[56:57], v[26:27]
	v_cndmask_b32_e32 v3, v7, v3, vcc
	v_cndmask_b32_e64 v7, 0, 1, vcc
	v_lshrrev_b64 v[26:27], v7, v[26:27]
; %bb.1053:                             ;   in Loop: Header=BB4_772 Depth=4
	s_andn2_saveexec_b64 s[28:29], s[28:29]
; %bb.1054:                             ;   in Loop: Header=BB4_772 Depth=4
	v_bfe_u32 v3, v26, 23, 1
; %bb.1055:                             ;   in Loop: Header=BB4_772 Depth=4
	s_or_b64 exec, exec, s[28:29]
	v_lshrrev_b64 v[26:27], 21, v[26:27]
	v_cmp_gt_i32_e32 vcc, 32, v3
	v_cndmask_b32_e32 v27, 0, v27, vcc
	v_cndmask_b32_e32 v26, 3, v26, vcc
	v_cmp_eq_u32_e32 vcc, 0, v3
	v_min_i32_e32 v3, 31, v3
	v_cmp_eq_u64_e64 s[28:29], 0, v[26:27]
	v_lshlrev_b32_e32 v3, 2, v3
	v_and_or_b32 v3, v26, 3, v3
	s_and_b64 s[28:29], vcc, s[28:29]
	v_cndmask_b32_e64 v3, v3, 0, s[28:29]
	v_or_b32_e32 v39, v3, v0
.LBB4_1056:                             ;   in Loop: Header=BB4_772 Depth=4
	s_or_b64 exec, exec, s[70:71]
.LBB4_1057:                             ;   in Loop: Header=BB4_772 Depth=4
	s_or_b64 exec, exec, s[68:69]
                                        ; implicit-def: $vgpr3
.LBB4_1058:                             ;   in Loop: Header=BB4_772 Depth=4
	s_andn2_saveexec_b64 s[28:29], s[30:31]
; %bb.1059:                             ;   in Loop: Header=BB4_772 Depth=4
	v_or_b32_sdwa v0, v3, s39 dst_sel:DWORD dst_unused:UNUSED_PAD src0_sel:BYTE_3 src1_sel:DWORD
	v_cmp_eq_u64_e32 vcc, 0, v[42:43]
	v_cndmask_b32_e32 v39, v0, v39, vcc
; %bb.1060:                             ;   in Loop: Header=BB4_772 Depth=4
	s_or_b64 exec, exec, s[28:29]
	v_lshrrev_b32_e32 v38, 16, v21
	v_lshrrev_b32_e32 v26, 16, v17
	v_cmp_ne_u16_sdwa s[28:29], v38, v43 src0_sel:BYTE_0 src1_sel:DWORD
	s_and_b64 vcc, exec, s[66:67]
	s_cbranch_vccz .LBB4_1078
; %bb.1061:                             ;   in Loop: Header=BB4_772 Depth=4
	v_mov_b32_e32 v3, 0
	v_mov_b32_e32 v0, 0
	s_and_saveexec_b64 s[30:31], s[28:29]
	s_cbranch_execz .LBB4_1069
; %bb.1062:                             ;   in Loop: Header=BB4_772 Depth=4
	v_cmp_ne_u16_sdwa vcc, v38, s97 src0_sel:BYTE_0 src1_sel:DWORD
	v_bfrev_b32_e32 v0, 1
	s_and_saveexec_b64 s[68:69], vcc
	s_cbranch_execz .LBB4_1068
; %bb.1063:                             ;   in Loop: Header=BB4_772 Depth=4
	v_and_b32_e32 v0, 0x7c0000, v21
	v_bfe_u32 v7, v21, 16, 2
	v_cmp_ne_u32_e32 vcc, s36, v0
                                        ; implicit-def: $vgpr0
	s_and_saveexec_b64 s[70:71], vcc
	s_xor_b64 s[70:71], exec, s[70:71]
	s_cbranch_execz .LBB4_1065
; %bb.1064:                             ;   in Loop: Header=BB4_772 Depth=4
	v_ffbh_u32_e32 v27, v7
	v_min_u32_e32 v27, 32, v27
	v_subrev_u32_e32 v28, 29, v27
	v_bfe_u32 v0, v21, 18, 5
	v_lshlrev_b64 v[36:37], v28, v[38:39]
	v_sub_u32_e32 v27, 30, v27
	v_and_b32_e32 v28, 3, v36
	v_cmp_eq_u32_e32 vcc, 0, v0
	v_cndmask_b32_e32 v0, v0, v27, vcc
	v_cndmask_b32_e32 v7, v7, v28, vcc
	v_bfrev_b32_e32 v28, 28
	v_lshlrev_b32_e32 v27, 24, v38
	v_lshl_add_u32 v0, v0, 23, v28
	v_and_or_b32 v0, v27, s96, v0
	v_lshl_or_b32 v0, v7, 21, v0
                                        ; implicit-def: $vgpr7
.LBB4_1065:                             ;   in Loop: Header=BB4_772 Depth=4
	s_andn2_saveexec_b64 s[70:71], s[70:71]
; %bb.1066:                             ;   in Loop: Header=BB4_772 Depth=4
	v_mov_b32_e32 v0, -1
	v_cmp_gt_i16_sdwa vcc, sext(v38), v0 src0_sel:BYTE_0 src1_sel:DWORD
	v_cndmask_b32_e32 v0, v6, v1, vcc
	v_cmp_eq_u32_e32 vcc, 0, v7
	v_mov_b32_e32 v7, 0x7f800001
	v_cndmask_b32_e32 v0, v7, v0, vcc
; %bb.1067:                             ;   in Loop: Header=BB4_772 Depth=4
	s_or_b64 exec, exec, s[70:71]
.LBB4_1068:                             ;   in Loop: Header=BB4_772 Depth=4
	s_or_b64 exec, exec, s[68:69]
.LBB4_1069:                             ;   in Loop: Header=BB4_772 Depth=4
	s_or_b64 exec, exec, s[30:31]
	v_cmp_ne_u16_sdwa vcc, v26, v43 src0_sel:BYTE_0 src1_sel:DWORD
	s_and_saveexec_b64 s[30:31], vcc
	s_cbranch_execz .LBB4_1077
; %bb.1070:                             ;   in Loop: Header=BB4_772 Depth=4
	v_cmp_ne_u16_sdwa vcc, v26, s97 src0_sel:BYTE_0 src1_sel:DWORD
	v_bfrev_b32_e32 v3, 1
	s_and_saveexec_b64 s[68:69], vcc
	s_cbranch_execz .LBB4_1076
; %bb.1071:                             ;   in Loop: Header=BB4_772 Depth=4
	v_and_b32_e32 v3, 0x7c0000, v17
	v_bfe_u32 v7, v17, 16, 2
	v_cmp_ne_u32_e32 vcc, s36, v3
                                        ; implicit-def: $vgpr3
	s_and_saveexec_b64 s[70:71], vcc
	s_xor_b64 s[70:71], exec, s[70:71]
	s_cbranch_execz .LBB4_1073
; %bb.1072:                             ;   in Loop: Header=BB4_772 Depth=4
	v_ffbh_u32_e32 v27, v7
	v_min_u32_e32 v27, 32, v27
	v_subrev_u32_e32 v28, 29, v27
	v_bfe_u32 v3, v17, 18, 5
	v_lshlrev_b64 v[36:37], v28, v[26:27]
	v_sub_u32_e32 v27, 30, v27
	v_and_b32_e32 v28, 3, v36
	v_cmp_eq_u32_e32 vcc, 0, v3
	v_cndmask_b32_e32 v3, v3, v27, vcc
	v_cndmask_b32_e32 v7, v7, v28, vcc
	v_bfrev_b32_e32 v28, 28
	v_lshlrev_b32_e32 v27, 24, v26
	v_lshl_add_u32 v3, v3, 23, v28
	v_and_or_b32 v3, v27, s96, v3
	v_lshl_or_b32 v3, v7, 21, v3
                                        ; implicit-def: $vgpr7
.LBB4_1073:                             ;   in Loop: Header=BB4_772 Depth=4
	s_andn2_saveexec_b64 s[70:71], s[70:71]
; %bb.1074:                             ;   in Loop: Header=BB4_772 Depth=4
	v_mov_b32_e32 v3, -1
	v_cmp_gt_i16_sdwa vcc, sext(v26), v3 src0_sel:BYTE_0 src1_sel:DWORD
	v_cndmask_b32_e32 v3, v6, v1, vcc
	v_cmp_eq_u32_e32 vcc, 0, v7
	v_mov_b32_e32 v7, 0x7f800001
	v_cndmask_b32_e32 v3, v7, v3, vcc
; %bb.1075:                             ;   in Loop: Header=BB4_772 Depth=4
	s_or_b64 exec, exec, s[70:71]
.LBB4_1076:                             ;   in Loop: Header=BB4_772 Depth=4
	s_or_b64 exec, exec, s[68:69]
.LBB4_1077:                             ;   in Loop: Header=BB4_772 Depth=4
	s_or_b64 exec, exec, s[30:31]
	v_max_f32_e32 v3, v3, v3
	v_max_f32_e32 v0, v0, v0
	;; [unrolled: 1-line block ×3, first 2 shown]
	s_branch .LBB4_1096
.LBB4_1078:                             ;   in Loop: Header=BB4_772 Depth=4
                                        ; implicit-def: $vgpr3
	s_cbranch_execz .LBB4_1096
; %bb.1079:                             ;   in Loop: Header=BB4_772 Depth=4
	v_mov_b32_e32 v3, 0
	v_mov_b32_e32 v0, 0
	s_and_saveexec_b64 s[30:31], s[28:29]
	s_cbranch_execz .LBB4_1087
; %bb.1080:                             ;   in Loop: Header=BB4_772 Depth=4
	v_cmp_ne_u16_sdwa vcc, v38, s97 src0_sel:BYTE_0 src1_sel:DWORD
	v_bfrev_b32_e32 v0, 1
	s_and_saveexec_b64 s[28:29], vcc
	s_cbranch_execz .LBB4_1086
; %bb.1081:                             ;   in Loop: Header=BB4_772 Depth=4
	v_and_b32_e32 v0, 0x7c0000, v21
	v_bfe_u32 v7, v21, 16, 2
	v_cmp_ne_u32_e32 vcc, s36, v0
                                        ; implicit-def: $vgpr0
	s_and_saveexec_b64 s[68:69], vcc
	s_xor_b64 s[68:69], exec, s[68:69]
	s_cbranch_execz .LBB4_1083
; %bb.1082:                             ;   in Loop: Header=BB4_772 Depth=4
	v_ffbh_u32_e32 v27, v7
	v_min_u32_e32 v27, 32, v27
	v_subrev_u32_e32 v28, 29, v27
	v_bfe_u32 v0, v21, 18, 5
	v_lshlrev_b64 v[36:37], v28, v[38:39]
	v_sub_u32_e32 v27, 30, v27
	v_and_b32_e32 v28, 3, v36
	v_cmp_eq_u32_e32 vcc, 0, v0
	v_cndmask_b32_e32 v0, v0, v27, vcc
	v_cndmask_b32_e32 v7, v7, v28, vcc
	v_bfrev_b32_e32 v28, 28
	v_lshlrev_b32_e32 v27, 24, v38
	v_lshl_add_u32 v0, v0, 23, v28
	v_and_or_b32 v0, v27, s96, v0
	v_lshl_or_b32 v0, v7, 21, v0
                                        ; implicit-def: $vgpr7
                                        ; implicit-def: $vgpr38
.LBB4_1083:                             ;   in Loop: Header=BB4_772 Depth=4
	s_andn2_saveexec_b64 s[68:69], s[68:69]
; %bb.1084:                             ;   in Loop: Header=BB4_772 Depth=4
	v_mov_b32_e32 v0, -1
	v_cmp_gt_i16_sdwa vcc, sext(v38), v0 src0_sel:BYTE_0 src1_sel:DWORD
	v_cndmask_b32_e32 v0, v6, v1, vcc
	v_cmp_eq_u32_e32 vcc, 0, v7
	v_mov_b32_e32 v7, 0x7f800001
	v_cndmask_b32_e32 v0, v7, v0, vcc
; %bb.1085:                             ;   in Loop: Header=BB4_772 Depth=4
	s_or_b64 exec, exec, s[68:69]
.LBB4_1086:                             ;   in Loop: Header=BB4_772 Depth=4
	s_or_b64 exec, exec, s[28:29]
.LBB4_1087:                             ;   in Loop: Header=BB4_772 Depth=4
	s_or_b64 exec, exec, s[30:31]
	v_cmp_ne_u16_sdwa vcc, v26, v43 src0_sel:BYTE_0 src1_sel:DWORD
	s_and_saveexec_b64 s[28:29], vcc
	s_cbranch_execz .LBB4_1095
; %bb.1088:                             ;   in Loop: Header=BB4_772 Depth=4
	v_cmp_ne_u16_sdwa vcc, v26, s97 src0_sel:BYTE_0 src1_sel:DWORD
	v_bfrev_b32_e32 v3, 1
	s_and_saveexec_b64 s[30:31], vcc
	s_cbranch_execz .LBB4_1094
; %bb.1089:                             ;   in Loop: Header=BB4_772 Depth=4
	v_and_b32_e32 v3, 0x7c0000, v17
	v_bfe_u32 v7, v17, 16, 2
	v_cmp_ne_u32_e32 vcc, s36, v3
                                        ; implicit-def: $vgpr3
	s_and_saveexec_b64 s[68:69], vcc
	s_xor_b64 s[68:69], exec, s[68:69]
	s_cbranch_execz .LBB4_1091
; %bb.1090:                             ;   in Loop: Header=BB4_772 Depth=4
	v_ffbh_u32_e32 v27, v7
	v_min_u32_e32 v27, 32, v27
	v_bfe_u32 v3, v17, 18, 5
	v_subrev_u32_e32 v28, 29, v27
	v_lshlrev_b64 v[36:37], v28, v[26:27]
	v_sub_u32_e32 v27, 30, v27
	v_cmp_eq_u32_e32 vcc, 0, v3
	v_cndmask_b32_e32 v3, v3, v27, vcc
	v_bfrev_b32_e32 v27, 28
	v_and_b32_e32 v28, 3, v36
	v_lshlrev_b32_e32 v26, 24, v26
	v_lshl_add_u32 v3, v3, 23, v27
	v_cndmask_b32_e32 v7, v7, v28, vcc
	v_and_or_b32 v3, v26, s96, v3
	v_lshl_or_b32 v3, v7, 21, v3
                                        ; implicit-def: $vgpr7
                                        ; implicit-def: $vgpr26
.LBB4_1091:                             ;   in Loop: Header=BB4_772 Depth=4
	s_andn2_saveexec_b64 s[68:69], s[68:69]
; %bb.1092:                             ;   in Loop: Header=BB4_772 Depth=4
	v_mov_b32_e32 v3, -1
	v_cmp_gt_i16_sdwa vcc, sext(v26), v3 src0_sel:BYTE_0 src1_sel:DWORD
	v_cndmask_b32_e32 v3, v6, v1, vcc
	v_cmp_eq_u32_e32 vcc, 0, v7
	v_mov_b32_e32 v7, 0x7f800001
	v_cndmask_b32_e32 v3, v7, v3, vcc
; %bb.1093:                             ;   in Loop: Header=BB4_772 Depth=4
	s_or_b64 exec, exec, s[68:69]
.LBB4_1094:                             ;   in Loop: Header=BB4_772 Depth=4
	s_or_b64 exec, exec, s[30:31]
.LBB4_1095:                             ;   in Loop: Header=BB4_772 Depth=4
	s_or_b64 exec, exec, s[28:29]
	v_max_f32_e32 v3, v3, v3
	v_max_f32_e32 v0, v0, v0
	v_min_f32_e32 v3, v0, v3
.LBB4_1096:                             ;   in Loop: Header=BB4_772 Depth=4
	v_and_b32_sdwa v0, v3, s97 dst_sel:DWORD dst_unused:UNUSED_PAD src0_sel:BYTE_3 src1_sel:DWORD
	v_and_b32_e32 v26, 0x7f800000, v3
	v_mov_b32_e32 v27, v43
	v_and_b32_e32 v42, 0x7fffff, v3
	v_or_b32_e32 v52, 0x7b, v0
	v_cmp_ne_u64_e32 vcc, s[52:53], v[26:27]
	s_and_saveexec_b64 s[28:29], vcc
	s_xor_b64 s[30:31], exec, s[28:29]
	s_cbranch_execz .LBB4_1106
; %bb.1097:                             ;   in Loop: Header=BB4_772 Depth=4
	v_and_b32_e32 v26, 0x7fffffff, v3
	v_mov_b32_e32 v27, v43
	v_cmp_gt_u64_e32 vcc, s[54:55], v[26:27]
	s_and_saveexec_b64 s[68:69], vcc
	s_cbranch_execz .LBB4_1105
; %bb.1098:                             ;   in Loop: Header=BB4_772 Depth=4
	v_cmp_ne_u32_e32 vcc, 0, v3
	v_mov_b32_e32 v52, 0
	s_and_saveexec_b64 s[70:71], vcc
	s_cbranch_execz .LBB4_1104
; %bb.1099:                             ;   in Loop: Header=BB4_772 Depth=4
	v_bfe_u32 v3, v3, 23, 8
	v_sub_u32_e32 v26, 0x71, v3
	v_cmp_gt_u32_e32 vcc, s38, v3
	v_add_u32_e32 v7, 0xffffff81, v3
	v_cndmask_b32_e32 v26, 0, v26, vcc
	v_cmp_eq_u32_e32 vcc, 0, v3
	v_mov_b32_e32 v3, 0xffffff82
	v_cndmask_b32_e32 v3, v7, v3, vcc
	v_mov_b32_e32 v7, 0x70
	v_or_b32_e32 v27, 0x800000, v42
	v_cndmask_b32_e32 v7, v26, v7, vcc
	v_cndmask_b32_e32 v42, v27, v42, vcc
	v_add_u32_e32 v26, 21, v7
	v_lshlrev_b64 v[26:27], v26, -1
	v_add_u32_e32 v28, 20, v7
	v_lshrrev_b64 v[50:51], v7, v[42:43]
	v_not_b32_e32 v27, v27
	v_not_b32_e32 v26, v26
	v_lshlrev_b64 v[36:37], v28, 1
	v_lshrrev_b32_e32 v28, 23, v50
	v_and_b32_e32 v27, 0, v27
	v_and_b32_e32 v26, v42, v26
	v_add3_u32 v28, v7, v3, v28
	v_bfe_u32 v3, v50, 21, 1
	v_add_u32_e32 v3, -1, v3
	v_cmp_eq_u64_e32 vcc, v[26:27], v[36:37]
	v_cndmask_b32_e32 v3, 0, v3, vcc
	v_add_u32_e32 v3, v3, v50
	v_and_b32_e32 v3, 0x1fffff, v3
	v_add_co_u32_e32 v26, vcc, v3, v50
	v_add_u32_e32 v7, 14, v28
	v_addc_co_u32_e32 v27, vcc, 0, v51, vcc
	v_cmp_ne_u32_e32 vcc, 0, v7
                                        ; implicit-def: $vgpr3
	s_and_saveexec_b64 s[28:29], vcc
	s_xor_b64 s[28:29], exec, s[28:29]
; %bb.1100:                             ;   in Loop: Header=BB4_772 Depth=4
	v_add_u32_e32 v3, 15, v28
	v_cmp_lt_u64_e32 vcc, s[56:57], v[26:27]
	v_cndmask_b32_e32 v3, v7, v3, vcc
	v_cndmask_b32_e64 v7, 0, 1, vcc
	v_lshrrev_b64 v[26:27], v7, v[26:27]
; %bb.1101:                             ;   in Loop: Header=BB4_772 Depth=4
	s_andn2_saveexec_b64 s[28:29], s[28:29]
; %bb.1102:                             ;   in Loop: Header=BB4_772 Depth=4
	v_bfe_u32 v3, v26, 23, 1
; %bb.1103:                             ;   in Loop: Header=BB4_772 Depth=4
	s_or_b64 exec, exec, s[28:29]
	v_lshrrev_b64 v[26:27], 21, v[26:27]
	v_cmp_gt_i32_e32 vcc, 32, v3
	v_cndmask_b32_e32 v27, 0, v27, vcc
	v_cndmask_b32_e32 v26, 3, v26, vcc
	v_cmp_eq_u32_e32 vcc, 0, v3
	v_min_i32_e32 v3, 31, v3
	v_cmp_eq_u64_e64 s[28:29], 0, v[26:27]
	v_lshlrev_b32_e32 v3, 2, v3
	v_and_or_b32 v3, v26, 3, v3
	s_and_b64 s[28:29], vcc, s[28:29]
	v_cndmask_b32_e64 v3, v3, 0, s[28:29]
	v_or_b32_e32 v52, v3, v0
.LBB4_1104:                             ;   in Loop: Header=BB4_772 Depth=4
	s_or_b64 exec, exec, s[70:71]
.LBB4_1105:                             ;   in Loop: Header=BB4_772 Depth=4
	s_or_b64 exec, exec, s[68:69]
                                        ; implicit-def: $vgpr3
.LBB4_1106:                             ;   in Loop: Header=BB4_772 Depth=4
	s_andn2_saveexec_b64 s[28:29], s[30:31]
; %bb.1107:                             ;   in Loop: Header=BB4_772 Depth=4
	v_or_b32_sdwa v0, v3, s39 dst_sel:DWORD dst_unused:UNUSED_PAD src0_sel:BYTE_3 src1_sel:DWORD
	v_cmp_eq_u64_e32 vcc, 0, v[42:43]
	v_cndmask_b32_e32 v52, v0, v52, vcc
; %bb.1108:                             ;   in Loop: Header=BB4_772 Depth=4
	s_or_b64 exec, exec, s[28:29]
	v_lshrrev_b32_e32 v38, 24, v21
	v_lshrrev_b32_e32 v26, 24, v17
	v_cmp_lt_u64_e64 s[28:29], s[42:43], v[20:21]
	s_and_b64 vcc, exec, s[66:67]
	s_cbranch_vccz .LBB4_1126
; %bb.1109:                             ;   in Loop: Header=BB4_772 Depth=4
	v_mov_b32_e32 v3, 0
	v_mov_b32_e32 v0, 0
	s_and_saveexec_b64 s[30:31], s[28:29]
	s_cbranch_execz .LBB4_1117
; %bb.1110:                             ;   in Loop: Header=BB4_772 Depth=4
	v_cmp_ne_u32_e32 vcc, s97, v38
	v_bfrev_b32_e32 v0, 1
	s_and_saveexec_b64 s[68:69], vcc
	s_cbranch_execz .LBB4_1116
; %bb.1111:                             ;   in Loop: Header=BB4_772 Depth=4
	v_and_b32_e32 v0, 0x7c000000, v21
	v_bfe_u32 v7, v21, 24, 2
	v_cmp_ne_u32_e32 vcc, s37, v0
                                        ; implicit-def: $vgpr0
	s_and_saveexec_b64 s[70:71], vcc
	s_xor_b64 s[70:71], exec, s[70:71]
	s_cbranch_execz .LBB4_1113
; %bb.1112:                             ;   in Loop: Header=BB4_772 Depth=4
	v_ffbh_u32_e32 v27, v7
	v_bfe_u32 v0, v21, 26, 5
	v_min_u32_e32 v27, 32, v27
	v_subrev_u32_e32 v28, 29, v27
	v_sub_u32_e32 v27, 30, v27
	v_cmp_eq_u32_e32 vcc, 0, v0
	v_lshlrev_b64 v[36:37], v28, v[38:39]
	v_cndmask_b32_e32 v0, v0, v27, vcc
	v_bfrev_b32_e32 v27, 28
	v_and_b32_e32 v28, 3, v36
	v_lshl_add_u32 v0, v0, 23, v27
	v_cndmask_b32_e32 v7, v7, v28, vcc
	v_and_or_b32 v0, v21, s96, v0
	v_lshl_or_b32 v0, v7, 21, v0
                                        ; implicit-def: $vgpr7
.LBB4_1113:                             ;   in Loop: Header=BB4_772 Depth=4
	s_andn2_saveexec_b64 s[70:71], s[70:71]
; %bb.1114:                             ;   in Loop: Header=BB4_772 Depth=4
	v_cmp_lt_i64_e32 vcc, -1, v[20:21]
	v_cndmask_b32_e32 v0, v6, v1, vcc
	v_cmp_eq_u32_e32 vcc, 0, v7
	v_mov_b32_e32 v7, 0x7f800001
	v_cndmask_b32_e32 v0, v7, v0, vcc
; %bb.1115:                             ;   in Loop: Header=BB4_772 Depth=4
	s_or_b64 exec, exec, s[70:71]
.LBB4_1116:                             ;   in Loop: Header=BB4_772 Depth=4
	s_or_b64 exec, exec, s[68:69]
.LBB4_1117:                             ;   in Loop: Header=BB4_772 Depth=4
	s_or_b64 exec, exec, s[30:31]
	v_cmp_lt_u64_e32 vcc, s[42:43], v[16:17]
	s_and_saveexec_b64 s[30:31], vcc
	s_cbranch_execz .LBB4_1125
; %bb.1118:                             ;   in Loop: Header=BB4_772 Depth=4
	v_cmp_ne_u32_e32 vcc, s97, v26
	v_bfrev_b32_e32 v3, 1
	s_and_saveexec_b64 s[68:69], vcc
	s_cbranch_execz .LBB4_1124
; %bb.1119:                             ;   in Loop: Header=BB4_772 Depth=4
	v_and_b32_e32 v3, 0x7c000000, v17
	v_bfe_u32 v7, v17, 24, 2
	v_cmp_ne_u32_e32 vcc, s37, v3
                                        ; implicit-def: $vgpr3
	s_and_saveexec_b64 s[70:71], vcc
	s_xor_b64 s[70:71], exec, s[70:71]
	s_cbranch_execz .LBB4_1121
; %bb.1120:                             ;   in Loop: Header=BB4_772 Depth=4
	v_ffbh_u32_e32 v27, v7
	v_min_u32_e32 v27, 32, v27
	v_bfe_u32 v3, v17, 26, 5
	v_subrev_u32_e32 v28, 29, v27
	v_lshlrev_b64 v[36:37], v28, v[26:27]
	v_sub_u32_e32 v27, 30, v27
	v_cmp_eq_u32_e32 vcc, 0, v3
	v_cndmask_b32_e32 v3, v3, v27, vcc
	v_bfrev_b32_e32 v27, 28
	v_and_b32_e32 v28, 3, v36
	v_lshl_add_u32 v3, v3, 23, v27
	v_cndmask_b32_e32 v7, v7, v28, vcc
	v_and_or_b32 v3, v17, s96, v3
	v_lshl_or_b32 v3, v7, 21, v3
                                        ; implicit-def: $vgpr7
.LBB4_1121:                             ;   in Loop: Header=BB4_772 Depth=4
	s_andn2_saveexec_b64 s[70:71], s[70:71]
; %bb.1122:                             ;   in Loop: Header=BB4_772 Depth=4
	v_cmp_lt_i64_e32 vcc, -1, v[16:17]
	v_cndmask_b32_e32 v3, v6, v1, vcc
	v_cmp_eq_u32_e32 vcc, 0, v7
	v_mov_b32_e32 v7, 0x7f800001
	v_cndmask_b32_e32 v3, v7, v3, vcc
; %bb.1123:                             ;   in Loop: Header=BB4_772 Depth=4
	s_or_b64 exec, exec, s[70:71]
.LBB4_1124:                             ;   in Loop: Header=BB4_772 Depth=4
	s_or_b64 exec, exec, s[68:69]
.LBB4_1125:                             ;   in Loop: Header=BB4_772 Depth=4
	s_or_b64 exec, exec, s[30:31]
	v_max_f32_e32 v3, v3, v3
	v_max_f32_e32 v0, v0, v0
	;; [unrolled: 1-line block ×3, first 2 shown]
	s_branch .LBB4_1144
.LBB4_1126:                             ;   in Loop: Header=BB4_772 Depth=4
                                        ; implicit-def: $vgpr3
	s_cbranch_execz .LBB4_1144
; %bb.1127:                             ;   in Loop: Header=BB4_772 Depth=4
	v_mov_b32_e32 v3, 0
	v_mov_b32_e32 v0, 0
	s_and_saveexec_b64 s[30:31], s[28:29]
	s_cbranch_execz .LBB4_1135
; %bb.1128:                             ;   in Loop: Header=BB4_772 Depth=4
	v_cmp_ne_u32_e32 vcc, s97, v38
	v_bfrev_b32_e32 v0, 1
	s_and_saveexec_b64 s[28:29], vcc
	s_cbranch_execz .LBB4_1134
; %bb.1129:                             ;   in Loop: Header=BB4_772 Depth=4
	v_and_b32_e32 v0, 0x7c000000, v21
	v_bfe_u32 v7, v21, 24, 2
	v_cmp_ne_u32_e32 vcc, s37, v0
                                        ; implicit-def: $vgpr0
	s_and_saveexec_b64 s[68:69], vcc
	s_xor_b64 s[68:69], exec, s[68:69]
	s_cbranch_execz .LBB4_1131
; %bb.1130:                             ;   in Loop: Header=BB4_772 Depth=4
	v_ffbh_u32_e32 v20, v7
	v_bfe_u32 v0, v21, 26, 5
	v_min_u32_e32 v20, 32, v20
	v_subrev_u32_e32 v27, 29, v20
	v_sub_u32_e32 v20, 30, v20
	v_cmp_eq_u32_e32 vcc, 0, v0
	v_lshlrev_b64 v[36:37], v27, v[38:39]
	v_cndmask_b32_e32 v0, v0, v20, vcc
	v_bfrev_b32_e32 v20, 28
	v_and_b32_e32 v27, 3, v36
	v_lshl_add_u32 v0, v0, 23, v20
	v_cndmask_b32_e32 v7, v7, v27, vcc
	v_and_or_b32 v0, v21, s96, v0
	v_lshl_or_b32 v0, v7, 21, v0
                                        ; implicit-def: $vgpr7
.LBB4_1131:                             ;   in Loop: Header=BB4_772 Depth=4
	s_andn2_saveexec_b64 s[68:69], s[68:69]
; %bb.1132:                             ;   in Loop: Header=BB4_772 Depth=4
	v_cmp_lt_i64_e32 vcc, -1, v[20:21]
	v_cndmask_b32_e32 v0, v6, v1, vcc
	v_cmp_eq_u32_e32 vcc, 0, v7
	v_mov_b32_e32 v7, 0x7f800001
	v_cndmask_b32_e32 v0, v7, v0, vcc
; %bb.1133:                             ;   in Loop: Header=BB4_772 Depth=4
	s_or_b64 exec, exec, s[68:69]
.LBB4_1134:                             ;   in Loop: Header=BB4_772 Depth=4
	s_or_b64 exec, exec, s[28:29]
.LBB4_1135:                             ;   in Loop: Header=BB4_772 Depth=4
	s_or_b64 exec, exec, s[30:31]
	v_cmp_lt_u64_e32 vcc, s[42:43], v[16:17]
	s_and_saveexec_b64 s[28:29], vcc
	s_cbranch_execz .LBB4_1143
; %bb.1136:                             ;   in Loop: Header=BB4_772 Depth=4
	v_cmp_ne_u32_e32 vcc, s97, v26
	v_bfrev_b32_e32 v3, 1
	s_and_saveexec_b64 s[30:31], vcc
	s_cbranch_execz .LBB4_1142
; %bb.1137:                             ;   in Loop: Header=BB4_772 Depth=4
	v_and_b32_e32 v3, 0x7c000000, v17
	v_bfe_u32 v7, v17, 24, 2
	v_cmp_ne_u32_e32 vcc, s37, v3
                                        ; implicit-def: $vgpr3
	s_and_saveexec_b64 s[68:69], vcc
	s_xor_b64 s[68:69], exec, s[68:69]
	s_cbranch_execz .LBB4_1139
; %bb.1138:                             ;   in Loop: Header=BB4_772 Depth=4
	v_ffbh_u32_e32 v16, v7
	v_bfe_u32 v3, v17, 26, 5
	v_min_u32_e32 v16, 32, v16
	v_subrev_u32_e32 v20, 29, v16
	v_sub_u32_e32 v16, 30, v16
	v_cmp_eq_u32_e32 vcc, 0, v3
	v_lshlrev_b64 v[20:21], v20, v[26:27]
	v_cndmask_b32_e32 v3, v3, v16, vcc
	v_bfrev_b32_e32 v16, 28
	v_and_b32_e32 v20, 3, v20
	v_lshl_add_u32 v3, v3, 23, v16
	v_cndmask_b32_e32 v7, v7, v20, vcc
	v_and_or_b32 v3, v17, s96, v3
	v_lshl_or_b32 v3, v7, 21, v3
                                        ; implicit-def: $vgpr7
.LBB4_1139:                             ;   in Loop: Header=BB4_772 Depth=4
	s_andn2_saveexec_b64 s[68:69], s[68:69]
; %bb.1140:                             ;   in Loop: Header=BB4_772 Depth=4
	v_cmp_lt_i64_e32 vcc, -1, v[16:17]
	v_cndmask_b32_e32 v3, v6, v1, vcc
	v_cmp_eq_u32_e32 vcc, 0, v7
	v_mov_b32_e32 v7, 0x7f800001
	v_cndmask_b32_e32 v3, v7, v3, vcc
; %bb.1141:                             ;   in Loop: Header=BB4_772 Depth=4
	s_or_b64 exec, exec, s[68:69]
.LBB4_1142:                             ;   in Loop: Header=BB4_772 Depth=4
	s_or_b64 exec, exec, s[30:31]
.LBB4_1143:                             ;   in Loop: Header=BB4_772 Depth=4
	s_or_b64 exec, exec, s[28:29]
	v_max_f32_e32 v3, v3, v3
	v_max_f32_e32 v0, v0, v0
	v_min_f32_e32 v3, v0, v3
.LBB4_1144:                             ;   in Loop: Header=BB4_772 Depth=4
	v_and_b32_sdwa v0, v3, s97 dst_sel:DWORD dst_unused:UNUSED_PAD src0_sel:BYTE_3 src1_sel:DWORD
	v_and_b32_e32 v16, 0x7f800000, v3
	v_mov_b32_e32 v17, v43
	v_and_b32_e32 v42, 0x7fffff, v3
	v_or_b32_e32 v38, 0x7b, v0
	v_cmp_ne_u64_e32 vcc, s[52:53], v[16:17]
	s_and_saveexec_b64 s[28:29], vcc
	s_xor_b64 s[30:31], exec, s[28:29]
	s_cbranch_execz .LBB4_1172
; %bb.1145:                             ;   in Loop: Header=BB4_772 Depth=4
	v_and_b32_e32 v16, 0x7fffffff, v3
	v_mov_b32_e32 v17, v43
	v_cmp_gt_u64_e32 vcc, s[54:55], v[16:17]
	s_and_saveexec_b64 s[68:69], vcc
	s_cbranch_execz .LBB4_1153
; %bb.1146:                             ;   in Loop: Header=BB4_772 Depth=4
	v_cmp_ne_u32_e32 vcc, 0, v3
	v_mov_b32_e32 v38, 0
	s_and_saveexec_b64 s[70:71], vcc
	s_cbranch_execz .LBB4_1152
; %bb.1147:                             ;   in Loop: Header=BB4_772 Depth=4
	v_bfe_u32 v3, v3, 23, 8
	v_sub_u32_e32 v16, 0x71, v3
	v_cmp_gt_u32_e32 vcc, s38, v3
	v_add_u32_e32 v7, 0xffffff81, v3
	v_cndmask_b32_e32 v16, 0, v16, vcc
	v_cmp_eq_u32_e32 vcc, 0, v3
	v_mov_b32_e32 v3, 0xffffff82
	v_cndmask_b32_e32 v3, v7, v3, vcc
	v_mov_b32_e32 v7, 0x70
	v_or_b32_e32 v17, 0x800000, v42
	v_cndmask_b32_e32 v7, v16, v7, vcc
	v_cndmask_b32_e32 v42, v17, v42, vcc
	v_add_u32_e32 v16, 21, v7
	v_lshlrev_b64 v[16:17], v16, -1
	v_add_u32_e32 v20, 20, v7
	v_lshrrev_b64 v[36:37], v7, v[42:43]
	v_not_b32_e32 v17, v17
	v_not_b32_e32 v16, v16
	v_lshlrev_b64 v[26:27], v20, 1
	v_lshrrev_b32_e32 v20, 23, v36
	v_and_b32_e32 v17, 0, v17
	v_and_b32_e32 v16, v42, v16
	v_add3_u32 v20, v7, v3, v20
	v_bfe_u32 v3, v36, 21, 1
	v_add_u32_e32 v3, -1, v3
	v_cmp_eq_u64_e32 vcc, v[16:17], v[26:27]
	v_cndmask_b32_e32 v3, 0, v3, vcc
	v_add_u32_e32 v3, v3, v36
	v_and_b32_e32 v3, 0x1fffff, v3
	v_add_co_u32_e32 v16, vcc, v3, v36
	v_add_u32_e32 v7, 14, v20
	v_addc_co_u32_e32 v17, vcc, 0, v37, vcc
	v_cmp_ne_u32_e32 vcc, 0, v7
                                        ; implicit-def: $vgpr3
	s_and_saveexec_b64 s[28:29], vcc
	s_xor_b64 s[28:29], exec, s[28:29]
; %bb.1148:                             ;   in Loop: Header=BB4_772 Depth=4
	v_add_u32_e32 v3, 15, v20
	v_cmp_lt_u64_e32 vcc, s[56:57], v[16:17]
	v_cndmask_b32_e32 v3, v7, v3, vcc
	v_cndmask_b32_e64 v7, 0, 1, vcc
	v_lshrrev_b64 v[16:17], v7, v[16:17]
; %bb.1149:                             ;   in Loop: Header=BB4_772 Depth=4
	s_andn2_saveexec_b64 s[28:29], s[28:29]
; %bb.1150:                             ;   in Loop: Header=BB4_772 Depth=4
	v_bfe_u32 v3, v16, 23, 1
; %bb.1151:                             ;   in Loop: Header=BB4_772 Depth=4
	s_or_b64 exec, exec, s[28:29]
	v_lshrrev_b64 v[16:17], 21, v[16:17]
	v_cmp_gt_i32_e32 vcc, 32, v3
	v_cndmask_b32_e32 v17, 0, v17, vcc
	v_cndmask_b32_e32 v16, 3, v16, vcc
	v_cmp_eq_u32_e32 vcc, 0, v3
	v_min_i32_e32 v3, 31, v3
	v_lshlrev_b32_e32 v3, 2, v3
	v_cmp_eq_u64_e64 s[28:29], 0, v[16:17]
	v_and_b32_e32 v3, 0xfc, v3
	v_and_or_b32 v3, v16, 3, v3
	s_and_b64 s[28:29], vcc, s[28:29]
	v_cndmask_b32_e64 v3, v3, 0, s[28:29]
	v_or_b32_e32 v38, v3, v0
.LBB4_1152:                             ;   in Loop: Header=BB4_772 Depth=4
	s_or_b64 exec, exec, s[70:71]
.LBB4_1153:                             ;   in Loop: Header=BB4_772 Depth=4
	s_or_b64 exec, exec, s[68:69]
                                        ; implicit-def: $vgpr3
	s_andn2_saveexec_b64 s[28:29], s[30:31]
	s_cbranch_execnz .LBB4_1173
.LBB4_1154:                             ;   in Loop: Header=BB4_772 Depth=4
	s_or_b64 exec, exec, s[28:29]
	v_cmp_ne_u16_sdwa s[28:29], v22, v43 src0_sel:BYTE_0 src1_sel:DWORD
	s_and_b64 vcc, exec, s[66:67]
	s_cbranch_vccz .LBB4_1174
.LBB4_1155:                             ;   in Loop: Header=BB4_772 Depth=4
	v_mov_b32_e32 v3, 0
	v_mov_b32_e32 v0, 0
	s_and_saveexec_b64 s[30:31], s[28:29]
	s_cbranch_execz .LBB4_1163
; %bb.1156:                             ;   in Loop: Header=BB4_772 Depth=4
	v_cmp_ne_u16_sdwa vcc, sext(v22), s94 src0_sel:BYTE_0 src1_sel:DWORD
	v_bfrev_b32_e32 v0, 1
	s_and_saveexec_b64 s[68:69], vcc
	s_cbranch_execz .LBB4_1162
; %bb.1157:                             ;   in Loop: Header=BB4_772 Depth=4
	v_and_b32_e32 v0, 0x7c, v22
	v_and_b32_e32 v7, 3, v22
	v_cmp_ne_u32_e32 vcc, s95, v0
                                        ; implicit-def: $vgpr0
	s_and_saveexec_b64 s[70:71], vcc
	s_xor_b64 s[70:71], exec, s[70:71]
	s_cbranch_execz .LBB4_1159
; %bb.1158:                             ;   in Loop: Header=BB4_772 Depth=4
	v_ffbh_u32_e32 v16, v7
	v_min_u32_e32 v20, 32, v16
	v_subrev_u32_e32 v16, 29, v20
	v_bfe_u32 v0, v22, 2, 5
	v_lshlrev_b64 v[16:17], v16, v[22:23]
	v_sub_u32_e32 v17, 30, v20
	v_cmp_eq_u32_e32 vcc, 0, v0
	v_and_b32_e32 v16, 3, v16
	v_cndmask_b32_e32 v0, v0, v17, vcc
	v_bfrev_b32_e32 v17, 28
	v_cndmask_b32_e32 v7, v7, v16, vcc
	v_lshlrev_b32_e32 v16, 24, v22
	v_lshl_add_u32 v0, v0, 23, v17
	v_and_or_b32 v0, v16, s96, v0
	v_lshl_or_b32 v0, v7, 21, v0
                                        ; implicit-def: $vgpr7
.LBB4_1159:                             ;   in Loop: Header=BB4_772 Depth=4
	s_andn2_saveexec_b64 s[70:71], s[70:71]
; %bb.1160:                             ;   in Loop: Header=BB4_772 Depth=4
	v_mov_b32_e32 v0, -1
	v_cmp_gt_i16_sdwa vcc, sext(v22), v0 src0_sel:BYTE_0 src1_sel:DWORD
	v_cndmask_b32_e32 v0, v6, v1, vcc
	v_cmp_eq_u32_e32 vcc, 0, v7
	v_mov_b32_e32 v7, 0x7f800001
	v_cndmask_b32_e32 v0, v7, v0, vcc
; %bb.1161:                             ;   in Loop: Header=BB4_772 Depth=4
	s_or_b64 exec, exec, s[70:71]
.LBB4_1162:                             ;   in Loop: Header=BB4_772 Depth=4
	s_or_b64 exec, exec, s[68:69]
.LBB4_1163:                             ;   in Loop: Header=BB4_772 Depth=4
	s_or_b64 exec, exec, s[30:31]
	v_cmp_ne_u16_sdwa vcc, sext(v18), v43 src0_sel:BYTE_0 src1_sel:DWORD
	s_and_saveexec_b64 s[30:31], vcc
	s_cbranch_execz .LBB4_1171
; %bb.1164:                             ;   in Loop: Header=BB4_772 Depth=4
	v_cmp_ne_u16_sdwa vcc, sext(v18), s94 src0_sel:BYTE_0 src1_sel:DWORD
	v_bfrev_b32_e32 v3, 1
	s_and_saveexec_b64 s[68:69], vcc
	s_cbranch_execz .LBB4_1170
; %bb.1165:                             ;   in Loop: Header=BB4_772 Depth=4
	v_and_b32_e32 v3, 0x7c, v18
	v_and_b32_e32 v7, 3, v18
	v_cmp_ne_u32_e32 vcc, s95, v3
                                        ; implicit-def: $vgpr3
	s_and_saveexec_b64 s[70:71], vcc
	s_xor_b64 s[70:71], exec, s[70:71]
	s_cbranch_execz .LBB4_1167
; %bb.1166:                             ;   in Loop: Header=BB4_772 Depth=4
	v_ffbh_u32_e32 v16, v7
	v_min_u32_e32 v20, 32, v16
	v_subrev_u32_e32 v16, 29, v20
	v_bfe_u32 v3, v18, 2, 5
	v_lshlrev_b64 v[16:17], v16, v[18:19]
	v_sub_u32_e32 v17, 30, v20
	v_cmp_eq_u32_e32 vcc, 0, v3
	v_and_b32_e32 v16, 3, v16
	v_cndmask_b32_e32 v3, v3, v17, vcc
	v_bfrev_b32_e32 v17, 28
	v_cndmask_b32_e32 v7, v7, v16, vcc
	v_lshlrev_b32_e32 v16, 24, v18
	v_lshl_add_u32 v3, v3, 23, v17
	v_and_or_b32 v3, v16, s96, v3
	v_lshl_or_b32 v3, v7, 21, v3
                                        ; implicit-def: $vgpr7
.LBB4_1167:                             ;   in Loop: Header=BB4_772 Depth=4
	s_andn2_saveexec_b64 s[70:71], s[70:71]
; %bb.1168:                             ;   in Loop: Header=BB4_772 Depth=4
	v_mov_b32_e32 v3, -1
	v_cmp_gt_i16_sdwa vcc, sext(v18), v3 src0_sel:BYTE_0 src1_sel:DWORD
	v_cndmask_b32_e32 v3, v6, v1, vcc
	v_cmp_eq_u32_e32 vcc, 0, v7
	v_mov_b32_e32 v7, 0x7f800001
	v_cndmask_b32_e32 v3, v7, v3, vcc
; %bb.1169:                             ;   in Loop: Header=BB4_772 Depth=4
	s_or_b64 exec, exec, s[70:71]
.LBB4_1170:                             ;   in Loop: Header=BB4_772 Depth=4
	s_or_b64 exec, exec, s[68:69]
.LBB4_1171:                             ;   in Loop: Header=BB4_772 Depth=4
	s_or_b64 exec, exec, s[30:31]
	v_max_f32_e32 v3, v3, v3
	v_max_f32_e32 v0, v0, v0
	;; [unrolled: 1-line block ×3, first 2 shown]
	s_branch .LBB4_1192
.LBB4_1172:                             ;   in Loop: Header=BB4_772 Depth=4
	s_andn2_saveexec_b64 s[28:29], s[30:31]
	s_cbranch_execz .LBB4_1154
.LBB4_1173:                             ;   in Loop: Header=BB4_772 Depth=4
	v_or_b32_sdwa v0, v3, s39 dst_sel:DWORD dst_unused:UNUSED_PAD src0_sel:BYTE_3 src1_sel:DWORD
	v_cmp_eq_u64_e32 vcc, 0, v[42:43]
	v_cndmask_b32_e32 v38, v0, v38, vcc
	s_or_b64 exec, exec, s[28:29]
	v_cmp_ne_u16_sdwa s[28:29], v22, v43 src0_sel:BYTE_0 src1_sel:DWORD
	s_and_b64 vcc, exec, s[66:67]
	s_cbranch_vccnz .LBB4_1155
.LBB4_1174:                             ;   in Loop: Header=BB4_772 Depth=4
                                        ; implicit-def: $vgpr3
	s_cbranch_execz .LBB4_1192
; %bb.1175:                             ;   in Loop: Header=BB4_772 Depth=4
	v_mov_b32_e32 v3, 0
	v_mov_b32_e32 v0, 0
	s_and_saveexec_b64 s[30:31], s[28:29]
	s_cbranch_execz .LBB4_1183
; %bb.1176:                             ;   in Loop: Header=BB4_772 Depth=4
	v_cmp_ne_u16_sdwa vcc, sext(v22), s94 src0_sel:BYTE_0 src1_sel:DWORD
	v_bfrev_b32_e32 v0, 1
	s_and_saveexec_b64 s[28:29], vcc
	s_cbranch_execz .LBB4_1182
; %bb.1177:                             ;   in Loop: Header=BB4_772 Depth=4
	v_and_b32_e32 v0, 0x7c, v22
	v_and_b32_e32 v7, 3, v22
	v_cmp_ne_u32_e32 vcc, s95, v0
                                        ; implicit-def: $vgpr0
	s_and_saveexec_b64 s[68:69], vcc
	s_xor_b64 s[68:69], exec, s[68:69]
	s_cbranch_execz .LBB4_1179
; %bb.1178:                             ;   in Loop: Header=BB4_772 Depth=4
	v_ffbh_u32_e32 v16, v7
	v_min_u32_e32 v20, 32, v16
	v_subrev_u32_e32 v16, 29, v20
	v_bfe_u32 v0, v22, 2, 5
	v_lshlrev_b64 v[16:17], v16, v[22:23]
	v_sub_u32_e32 v17, 30, v20
	v_cmp_eq_u32_e32 vcc, 0, v0
	v_and_b32_e32 v16, 3, v16
	v_cndmask_b32_e32 v0, v0, v17, vcc
	v_bfrev_b32_e32 v17, 28
	v_cndmask_b32_e32 v7, v7, v16, vcc
	v_lshlrev_b32_e32 v16, 24, v22
	v_lshl_add_u32 v0, v0, 23, v17
	v_and_or_b32 v0, v16, s96, v0
	v_lshl_or_b32 v0, v7, 21, v0
                                        ; implicit-def: $vgpr7
.LBB4_1179:                             ;   in Loop: Header=BB4_772 Depth=4
	s_andn2_saveexec_b64 s[68:69], s[68:69]
; %bb.1180:                             ;   in Loop: Header=BB4_772 Depth=4
	v_mov_b32_e32 v0, -1
	v_cmp_gt_i16_sdwa vcc, sext(v22), v0 src0_sel:BYTE_0 src1_sel:DWORD
	v_cndmask_b32_e32 v0, v6, v1, vcc
	v_cmp_eq_u32_e32 vcc, 0, v7
	v_mov_b32_e32 v7, 0x7f800001
	v_cndmask_b32_e32 v0, v7, v0, vcc
; %bb.1181:                             ;   in Loop: Header=BB4_772 Depth=4
	s_or_b64 exec, exec, s[68:69]
.LBB4_1182:                             ;   in Loop: Header=BB4_772 Depth=4
	s_or_b64 exec, exec, s[28:29]
.LBB4_1183:                             ;   in Loop: Header=BB4_772 Depth=4
	s_or_b64 exec, exec, s[30:31]
	v_cmp_ne_u16_sdwa vcc, sext(v18), v43 src0_sel:BYTE_0 src1_sel:DWORD
	s_and_saveexec_b64 s[28:29], vcc
	s_cbranch_execz .LBB4_1191
; %bb.1184:                             ;   in Loop: Header=BB4_772 Depth=4
	v_cmp_ne_u16_sdwa vcc, sext(v18), s94 src0_sel:BYTE_0 src1_sel:DWORD
	v_bfrev_b32_e32 v3, 1
	s_and_saveexec_b64 s[30:31], vcc
	s_cbranch_execz .LBB4_1190
; %bb.1185:                             ;   in Loop: Header=BB4_772 Depth=4
	v_and_b32_e32 v3, 0x7c, v18
	v_and_b32_e32 v7, 3, v18
	v_cmp_ne_u32_e32 vcc, s95, v3
                                        ; implicit-def: $vgpr3
	s_and_saveexec_b64 s[68:69], vcc
	s_xor_b64 s[68:69], exec, s[68:69]
	s_cbranch_execz .LBB4_1187
; %bb.1186:                             ;   in Loop: Header=BB4_772 Depth=4
	v_ffbh_u32_e32 v16, v7
	v_min_u32_e32 v20, 32, v16
	v_subrev_u32_e32 v16, 29, v20
	v_bfe_u32 v3, v18, 2, 5
	v_lshlrev_b64 v[16:17], v16, v[18:19]
	v_sub_u32_e32 v17, 30, v20
	v_cmp_eq_u32_e32 vcc, 0, v3
	v_and_b32_e32 v16, 3, v16
	v_cndmask_b32_e32 v3, v3, v17, vcc
	v_bfrev_b32_e32 v17, 28
	v_cndmask_b32_e32 v7, v7, v16, vcc
	v_lshlrev_b32_e32 v16, 24, v18
	v_lshl_add_u32 v3, v3, 23, v17
	v_and_or_b32 v3, v16, s96, v3
	v_lshl_or_b32 v3, v7, 21, v3
                                        ; implicit-def: $vgpr7
.LBB4_1187:                             ;   in Loop: Header=BB4_772 Depth=4
	s_andn2_saveexec_b64 s[68:69], s[68:69]
; %bb.1188:                             ;   in Loop: Header=BB4_772 Depth=4
	v_mov_b32_e32 v3, -1
	v_cmp_gt_i16_sdwa vcc, sext(v18), v3 src0_sel:BYTE_0 src1_sel:DWORD
	v_cndmask_b32_e32 v3, v6, v1, vcc
	v_cmp_eq_u32_e32 vcc, 0, v7
	v_mov_b32_e32 v7, 0x7f800001
	v_cndmask_b32_e32 v3, v7, v3, vcc
; %bb.1189:                             ;   in Loop: Header=BB4_772 Depth=4
	s_or_b64 exec, exec, s[68:69]
.LBB4_1190:                             ;   in Loop: Header=BB4_772 Depth=4
	s_or_b64 exec, exec, s[30:31]
.LBB4_1191:                             ;   in Loop: Header=BB4_772 Depth=4
	s_or_b64 exec, exec, s[28:29]
	v_max_f32_e32 v3, v3, v3
	v_max_f32_e32 v0, v0, v0
	v_min_f32_e32 v3, v0, v3
.LBB4_1192:                             ;   in Loop: Header=BB4_772 Depth=4
	v_and_b32_sdwa v0, v3, s97 dst_sel:DWORD dst_unused:UNUSED_PAD src0_sel:BYTE_3 src1_sel:DWORD
	v_and_b32_e32 v16, 0x7f800000, v3
	v_mov_b32_e32 v17, v43
	v_and_b32_e32 v42, 0x7fffff, v3
	v_or_b32_e32 v53, 0x7b, v0
	v_cmp_ne_u64_e32 vcc, s[52:53], v[16:17]
	s_and_saveexec_b64 s[28:29], vcc
	s_xor_b64 s[30:31], exec, s[28:29]
	s_cbranch_execz .LBB4_1202
; %bb.1193:                             ;   in Loop: Header=BB4_772 Depth=4
	v_and_b32_e32 v16, 0x7fffffff, v3
	v_mov_b32_e32 v17, v43
	v_cmp_gt_u64_e32 vcc, s[54:55], v[16:17]
	s_and_saveexec_b64 s[68:69], vcc
	s_cbranch_execz .LBB4_1201
; %bb.1194:                             ;   in Loop: Header=BB4_772 Depth=4
	v_cmp_ne_u32_e32 vcc, 0, v3
	v_mov_b32_e32 v53, 0
	s_and_saveexec_b64 s[70:71], vcc
	s_cbranch_execz .LBB4_1200
; %bb.1195:                             ;   in Loop: Header=BB4_772 Depth=4
	v_bfe_u32 v3, v3, 23, 8
	v_sub_u32_e32 v16, 0x71, v3
	v_cmp_gt_u32_e32 vcc, s38, v3
	v_add_u32_e32 v7, 0xffffff81, v3
	v_cndmask_b32_e32 v16, 0, v16, vcc
	v_cmp_eq_u32_e32 vcc, 0, v3
	v_mov_b32_e32 v3, 0xffffff82
	v_cndmask_b32_e32 v3, v7, v3, vcc
	v_mov_b32_e32 v7, 0x70
	v_or_b32_e32 v17, 0x800000, v42
	v_cndmask_b32_e32 v7, v16, v7, vcc
	v_cndmask_b32_e32 v42, v17, v42, vcc
	v_add_u32_e32 v16, 21, v7
	v_lshlrev_b64 v[16:17], v16, -1
	v_add_u32_e32 v20, 20, v7
	v_lshrrev_b64 v[36:37], v7, v[42:43]
	v_not_b32_e32 v17, v17
	v_not_b32_e32 v16, v16
	v_lshlrev_b64 v[26:27], v20, 1
	v_lshrrev_b32_e32 v20, 23, v36
	v_and_b32_e32 v17, 0, v17
	v_and_b32_e32 v16, v42, v16
	v_add3_u32 v20, v7, v3, v20
	v_bfe_u32 v3, v36, 21, 1
	v_add_u32_e32 v3, -1, v3
	v_cmp_eq_u64_e32 vcc, v[16:17], v[26:27]
	v_cndmask_b32_e32 v3, 0, v3, vcc
	v_add_u32_e32 v3, v3, v36
	v_and_b32_e32 v3, 0x1fffff, v3
	v_add_co_u32_e32 v16, vcc, v3, v36
	v_add_u32_e32 v7, 14, v20
	v_addc_co_u32_e32 v17, vcc, 0, v37, vcc
	v_cmp_ne_u32_e32 vcc, 0, v7
                                        ; implicit-def: $vgpr3
	s_and_saveexec_b64 s[28:29], vcc
	s_xor_b64 s[28:29], exec, s[28:29]
; %bb.1196:                             ;   in Loop: Header=BB4_772 Depth=4
	v_add_u32_e32 v3, 15, v20
	v_cmp_lt_u64_e32 vcc, s[56:57], v[16:17]
	v_cndmask_b32_e32 v3, v7, v3, vcc
	v_cndmask_b32_e64 v7, 0, 1, vcc
	v_lshrrev_b64 v[16:17], v7, v[16:17]
; %bb.1197:                             ;   in Loop: Header=BB4_772 Depth=4
	s_andn2_saveexec_b64 s[28:29], s[28:29]
; %bb.1198:                             ;   in Loop: Header=BB4_772 Depth=4
	v_bfe_u32 v3, v16, 23, 1
; %bb.1199:                             ;   in Loop: Header=BB4_772 Depth=4
	s_or_b64 exec, exec, s[28:29]
	v_lshrrev_b64 v[16:17], 21, v[16:17]
	v_cmp_gt_i32_e32 vcc, 32, v3
	v_cndmask_b32_e32 v17, 0, v17, vcc
	v_cndmask_b32_e32 v16, 3, v16, vcc
	v_cmp_eq_u32_e32 vcc, 0, v3
	v_min_i32_e32 v3, 31, v3
	v_cmp_eq_u64_e64 s[28:29], 0, v[16:17]
	v_lshlrev_b32_e32 v3, 2, v3
	v_and_or_b32 v3, v16, 3, v3
	s_and_b64 s[28:29], vcc, s[28:29]
	v_cndmask_b32_e64 v3, v3, 0, s[28:29]
	v_or_b32_e32 v53, v3, v0
.LBB4_1200:                             ;   in Loop: Header=BB4_772 Depth=4
	s_or_b64 exec, exec, s[70:71]
.LBB4_1201:                             ;   in Loop: Header=BB4_772 Depth=4
	s_or_b64 exec, exec, s[68:69]
                                        ; implicit-def: $vgpr3
.LBB4_1202:                             ;   in Loop: Header=BB4_772 Depth=4
	s_andn2_saveexec_b64 s[28:29], s[30:31]
; %bb.1203:                             ;   in Loop: Header=BB4_772 Depth=4
	v_or_b32_sdwa v0, v3, s39 dst_sel:DWORD dst_unused:UNUSED_PAD src0_sel:BYTE_3 src1_sel:DWORD
	v_cmp_eq_u64_e32 vcc, 0, v[42:43]
	v_cndmask_b32_e32 v53, v0, v53, vcc
; %bb.1204:                             ;   in Loop: Header=BB4_772 Depth=4
	s_or_b64 exec, exec, s[28:29]
	v_lshrrev_b16_e32 v42, 8, v22
	v_lshrrev_b16_e32 v16, 8, v18
	v_cmp_ne_u16_e64 s[28:29], 0, v42
	s_and_b64 vcc, exec, s[66:67]
	s_cbranch_vccz .LBB4_1222
; %bb.1205:                             ;   in Loop: Header=BB4_772 Depth=4
	v_mov_b32_e32 v3, 0
	v_mov_b32_e32 v0, 0
	s_and_saveexec_b64 s[30:31], s[28:29]
	s_cbranch_execz .LBB4_1213
; %bb.1206:                             ;   in Loop: Header=BB4_772 Depth=4
	v_cmp_ne_u16_e32 vcc, s97, v42
	v_bfrev_b32_e32 v0, 1
	s_and_saveexec_b64 s[68:69], vcc
	s_cbranch_execz .LBB4_1212
; %bb.1207:                             ;   in Loop: Header=BB4_772 Depth=4
	v_and_b32_e32 v0, 0x7c, v42
	v_and_b32_e32 v7, 3, v42
	v_cmp_ne_u32_e32 vcc, s95, v0
                                        ; implicit-def: $vgpr0
	s_and_saveexec_b64 s[70:71], vcc
	s_xor_b64 s[70:71], exec, s[70:71]
	s_cbranch_execz .LBB4_1209
; %bb.1208:                             ;   in Loop: Header=BB4_772 Depth=4
	v_ffbh_u32_e32 v17, v7
	v_min_u32_e32 v17, 32, v17
	v_subrev_u32_e32 v20, 29, v17
	v_bfe_u32 v0, v42, 2, 5
	v_lshlrev_b64 v[20:21], v20, v[42:43]
	v_sub_u32_e32 v17, 30, v17
	v_and_b32_e32 v20, 3, v20
	v_cmp_eq_u32_e32 vcc, 0, v0
	v_cndmask_b32_e32 v0, v0, v17, vcc
	v_cndmask_b32_e32 v7, v7, v20, vcc
	v_bfrev_b32_e32 v20, 28
	v_lshlrev_b32_e32 v17, 16, v22
	v_lshl_add_u32 v0, v0, 23, v20
	v_and_or_b32 v0, v17, s96, v0
	v_lshl_or_b32 v0, v7, 21, v0
                                        ; implicit-def: $vgpr7
.LBB4_1209:                             ;   in Loop: Header=BB4_772 Depth=4
	s_andn2_saveexec_b64 s[70:71], s[70:71]
; %bb.1210:                             ;   in Loop: Header=BB4_772 Depth=4
	v_cmp_lt_i16_e32 vcc, -1, v22
	v_cndmask_b32_e32 v0, v6, v1, vcc
	v_cmp_eq_u32_e32 vcc, 0, v7
	v_mov_b32_e32 v7, 0x7f800001
	v_cndmask_b32_e32 v0, v7, v0, vcc
; %bb.1211:                             ;   in Loop: Header=BB4_772 Depth=4
	s_or_b64 exec, exec, s[70:71]
.LBB4_1212:                             ;   in Loop: Header=BB4_772 Depth=4
	s_or_b64 exec, exec, s[68:69]
.LBB4_1213:                             ;   in Loop: Header=BB4_772 Depth=4
	s_or_b64 exec, exec, s[30:31]
	v_cmp_ne_u16_e32 vcc, 0, v16
	s_and_saveexec_b64 s[30:31], vcc
	s_cbranch_execz .LBB4_1221
; %bb.1214:                             ;   in Loop: Header=BB4_772 Depth=4
	v_cmp_ne_u16_e32 vcc, s97, v16
	v_bfrev_b32_e32 v3, 1
	s_and_saveexec_b64 s[68:69], vcc
	s_cbranch_execz .LBB4_1220
; %bb.1215:                             ;   in Loop: Header=BB4_772 Depth=4
	v_and_b32_e32 v3, 0x7c, v16
	v_and_b32_e32 v7, 3, v16
	v_cmp_ne_u32_e32 vcc, s95, v3
                                        ; implicit-def: $vgpr3
	s_and_saveexec_b64 s[70:71], vcc
	s_xor_b64 s[70:71], exec, s[70:71]
	s_cbranch_execz .LBB4_1217
; %bb.1216:                             ;   in Loop: Header=BB4_772 Depth=4
	v_ffbh_u32_e32 v20, v7
	v_min_u32_e32 v26, 32, v20
	v_mov_b32_e32 v17, v43
	v_subrev_u32_e32 v20, 29, v26
	v_bfe_u32 v3, v16, 2, 5
	v_lshlrev_b64 v[20:21], v20, v[16:17]
	v_sub_u32_e32 v17, 30, v26
	v_and_b32_e32 v20, 3, v20
	v_cmp_eq_u32_e32 vcc, 0, v3
	v_cndmask_b32_e32 v3, v3, v17, vcc
	v_cndmask_b32_e32 v7, v7, v20, vcc
	v_bfrev_b32_e32 v20, 28
	v_lshlrev_b32_e32 v17, 16, v18
	v_lshl_add_u32 v3, v3, 23, v20
	v_and_or_b32 v3, v17, s96, v3
	v_lshl_or_b32 v3, v7, 21, v3
                                        ; implicit-def: $vgpr7
.LBB4_1217:                             ;   in Loop: Header=BB4_772 Depth=4
	s_andn2_saveexec_b64 s[70:71], s[70:71]
; %bb.1218:                             ;   in Loop: Header=BB4_772 Depth=4
	v_cmp_lt_i16_e32 vcc, -1, v18
	v_cndmask_b32_e32 v3, v6, v1, vcc
	v_cmp_eq_u32_e32 vcc, 0, v7
	v_mov_b32_e32 v7, 0x7f800001
	v_cndmask_b32_e32 v3, v7, v3, vcc
; %bb.1219:                             ;   in Loop: Header=BB4_772 Depth=4
	s_or_b64 exec, exec, s[70:71]
.LBB4_1220:                             ;   in Loop: Header=BB4_772 Depth=4
	s_or_b64 exec, exec, s[68:69]
.LBB4_1221:                             ;   in Loop: Header=BB4_772 Depth=4
	s_or_b64 exec, exec, s[30:31]
	v_max_f32_e32 v3, v3, v3
	v_max_f32_e32 v0, v0, v0
	;; [unrolled: 1-line block ×3, first 2 shown]
	s_branch .LBB4_1240
.LBB4_1222:                             ;   in Loop: Header=BB4_772 Depth=4
                                        ; implicit-def: $vgpr3
	s_cbranch_execz .LBB4_1240
; %bb.1223:                             ;   in Loop: Header=BB4_772 Depth=4
	v_mov_b32_e32 v3, 0
	v_mov_b32_e32 v0, 0
	s_and_saveexec_b64 s[30:31], s[28:29]
	s_cbranch_execz .LBB4_1231
; %bb.1224:                             ;   in Loop: Header=BB4_772 Depth=4
	v_cmp_ne_u16_e32 vcc, s97, v42
	v_bfrev_b32_e32 v0, 1
	s_and_saveexec_b64 s[28:29], vcc
	s_cbranch_execz .LBB4_1230
; %bb.1225:                             ;   in Loop: Header=BB4_772 Depth=4
	v_and_b32_e32 v0, 0x7c, v42
	v_and_b32_e32 v7, 3, v42
	v_cmp_ne_u32_e32 vcc, s95, v0
                                        ; implicit-def: $vgpr0
	s_and_saveexec_b64 s[68:69], vcc
	s_xor_b64 s[68:69], exec, s[68:69]
	s_cbranch_execz .LBB4_1227
; %bb.1226:                             ;   in Loop: Header=BB4_772 Depth=4
	v_ffbh_u32_e32 v17, v7
	v_min_u32_e32 v17, 32, v17
	v_subrev_u32_e32 v20, 29, v17
	v_bfe_u32 v0, v42, 2, 5
	v_lshlrev_b64 v[20:21], v20, v[42:43]
	v_sub_u32_e32 v17, 30, v17
	v_and_b32_e32 v20, 3, v20
	v_cmp_eq_u32_e32 vcc, 0, v0
	v_cndmask_b32_e32 v0, v0, v17, vcc
	v_cndmask_b32_e32 v7, v7, v20, vcc
	v_bfrev_b32_e32 v20, 28
	v_lshlrev_b32_e32 v17, 16, v22
	v_lshl_add_u32 v0, v0, 23, v20
	v_and_or_b32 v0, v17, s96, v0
	v_lshl_or_b32 v0, v7, 21, v0
                                        ; implicit-def: $vgpr7
.LBB4_1227:                             ;   in Loop: Header=BB4_772 Depth=4
	s_andn2_saveexec_b64 s[68:69], s[68:69]
; %bb.1228:                             ;   in Loop: Header=BB4_772 Depth=4
	v_cmp_lt_i16_e32 vcc, -1, v22
	v_cndmask_b32_e32 v0, v6, v1, vcc
	v_cmp_eq_u32_e32 vcc, 0, v7
	v_mov_b32_e32 v7, 0x7f800001
	v_cndmask_b32_e32 v0, v7, v0, vcc
; %bb.1229:                             ;   in Loop: Header=BB4_772 Depth=4
	s_or_b64 exec, exec, s[68:69]
.LBB4_1230:                             ;   in Loop: Header=BB4_772 Depth=4
	s_or_b64 exec, exec, s[28:29]
.LBB4_1231:                             ;   in Loop: Header=BB4_772 Depth=4
	s_or_b64 exec, exec, s[30:31]
	v_cmp_ne_u16_e32 vcc, 0, v16
	s_and_saveexec_b64 s[28:29], vcc
	s_cbranch_execz .LBB4_1239
; %bb.1232:                             ;   in Loop: Header=BB4_772 Depth=4
	v_cmp_ne_u16_e32 vcc, s97, v16
	v_bfrev_b32_e32 v3, 1
	s_and_saveexec_b64 s[30:31], vcc
	s_cbranch_execz .LBB4_1238
; %bb.1233:                             ;   in Loop: Header=BB4_772 Depth=4
	v_and_b32_e32 v3, 0x7c, v16
	v_and_b32_e32 v7, 3, v16
	v_cmp_ne_u32_e32 vcc, s95, v3
                                        ; implicit-def: $vgpr3
	s_and_saveexec_b64 s[68:69], vcc
	s_xor_b64 s[68:69], exec, s[68:69]
	s_cbranch_execz .LBB4_1235
; %bb.1234:                             ;   in Loop: Header=BB4_772 Depth=4
	v_ffbh_u32_e32 v20, v7
	v_min_u32_e32 v20, 32, v20
	v_mov_b32_e32 v17, v43
	v_subrev_u32_e32 v21, 29, v20
	v_bfe_u32 v3, v16, 2, 5
	v_lshlrev_b64 v[16:17], v21, v[16:17]
	v_sub_u32_e32 v17, 30, v20
	v_cmp_eq_u32_e32 vcc, 0, v3
	v_and_b32_e32 v16, 3, v16
	v_cndmask_b32_e32 v3, v3, v17, vcc
	v_bfrev_b32_e32 v17, 28
	v_cndmask_b32_e32 v7, v7, v16, vcc
	v_lshlrev_b32_e32 v16, 16, v18
	v_lshl_add_u32 v3, v3, 23, v17
	v_and_or_b32 v3, v16, s96, v3
	v_lshl_or_b32 v3, v7, 21, v3
                                        ; implicit-def: $vgpr7
.LBB4_1235:                             ;   in Loop: Header=BB4_772 Depth=4
	s_andn2_saveexec_b64 s[68:69], s[68:69]
; %bb.1236:                             ;   in Loop: Header=BB4_772 Depth=4
	v_cmp_lt_i16_e32 vcc, -1, v18
	v_cndmask_b32_e32 v3, v6, v1, vcc
	v_cmp_eq_u32_e32 vcc, 0, v7
	v_mov_b32_e32 v7, 0x7f800001
	v_cndmask_b32_e32 v3, v7, v3, vcc
; %bb.1237:                             ;   in Loop: Header=BB4_772 Depth=4
	s_or_b64 exec, exec, s[68:69]
.LBB4_1238:                             ;   in Loop: Header=BB4_772 Depth=4
	s_or_b64 exec, exec, s[30:31]
.LBB4_1239:                             ;   in Loop: Header=BB4_772 Depth=4
	s_or_b64 exec, exec, s[28:29]
	v_max_f32_e32 v3, v3, v3
	v_max_f32_e32 v0, v0, v0
	v_min_f32_e32 v3, v0, v3
.LBB4_1240:                             ;   in Loop: Header=BB4_772 Depth=4
	v_and_b32_sdwa v0, v3, s97 dst_sel:DWORD dst_unused:UNUSED_PAD src0_sel:BYTE_3 src1_sel:DWORD
	v_and_b32_e32 v16, 0x7f800000, v3
	v_mov_b32_e32 v17, v43
	v_and_b32_e32 v42, 0x7fffff, v3
	v_or_b32_e32 v59, 0x7b, v0
	v_cmp_ne_u64_e32 vcc, s[52:53], v[16:17]
	s_and_saveexec_b64 s[28:29], vcc
	s_xor_b64 s[30:31], exec, s[28:29]
	s_cbranch_execz .LBB4_1250
; %bb.1241:                             ;   in Loop: Header=BB4_772 Depth=4
	v_and_b32_e32 v16, 0x7fffffff, v3
	v_mov_b32_e32 v17, v43
	v_cmp_gt_u64_e32 vcc, s[54:55], v[16:17]
	s_and_saveexec_b64 s[68:69], vcc
	s_cbranch_execz .LBB4_1249
; %bb.1242:                             ;   in Loop: Header=BB4_772 Depth=4
	v_cmp_ne_u32_e32 vcc, 0, v3
	v_mov_b32_e32 v59, 0
	s_and_saveexec_b64 s[70:71], vcc
	s_cbranch_execz .LBB4_1248
; %bb.1243:                             ;   in Loop: Header=BB4_772 Depth=4
	v_bfe_u32 v3, v3, 23, 8
	v_sub_u32_e32 v16, 0x71, v3
	v_cmp_gt_u32_e32 vcc, s38, v3
	v_add_u32_e32 v7, 0xffffff81, v3
	v_cndmask_b32_e32 v16, 0, v16, vcc
	v_cmp_eq_u32_e32 vcc, 0, v3
	v_mov_b32_e32 v3, 0xffffff82
	v_cndmask_b32_e32 v3, v7, v3, vcc
	v_mov_b32_e32 v7, 0x70
	v_or_b32_e32 v17, 0x800000, v42
	v_cndmask_b32_e32 v7, v16, v7, vcc
	v_cndmask_b32_e32 v42, v17, v42, vcc
	v_add_u32_e32 v16, 21, v7
	v_lshlrev_b64 v[16:17], v16, -1
	v_add_u32_e32 v20, 20, v7
	v_lshrrev_b64 v[36:37], v7, v[42:43]
	v_not_b32_e32 v17, v17
	v_not_b32_e32 v16, v16
	v_lshlrev_b64 v[26:27], v20, 1
	v_lshrrev_b32_e32 v20, 23, v36
	v_and_b32_e32 v17, 0, v17
	v_and_b32_e32 v16, v42, v16
	v_add3_u32 v20, v7, v3, v20
	v_bfe_u32 v3, v36, 21, 1
	v_add_u32_e32 v3, -1, v3
	v_cmp_eq_u64_e32 vcc, v[16:17], v[26:27]
	v_cndmask_b32_e32 v3, 0, v3, vcc
	v_add_u32_e32 v3, v3, v36
	v_and_b32_e32 v3, 0x1fffff, v3
	v_add_co_u32_e32 v16, vcc, v3, v36
	v_add_u32_e32 v7, 14, v20
	v_addc_co_u32_e32 v17, vcc, 0, v37, vcc
	v_cmp_ne_u32_e32 vcc, 0, v7
                                        ; implicit-def: $vgpr3
	s_and_saveexec_b64 s[28:29], vcc
	s_xor_b64 s[28:29], exec, s[28:29]
; %bb.1244:                             ;   in Loop: Header=BB4_772 Depth=4
	v_add_u32_e32 v3, 15, v20
	v_cmp_lt_u64_e32 vcc, s[56:57], v[16:17]
	v_cndmask_b32_e32 v3, v7, v3, vcc
	v_cndmask_b32_e64 v7, 0, 1, vcc
	v_lshrrev_b64 v[16:17], v7, v[16:17]
; %bb.1245:                             ;   in Loop: Header=BB4_772 Depth=4
	s_andn2_saveexec_b64 s[28:29], s[28:29]
; %bb.1246:                             ;   in Loop: Header=BB4_772 Depth=4
	v_bfe_u32 v3, v16, 23, 1
; %bb.1247:                             ;   in Loop: Header=BB4_772 Depth=4
	s_or_b64 exec, exec, s[28:29]
	v_lshrrev_b64 v[16:17], 21, v[16:17]
	v_cmp_gt_i32_e32 vcc, 32, v3
	v_cndmask_b32_e32 v17, 0, v17, vcc
	v_cndmask_b32_e32 v16, 3, v16, vcc
	v_cmp_eq_u32_e32 vcc, 0, v3
	v_min_i32_e32 v3, 31, v3
	v_cmp_eq_u64_e64 s[28:29], 0, v[16:17]
	v_lshlrev_b32_e32 v3, 2, v3
	v_and_or_b32 v3, v16, 3, v3
	s_and_b64 s[28:29], vcc, s[28:29]
	v_cndmask_b32_e64 v3, v3, 0, s[28:29]
	v_or_b32_e32 v59, v3, v0
.LBB4_1248:                             ;   in Loop: Header=BB4_772 Depth=4
	s_or_b64 exec, exec, s[70:71]
.LBB4_1249:                             ;   in Loop: Header=BB4_772 Depth=4
	s_or_b64 exec, exec, s[68:69]
                                        ; implicit-def: $vgpr3
.LBB4_1250:                             ;   in Loop: Header=BB4_772 Depth=4
	s_andn2_saveexec_b64 s[28:29], s[30:31]
; %bb.1251:                             ;   in Loop: Header=BB4_772 Depth=4
	v_or_b32_sdwa v0, v3, s39 dst_sel:DWORD dst_unused:UNUSED_PAD src0_sel:BYTE_3 src1_sel:DWORD
	v_cmp_eq_u64_e32 vcc, 0, v[42:43]
	v_cndmask_b32_e32 v59, v0, v59, vcc
; %bb.1252:                             ;   in Loop: Header=BB4_772 Depth=4
	s_or_b64 exec, exec, s[28:29]
	v_lshrrev_b32_e32 v20, 16, v22
	v_lshrrev_b32_e32 v16, 16, v18
	v_cmp_ne_u16_sdwa s[28:29], v20, v43 src0_sel:BYTE_0 src1_sel:DWORD
	s_and_b64 vcc, exec, s[66:67]
	s_cbranch_vccz .LBB4_1270
; %bb.1253:                             ;   in Loop: Header=BB4_772 Depth=4
	v_mov_b32_e32 v3, 0
	v_mov_b32_e32 v0, 0
	s_and_saveexec_b64 s[30:31], s[28:29]
	s_cbranch_execz .LBB4_1261
; %bb.1254:                             ;   in Loop: Header=BB4_772 Depth=4
	v_cmp_ne_u16_sdwa vcc, v20, s97 src0_sel:BYTE_0 src1_sel:DWORD
	v_bfrev_b32_e32 v0, 1
	s_and_saveexec_b64 s[68:69], vcc
	s_cbranch_execz .LBB4_1260
; %bb.1255:                             ;   in Loop: Header=BB4_772 Depth=4
	v_and_b32_e32 v0, 0x7c0000, v22
	v_bfe_u32 v7, v22, 16, 2
	v_cmp_ne_u32_e32 vcc, s36, v0
                                        ; implicit-def: $vgpr0
	s_and_saveexec_b64 s[70:71], vcc
	s_xor_b64 s[70:71], exec, s[70:71]
	s_cbranch_execz .LBB4_1257
; %bb.1256:                             ;   in Loop: Header=BB4_772 Depth=4
	v_ffbh_u32_e32 v17, v7
	v_min_u32_e32 v17, 32, v17
	v_subrev_u32_e32 v21, 29, v17
	v_bfe_u32 v0, v22, 18, 5
	v_lshlrev_b64 v[26:27], v21, v[20:21]
	v_sub_u32_e32 v17, 30, v17
	v_and_b32_e32 v21, 3, v26
	v_cmp_eq_u32_e32 vcc, 0, v0
	v_cndmask_b32_e32 v0, v0, v17, vcc
	v_cndmask_b32_e32 v7, v7, v21, vcc
	v_bfrev_b32_e32 v21, 28
	v_lshlrev_b32_e32 v17, 24, v20
	v_lshl_add_u32 v0, v0, 23, v21
	v_and_or_b32 v0, v17, s96, v0
	v_lshl_or_b32 v0, v7, 21, v0
                                        ; implicit-def: $vgpr7
.LBB4_1257:                             ;   in Loop: Header=BB4_772 Depth=4
	s_andn2_saveexec_b64 s[70:71], s[70:71]
; %bb.1258:                             ;   in Loop: Header=BB4_772 Depth=4
	v_mov_b32_e32 v0, -1
	v_cmp_gt_i16_sdwa vcc, sext(v20), v0 src0_sel:BYTE_0 src1_sel:DWORD
	v_cndmask_b32_e32 v0, v6, v1, vcc
	v_cmp_eq_u32_e32 vcc, 0, v7
	v_mov_b32_e32 v7, 0x7f800001
	v_cndmask_b32_e32 v0, v7, v0, vcc
; %bb.1259:                             ;   in Loop: Header=BB4_772 Depth=4
	s_or_b64 exec, exec, s[70:71]
.LBB4_1260:                             ;   in Loop: Header=BB4_772 Depth=4
	s_or_b64 exec, exec, s[68:69]
.LBB4_1261:                             ;   in Loop: Header=BB4_772 Depth=4
	s_or_b64 exec, exec, s[30:31]
	v_cmp_ne_u16_sdwa vcc, v16, v43 src0_sel:BYTE_0 src1_sel:DWORD
	s_and_saveexec_b64 s[30:31], vcc
	s_cbranch_execz .LBB4_1269
; %bb.1262:                             ;   in Loop: Header=BB4_772 Depth=4
	v_cmp_ne_u16_sdwa vcc, v16, s97 src0_sel:BYTE_0 src1_sel:DWORD
	v_bfrev_b32_e32 v3, 1
	s_and_saveexec_b64 s[68:69], vcc
	s_cbranch_execz .LBB4_1268
; %bb.1263:                             ;   in Loop: Header=BB4_772 Depth=4
	v_and_b32_e32 v3, 0x7c0000, v18
	v_bfe_u32 v7, v18, 16, 2
	v_cmp_ne_u32_e32 vcc, s36, v3
                                        ; implicit-def: $vgpr3
	s_and_saveexec_b64 s[70:71], vcc
	s_xor_b64 s[70:71], exec, s[70:71]
	s_cbranch_execz .LBB4_1265
; %bb.1264:                             ;   in Loop: Header=BB4_772 Depth=4
	v_ffbh_u32_e32 v17, v7
	v_min_u32_e32 v17, 32, v17
	v_subrev_u32_e32 v21, 29, v17
	v_bfe_u32 v3, v18, 18, 5
	v_lshlrev_b64 v[26:27], v21, v[16:17]
	v_sub_u32_e32 v17, 30, v17
	v_and_b32_e32 v21, 3, v26
	v_cmp_eq_u32_e32 vcc, 0, v3
	v_cndmask_b32_e32 v3, v3, v17, vcc
	v_cndmask_b32_e32 v7, v7, v21, vcc
	v_bfrev_b32_e32 v21, 28
	v_lshlrev_b32_e32 v17, 24, v16
	v_lshl_add_u32 v3, v3, 23, v21
	v_and_or_b32 v3, v17, s96, v3
	v_lshl_or_b32 v3, v7, 21, v3
                                        ; implicit-def: $vgpr7
.LBB4_1265:                             ;   in Loop: Header=BB4_772 Depth=4
	s_andn2_saveexec_b64 s[70:71], s[70:71]
; %bb.1266:                             ;   in Loop: Header=BB4_772 Depth=4
	v_mov_b32_e32 v3, -1
	v_cmp_gt_i16_sdwa vcc, sext(v16), v3 src0_sel:BYTE_0 src1_sel:DWORD
	v_cndmask_b32_e32 v3, v6, v1, vcc
	v_cmp_eq_u32_e32 vcc, 0, v7
	v_mov_b32_e32 v7, 0x7f800001
	v_cndmask_b32_e32 v3, v7, v3, vcc
; %bb.1267:                             ;   in Loop: Header=BB4_772 Depth=4
	s_or_b64 exec, exec, s[70:71]
.LBB4_1268:                             ;   in Loop: Header=BB4_772 Depth=4
	s_or_b64 exec, exec, s[68:69]
.LBB4_1269:                             ;   in Loop: Header=BB4_772 Depth=4
	s_or_b64 exec, exec, s[30:31]
	v_max_f32_e32 v3, v3, v3
	v_max_f32_e32 v0, v0, v0
	;; [unrolled: 1-line block ×3, first 2 shown]
	s_branch .LBB4_1288
.LBB4_1270:                             ;   in Loop: Header=BB4_772 Depth=4
                                        ; implicit-def: $vgpr3
	s_cbranch_execz .LBB4_1288
; %bb.1271:                             ;   in Loop: Header=BB4_772 Depth=4
	v_mov_b32_e32 v3, 0
	v_mov_b32_e32 v0, 0
	s_and_saveexec_b64 s[30:31], s[28:29]
	s_cbranch_execz .LBB4_1279
; %bb.1272:                             ;   in Loop: Header=BB4_772 Depth=4
	v_cmp_ne_u16_sdwa vcc, v20, s97 src0_sel:BYTE_0 src1_sel:DWORD
	v_bfrev_b32_e32 v0, 1
	s_and_saveexec_b64 s[28:29], vcc
	s_cbranch_execz .LBB4_1278
; %bb.1273:                             ;   in Loop: Header=BB4_772 Depth=4
	v_and_b32_e32 v0, 0x7c0000, v22
	v_bfe_u32 v7, v22, 16, 2
	v_cmp_ne_u32_e32 vcc, s36, v0
                                        ; implicit-def: $vgpr0
	s_and_saveexec_b64 s[68:69], vcc
	s_xor_b64 s[68:69], exec, s[68:69]
	s_cbranch_execz .LBB4_1275
; %bb.1274:                             ;   in Loop: Header=BB4_772 Depth=4
	v_ffbh_u32_e32 v17, v7
	v_bfe_u32 v0, v22, 18, 5
	v_min_u32_e32 v17, 32, v17
	v_subrev_u32_e32 v21, 29, v17
	v_sub_u32_e32 v17, 30, v17
	v_cmp_eq_u32_e32 vcc, 0, v0
	v_lshlrev_b64 v[26:27], v21, v[20:21]
	v_cndmask_b32_e32 v0, v0, v17, vcc
	v_lshlrev_b32_e32 v17, 24, v20
	v_bfrev_b32_e32 v20, 28
	v_and_b32_e32 v21, 3, v26
	v_lshl_add_u32 v0, v0, 23, v20
	v_cndmask_b32_e32 v7, v7, v21, vcc
	v_and_or_b32 v0, v17, s96, v0
	v_lshl_or_b32 v0, v7, 21, v0
                                        ; implicit-def: $vgpr7
                                        ; implicit-def: $vgpr20
.LBB4_1275:                             ;   in Loop: Header=BB4_772 Depth=4
	s_andn2_saveexec_b64 s[68:69], s[68:69]
; %bb.1276:                             ;   in Loop: Header=BB4_772 Depth=4
	v_mov_b32_e32 v0, -1
	v_cmp_gt_i16_sdwa vcc, sext(v20), v0 src0_sel:BYTE_0 src1_sel:DWORD
	v_cndmask_b32_e32 v0, v6, v1, vcc
	v_cmp_eq_u32_e32 vcc, 0, v7
	v_mov_b32_e32 v7, 0x7f800001
	v_cndmask_b32_e32 v0, v7, v0, vcc
; %bb.1277:                             ;   in Loop: Header=BB4_772 Depth=4
	s_or_b64 exec, exec, s[68:69]
.LBB4_1278:                             ;   in Loop: Header=BB4_772 Depth=4
	s_or_b64 exec, exec, s[28:29]
.LBB4_1279:                             ;   in Loop: Header=BB4_772 Depth=4
	s_or_b64 exec, exec, s[30:31]
	v_cmp_ne_u16_sdwa vcc, v16, v43 src0_sel:BYTE_0 src1_sel:DWORD
	s_and_saveexec_b64 s[28:29], vcc
	s_cbranch_execz .LBB4_1287
; %bb.1280:                             ;   in Loop: Header=BB4_772 Depth=4
	v_cmp_ne_u16_sdwa vcc, v16, s97 src0_sel:BYTE_0 src1_sel:DWORD
	v_bfrev_b32_e32 v3, 1
	s_and_saveexec_b64 s[30:31], vcc
	s_cbranch_execz .LBB4_1286
; %bb.1281:                             ;   in Loop: Header=BB4_772 Depth=4
	v_and_b32_e32 v3, 0x7c0000, v18
	v_bfe_u32 v7, v18, 16, 2
	v_cmp_ne_u32_e32 vcc, s36, v3
                                        ; implicit-def: $vgpr3
	s_and_saveexec_b64 s[68:69], vcc
	s_xor_b64 s[68:69], exec, s[68:69]
	s_cbranch_execz .LBB4_1283
; %bb.1282:                             ;   in Loop: Header=BB4_772 Depth=4
	v_ffbh_u32_e32 v17, v7
	v_min_u32_e32 v17, 32, v17
	v_bfe_u32 v3, v18, 18, 5
	v_subrev_u32_e32 v20, 29, v17
	v_lshlrev_b64 v[20:21], v20, v[16:17]
	v_sub_u32_e32 v17, 30, v17
	v_cmp_eq_u32_e32 vcc, 0, v3
	v_cndmask_b32_e32 v3, v3, v17, vcc
	v_bfrev_b32_e32 v17, 28
	v_and_b32_e32 v20, 3, v20
	v_lshlrev_b32_e32 v16, 24, v16
	v_lshl_add_u32 v3, v3, 23, v17
	v_cndmask_b32_e32 v7, v7, v20, vcc
	v_and_or_b32 v3, v16, s96, v3
	v_lshl_or_b32 v3, v7, 21, v3
                                        ; implicit-def: $vgpr7
                                        ; implicit-def: $vgpr16
.LBB4_1283:                             ;   in Loop: Header=BB4_772 Depth=4
	s_andn2_saveexec_b64 s[68:69], s[68:69]
; %bb.1284:                             ;   in Loop: Header=BB4_772 Depth=4
	v_mov_b32_e32 v3, -1
	v_cmp_gt_i16_sdwa vcc, sext(v16), v3 src0_sel:BYTE_0 src1_sel:DWORD
	v_cndmask_b32_e32 v3, v6, v1, vcc
	v_cmp_eq_u32_e32 vcc, 0, v7
	v_mov_b32_e32 v7, 0x7f800001
	v_cndmask_b32_e32 v3, v7, v3, vcc
; %bb.1285:                             ;   in Loop: Header=BB4_772 Depth=4
	s_or_b64 exec, exec, s[68:69]
.LBB4_1286:                             ;   in Loop: Header=BB4_772 Depth=4
	s_or_b64 exec, exec, s[30:31]
.LBB4_1287:                             ;   in Loop: Header=BB4_772 Depth=4
	s_or_b64 exec, exec, s[28:29]
	v_max_f32_e32 v3, v3, v3
	v_max_f32_e32 v0, v0, v0
	v_min_f32_e32 v3, v0, v3
.LBB4_1288:                             ;   in Loop: Header=BB4_772 Depth=4
	v_and_b32_sdwa v0, v3, s97 dst_sel:DWORD dst_unused:UNUSED_PAD src0_sel:BYTE_3 src1_sel:DWORD
	v_and_b32_e32 v16, 0x7f800000, v3
	v_mov_b32_e32 v17, v43
	v_and_b32_e32 v42, 0x7fffff, v3
	v_or_b32_e32 v45, 0x7b, v0
	v_cmp_ne_u64_e32 vcc, s[52:53], v[16:17]
	s_and_saveexec_b64 s[28:29], vcc
	s_xor_b64 s[30:31], exec, s[28:29]
	s_cbranch_execz .LBB4_1298
; %bb.1289:                             ;   in Loop: Header=BB4_772 Depth=4
	v_and_b32_e32 v16, 0x7fffffff, v3
	v_mov_b32_e32 v17, v43
	v_cmp_gt_u64_e32 vcc, s[54:55], v[16:17]
	s_and_saveexec_b64 s[68:69], vcc
	s_cbranch_execz .LBB4_1297
; %bb.1290:                             ;   in Loop: Header=BB4_772 Depth=4
	v_cmp_ne_u32_e32 vcc, 0, v3
	v_mov_b32_e32 v45, 0
	s_and_saveexec_b64 s[70:71], vcc
	s_cbranch_execz .LBB4_1296
; %bb.1291:                             ;   in Loop: Header=BB4_772 Depth=4
	v_bfe_u32 v3, v3, 23, 8
	v_sub_u32_e32 v16, 0x71, v3
	v_cmp_gt_u32_e32 vcc, s38, v3
	v_add_u32_e32 v7, 0xffffff81, v3
	v_cndmask_b32_e32 v16, 0, v16, vcc
	v_cmp_eq_u32_e32 vcc, 0, v3
	v_mov_b32_e32 v3, 0xffffff82
	v_cndmask_b32_e32 v3, v7, v3, vcc
	v_mov_b32_e32 v7, 0x70
	v_or_b32_e32 v17, 0x800000, v42
	v_cndmask_b32_e32 v7, v16, v7, vcc
	v_cndmask_b32_e32 v42, v17, v42, vcc
	v_add_u32_e32 v16, 21, v7
	v_lshlrev_b64 v[16:17], v16, -1
	v_add_u32_e32 v20, 20, v7
	v_lshrrev_b64 v[36:37], v7, v[42:43]
	v_not_b32_e32 v17, v17
	v_not_b32_e32 v16, v16
	v_lshlrev_b64 v[26:27], v20, 1
	v_lshrrev_b32_e32 v20, 23, v36
	v_and_b32_e32 v17, 0, v17
	v_and_b32_e32 v16, v42, v16
	v_add3_u32 v20, v7, v3, v20
	v_bfe_u32 v3, v36, 21, 1
	v_add_u32_e32 v3, -1, v3
	v_cmp_eq_u64_e32 vcc, v[16:17], v[26:27]
	v_cndmask_b32_e32 v3, 0, v3, vcc
	v_add_u32_e32 v3, v3, v36
	v_and_b32_e32 v3, 0x1fffff, v3
	v_add_co_u32_e32 v16, vcc, v3, v36
	v_add_u32_e32 v7, 14, v20
	v_addc_co_u32_e32 v17, vcc, 0, v37, vcc
	v_cmp_ne_u32_e32 vcc, 0, v7
                                        ; implicit-def: $vgpr3
	s_and_saveexec_b64 s[28:29], vcc
	s_xor_b64 s[28:29], exec, s[28:29]
; %bb.1292:                             ;   in Loop: Header=BB4_772 Depth=4
	v_add_u32_e32 v3, 15, v20
	v_cmp_lt_u64_e32 vcc, s[56:57], v[16:17]
	v_cndmask_b32_e32 v3, v7, v3, vcc
	v_cndmask_b32_e64 v7, 0, 1, vcc
	v_lshrrev_b64 v[16:17], v7, v[16:17]
; %bb.1293:                             ;   in Loop: Header=BB4_772 Depth=4
	s_andn2_saveexec_b64 s[28:29], s[28:29]
; %bb.1294:                             ;   in Loop: Header=BB4_772 Depth=4
	v_bfe_u32 v3, v16, 23, 1
; %bb.1295:                             ;   in Loop: Header=BB4_772 Depth=4
	s_or_b64 exec, exec, s[28:29]
	v_lshrrev_b64 v[16:17], 21, v[16:17]
	v_cmp_gt_i32_e32 vcc, 32, v3
	v_cndmask_b32_e32 v17, 0, v17, vcc
	v_cndmask_b32_e32 v16, 3, v16, vcc
	v_cmp_eq_u32_e32 vcc, 0, v3
	v_min_i32_e32 v3, 31, v3
	v_cmp_eq_u64_e64 s[28:29], 0, v[16:17]
	v_lshlrev_b32_e32 v3, 2, v3
	v_and_or_b32 v3, v16, 3, v3
	s_and_b64 s[28:29], vcc, s[28:29]
	v_cndmask_b32_e64 v3, v3, 0, s[28:29]
	v_or_b32_e32 v45, v3, v0
.LBB4_1296:                             ;   in Loop: Header=BB4_772 Depth=4
	s_or_b64 exec, exec, s[70:71]
.LBB4_1297:                             ;   in Loop: Header=BB4_772 Depth=4
	s_or_b64 exec, exec, s[68:69]
                                        ; implicit-def: $vgpr3
.LBB4_1298:                             ;   in Loop: Header=BB4_772 Depth=4
	s_andn2_saveexec_b64 s[28:29], s[30:31]
; %bb.1299:                             ;   in Loop: Header=BB4_772 Depth=4
	v_or_b32_sdwa v0, v3, s39 dst_sel:DWORD dst_unused:UNUSED_PAD src0_sel:BYTE_3 src1_sel:DWORD
	v_cmp_eq_u64_e32 vcc, 0, v[42:43]
	v_cndmask_b32_e32 v45, v0, v45, vcc
; %bb.1300:                             ;   in Loop: Header=BB4_772 Depth=4
	s_or_b64 exec, exec, s[28:29]
	v_lshrrev_b32_e32 v20, 24, v22
	v_lshrrev_b32_e32 v16, 24, v18
	v_cmp_lt_u32_e64 s[28:29], s43, v22
	s_and_b64 vcc, exec, s[66:67]
	s_cbranch_vccz .LBB4_1318
; %bb.1301:                             ;   in Loop: Header=BB4_772 Depth=4
	v_mov_b32_e32 v3, 0
	v_mov_b32_e32 v0, 0
	s_and_saveexec_b64 s[30:31], s[28:29]
	s_cbranch_execz .LBB4_1309
; %bb.1302:                             ;   in Loop: Header=BB4_772 Depth=4
	v_cmp_ne_u32_e32 vcc, s97, v20
	v_bfrev_b32_e32 v0, 1
	s_and_saveexec_b64 s[68:69], vcc
	s_cbranch_execz .LBB4_1308
; %bb.1303:                             ;   in Loop: Header=BB4_772 Depth=4
	v_and_b32_e32 v0, 0x7c000000, v22
	v_bfe_u32 v7, v22, 24, 2
	v_cmp_ne_u32_e32 vcc, s37, v0
                                        ; implicit-def: $vgpr0
	s_and_saveexec_b64 s[70:71], vcc
	s_xor_b64 s[70:71], exec, s[70:71]
	s_cbranch_execz .LBB4_1305
; %bb.1304:                             ;   in Loop: Header=BB4_772 Depth=4
	v_ffbh_u32_e32 v17, v7
	v_bfe_u32 v0, v22, 26, 5
	v_min_u32_e32 v17, 32, v17
	v_subrev_u32_e32 v21, 29, v17
	v_sub_u32_e32 v17, 30, v17
	v_cmp_eq_u32_e32 vcc, 0, v0
	v_lshlrev_b64 v[26:27], v21, v[20:21]
	v_cndmask_b32_e32 v0, v0, v17, vcc
	v_bfrev_b32_e32 v17, 28
	v_and_b32_e32 v21, 3, v26
	v_lshl_add_u32 v0, v0, 23, v17
	v_cndmask_b32_e32 v7, v7, v21, vcc
	v_and_or_b32 v0, v22, s96, v0
	v_lshl_or_b32 v0, v7, 21, v0
                                        ; implicit-def: $vgpr7
.LBB4_1305:                             ;   in Loop: Header=BB4_772 Depth=4
	s_andn2_saveexec_b64 s[70:71], s[70:71]
; %bb.1306:                             ;   in Loop: Header=BB4_772 Depth=4
	v_cmp_lt_i32_e32 vcc, -1, v22
	v_cndmask_b32_e32 v0, v6, v1, vcc
	v_cmp_eq_u32_e32 vcc, 0, v7
	v_mov_b32_e32 v7, 0x7f800001
	v_cndmask_b32_e32 v0, v7, v0, vcc
; %bb.1307:                             ;   in Loop: Header=BB4_772 Depth=4
	s_or_b64 exec, exec, s[70:71]
.LBB4_1308:                             ;   in Loop: Header=BB4_772 Depth=4
	s_or_b64 exec, exec, s[68:69]
.LBB4_1309:                             ;   in Loop: Header=BB4_772 Depth=4
	s_or_b64 exec, exec, s[30:31]
	v_cmp_lt_u32_e32 vcc, s43, v18
	s_and_saveexec_b64 s[30:31], vcc
	s_cbranch_execz .LBB4_1317
; %bb.1310:                             ;   in Loop: Header=BB4_772 Depth=4
	v_cmp_ne_u32_e32 vcc, s97, v16
	v_bfrev_b32_e32 v3, 1
	s_and_saveexec_b64 s[68:69], vcc
	s_cbranch_execz .LBB4_1316
; %bb.1311:                             ;   in Loop: Header=BB4_772 Depth=4
	v_and_b32_e32 v3, 0x7c000000, v18
	v_bfe_u32 v7, v18, 24, 2
	v_cmp_ne_u32_e32 vcc, s37, v3
                                        ; implicit-def: $vgpr3
	s_and_saveexec_b64 s[70:71], vcc
	s_xor_b64 s[70:71], exec, s[70:71]
	s_cbranch_execz .LBB4_1313
; %bb.1312:                             ;   in Loop: Header=BB4_772 Depth=4
	v_ffbh_u32_e32 v17, v7
	v_min_u32_e32 v17, 32, v17
	v_bfe_u32 v3, v18, 26, 5
	v_subrev_u32_e32 v21, 29, v17
	v_lshlrev_b64 v[26:27], v21, v[16:17]
	v_sub_u32_e32 v17, 30, v17
	v_cmp_eq_u32_e32 vcc, 0, v3
	v_cndmask_b32_e32 v3, v3, v17, vcc
	v_bfrev_b32_e32 v17, 28
	v_and_b32_e32 v21, 3, v26
	v_lshl_add_u32 v3, v3, 23, v17
	v_cndmask_b32_e32 v7, v7, v21, vcc
	v_and_or_b32 v3, v18, s96, v3
	v_lshl_or_b32 v3, v7, 21, v3
                                        ; implicit-def: $vgpr7
.LBB4_1313:                             ;   in Loop: Header=BB4_772 Depth=4
	s_andn2_saveexec_b64 s[70:71], s[70:71]
; %bb.1314:                             ;   in Loop: Header=BB4_772 Depth=4
	v_cmp_lt_i32_e32 vcc, -1, v18
	v_cndmask_b32_e32 v3, v6, v1, vcc
	v_cmp_eq_u32_e32 vcc, 0, v7
	v_mov_b32_e32 v7, 0x7f800001
	v_cndmask_b32_e32 v3, v7, v3, vcc
; %bb.1315:                             ;   in Loop: Header=BB4_772 Depth=4
	s_or_b64 exec, exec, s[70:71]
.LBB4_1316:                             ;   in Loop: Header=BB4_772 Depth=4
	s_or_b64 exec, exec, s[68:69]
.LBB4_1317:                             ;   in Loop: Header=BB4_772 Depth=4
	s_or_b64 exec, exec, s[30:31]
	v_max_f32_e32 v3, v3, v3
	v_max_f32_e32 v0, v0, v0
	;; [unrolled: 1-line block ×3, first 2 shown]
	s_branch .LBB4_1336
.LBB4_1318:                             ;   in Loop: Header=BB4_772 Depth=4
                                        ; implicit-def: $vgpr3
	s_cbranch_execz .LBB4_1336
; %bb.1319:                             ;   in Loop: Header=BB4_772 Depth=4
	v_mov_b32_e32 v3, 0
	v_mov_b32_e32 v0, 0
	s_and_saveexec_b64 s[30:31], s[28:29]
	s_cbranch_execz .LBB4_1327
; %bb.1320:                             ;   in Loop: Header=BB4_772 Depth=4
	v_cmp_ne_u32_e32 vcc, s97, v20
	v_bfrev_b32_e32 v0, 1
	s_and_saveexec_b64 s[28:29], vcc
	s_cbranch_execz .LBB4_1326
; %bb.1321:                             ;   in Loop: Header=BB4_772 Depth=4
	v_and_b32_e32 v0, 0x7c000000, v22
	v_bfe_u32 v7, v22, 24, 2
	v_cmp_ne_u32_e32 vcc, s37, v0
                                        ; implicit-def: $vgpr0
	s_and_saveexec_b64 s[68:69], vcc
	s_xor_b64 s[68:69], exec, s[68:69]
	s_cbranch_execz .LBB4_1323
; %bb.1322:                             ;   in Loop: Header=BB4_772 Depth=4
	v_ffbh_u32_e32 v17, v7
	v_bfe_u32 v0, v22, 26, 5
	v_min_u32_e32 v17, 32, v17
	v_subrev_u32_e32 v21, 29, v17
	v_sub_u32_e32 v17, 30, v17
	v_cmp_eq_u32_e32 vcc, 0, v0
	v_lshlrev_b64 v[20:21], v21, v[20:21]
	v_cndmask_b32_e32 v0, v0, v17, vcc
	v_bfrev_b32_e32 v17, 28
	v_and_b32_e32 v20, 3, v20
	v_lshl_add_u32 v0, v0, 23, v17
	v_cndmask_b32_e32 v7, v7, v20, vcc
	v_and_or_b32 v0, v22, s96, v0
	v_lshl_or_b32 v0, v7, 21, v0
                                        ; implicit-def: $vgpr7
.LBB4_1323:                             ;   in Loop: Header=BB4_772 Depth=4
	s_andn2_saveexec_b64 s[68:69], s[68:69]
; %bb.1324:                             ;   in Loop: Header=BB4_772 Depth=4
	v_cmp_lt_i32_e32 vcc, -1, v22
	v_cndmask_b32_e32 v0, v6, v1, vcc
	v_cmp_eq_u32_e32 vcc, 0, v7
	v_mov_b32_e32 v7, 0x7f800001
	v_cndmask_b32_e32 v0, v7, v0, vcc
; %bb.1325:                             ;   in Loop: Header=BB4_772 Depth=4
	s_or_b64 exec, exec, s[68:69]
.LBB4_1326:                             ;   in Loop: Header=BB4_772 Depth=4
	s_or_b64 exec, exec, s[28:29]
.LBB4_1327:                             ;   in Loop: Header=BB4_772 Depth=4
	s_or_b64 exec, exec, s[30:31]
	v_cmp_lt_u32_e32 vcc, s43, v18
	s_and_saveexec_b64 s[28:29], vcc
	s_cbranch_execz .LBB4_1335
; %bb.1328:                             ;   in Loop: Header=BB4_772 Depth=4
	v_cmp_ne_u32_e32 vcc, s97, v16
	v_bfrev_b32_e32 v3, 1
	s_and_saveexec_b64 s[30:31], vcc
	s_cbranch_execz .LBB4_1334
; %bb.1329:                             ;   in Loop: Header=BB4_772 Depth=4
	v_and_b32_e32 v3, 0x7c000000, v18
	v_bfe_u32 v7, v18, 24, 2
	v_cmp_ne_u32_e32 vcc, s37, v3
                                        ; implicit-def: $vgpr3
	s_and_saveexec_b64 s[68:69], vcc
	s_xor_b64 s[68:69], exec, s[68:69]
	s_cbranch_execz .LBB4_1331
; %bb.1330:                             ;   in Loop: Header=BB4_772 Depth=4
	v_ffbh_u32_e32 v17, v7
	v_min_u32_e32 v20, 32, v17
	v_subrev_u32_e32 v17, 29, v20
	v_bfe_u32 v3, v18, 26, 5
	v_lshlrev_b64 v[16:17], v17, v[16:17]
	v_sub_u32_e32 v17, 30, v20
	v_and_b32_e32 v16, 3, v16
	v_cmp_eq_u32_e32 vcc, 0, v3
	v_cndmask_b32_e32 v3, v3, v17, vcc
	v_cndmask_b32_e32 v7, v7, v16, vcc
	v_bfrev_b32_e32 v16, 28
	v_lshl_add_u32 v3, v3, 23, v16
	v_and_or_b32 v3, v18, s96, v3
	v_lshl_or_b32 v3, v7, 21, v3
                                        ; implicit-def: $vgpr7
.LBB4_1331:                             ;   in Loop: Header=BB4_772 Depth=4
	s_andn2_saveexec_b64 s[68:69], s[68:69]
; %bb.1332:                             ;   in Loop: Header=BB4_772 Depth=4
	v_cmp_lt_i32_e32 vcc, -1, v18
	v_cndmask_b32_e32 v3, v6, v1, vcc
	v_cmp_eq_u32_e32 vcc, 0, v7
	v_mov_b32_e32 v7, 0x7f800001
	v_cndmask_b32_e32 v3, v7, v3, vcc
; %bb.1333:                             ;   in Loop: Header=BB4_772 Depth=4
	s_or_b64 exec, exec, s[68:69]
.LBB4_1334:                             ;   in Loop: Header=BB4_772 Depth=4
	s_or_b64 exec, exec, s[30:31]
.LBB4_1335:                             ;   in Loop: Header=BB4_772 Depth=4
	s_or_b64 exec, exec, s[28:29]
	v_max_f32_e32 v3, v3, v3
	v_max_f32_e32 v0, v0, v0
	v_min_f32_e32 v3, v0, v3
.LBB4_1336:                             ;   in Loop: Header=BB4_772 Depth=4
	v_and_b32_sdwa v0, v3, s97 dst_sel:DWORD dst_unused:UNUSED_PAD src0_sel:BYTE_3 src1_sel:DWORD
	v_and_b32_e32 v16, 0x7f800000, v3
	v_mov_b32_e32 v17, v43
	v_and_b32_e32 v42, 0x7fffff, v3
	v_or_b32_e32 v28, 0x7b, v0
	v_cmp_ne_u64_e32 vcc, s[52:53], v[16:17]
	s_and_saveexec_b64 s[28:29], vcc
	s_xor_b64 s[30:31], exec, s[28:29]
	s_cbranch_execz .LBB4_1346
; %bb.1337:                             ;   in Loop: Header=BB4_772 Depth=4
	v_and_b32_e32 v16, 0x7fffffff, v3
	v_mov_b32_e32 v17, v43
	v_cmp_gt_u64_e32 vcc, s[54:55], v[16:17]
	s_and_saveexec_b64 s[68:69], vcc
	s_cbranch_execz .LBB4_1345
; %bb.1338:                             ;   in Loop: Header=BB4_772 Depth=4
	v_cmp_ne_u32_e32 vcc, 0, v3
	v_mov_b32_e32 v28, 0
	s_and_saveexec_b64 s[70:71], vcc
	s_cbranch_execz .LBB4_1344
; %bb.1339:                             ;   in Loop: Header=BB4_772 Depth=4
	v_bfe_u32 v3, v3, 23, 8
	v_sub_u32_e32 v16, 0x71, v3
	v_cmp_gt_u32_e32 vcc, s38, v3
	v_add_u32_e32 v7, 0xffffff81, v3
	v_cndmask_b32_e32 v16, 0, v16, vcc
	v_cmp_eq_u32_e32 vcc, 0, v3
	v_mov_b32_e32 v3, 0xffffff82
	v_cndmask_b32_e32 v3, v7, v3, vcc
	v_mov_b32_e32 v7, 0x70
	v_or_b32_e32 v17, 0x800000, v42
	v_cndmask_b32_e32 v7, v16, v7, vcc
	v_cndmask_b32_e32 v42, v17, v42, vcc
	v_add_u32_e32 v16, 21, v7
	v_lshlrev_b64 v[16:17], v16, -1
	v_add_u32_e32 v20, 20, v7
	v_lshrrev_b64 v[36:37], v7, v[42:43]
	v_not_b32_e32 v17, v17
	v_not_b32_e32 v16, v16
	v_lshlrev_b64 v[26:27], v20, 1
	v_lshrrev_b32_e32 v20, 23, v36
	v_and_b32_e32 v17, 0, v17
	v_and_b32_e32 v16, v42, v16
	v_add3_u32 v20, v7, v3, v20
	v_bfe_u32 v3, v36, 21, 1
	v_add_u32_e32 v3, -1, v3
	v_cmp_eq_u64_e32 vcc, v[16:17], v[26:27]
	v_cndmask_b32_e32 v3, 0, v3, vcc
	v_add_u32_e32 v3, v3, v36
	v_and_b32_e32 v3, 0x1fffff, v3
	v_add_co_u32_e32 v16, vcc, v3, v36
	v_add_u32_e32 v7, 14, v20
	v_addc_co_u32_e32 v17, vcc, 0, v37, vcc
	v_cmp_ne_u32_e32 vcc, 0, v7
                                        ; implicit-def: $vgpr3
	s_and_saveexec_b64 s[28:29], vcc
	s_xor_b64 s[28:29], exec, s[28:29]
; %bb.1340:                             ;   in Loop: Header=BB4_772 Depth=4
	v_add_u32_e32 v3, 15, v20
	v_cmp_lt_u64_e32 vcc, s[56:57], v[16:17]
	v_cndmask_b32_e32 v3, v7, v3, vcc
	v_cndmask_b32_e64 v7, 0, 1, vcc
	v_lshrrev_b64 v[16:17], v7, v[16:17]
; %bb.1341:                             ;   in Loop: Header=BB4_772 Depth=4
	s_andn2_saveexec_b64 s[28:29], s[28:29]
; %bb.1342:                             ;   in Loop: Header=BB4_772 Depth=4
	v_bfe_u32 v3, v16, 23, 1
; %bb.1343:                             ;   in Loop: Header=BB4_772 Depth=4
	s_or_b64 exec, exec, s[28:29]
	v_lshrrev_b64 v[16:17], 21, v[16:17]
	v_cmp_gt_i32_e32 vcc, 32, v3
	v_cndmask_b32_e32 v17, 0, v17, vcc
	v_cndmask_b32_e32 v16, 3, v16, vcc
	v_cmp_eq_u32_e32 vcc, 0, v3
	v_min_i32_e32 v3, 31, v3
	v_cmp_eq_u64_e64 s[28:29], 0, v[16:17]
	v_lshlrev_b32_e32 v3, 2, v3
	v_and_or_b32 v3, v16, 3, v3
	s_and_b64 s[28:29], vcc, s[28:29]
	v_cndmask_b32_e64 v3, v3, 0, s[28:29]
	v_or_b32_e32 v28, v3, v0
.LBB4_1344:                             ;   in Loop: Header=BB4_772 Depth=4
	s_or_b64 exec, exec, s[70:71]
.LBB4_1345:                             ;   in Loop: Header=BB4_772 Depth=4
	s_or_b64 exec, exec, s[68:69]
                                        ; implicit-def: $vgpr3
.LBB4_1346:                             ;   in Loop: Header=BB4_772 Depth=4
	s_andn2_saveexec_b64 s[28:29], s[30:31]
; %bb.1347:                             ;   in Loop: Header=BB4_772 Depth=4
	v_or_b32_sdwa v0, v3, s39 dst_sel:DWORD dst_unused:UNUSED_PAD src0_sel:BYTE_3 src1_sel:DWORD
	v_cmp_eq_u64_e32 vcc, 0, v[42:43]
	v_cndmask_b32_e32 v28, v0, v28, vcc
; %bb.1348:                             ;   in Loop: Header=BB4_772 Depth=4
	s_or_b64 exec, exec, s[28:29]
	v_mov_b32_e32 v42, v23
	v_mov_b32_e32 v16, v19
	;; [unrolled: 1-line block ×3, first 2 shown]
	v_cmp_ne_u16_sdwa s[28:29], v23, v43 src0_sel:BYTE_0 src1_sel:DWORD
	s_and_b64 vcc, exec, s[66:67]
	s_cbranch_vccz .LBB4_1366
; %bb.1349:                             ;   in Loop: Header=BB4_772 Depth=4
	v_mov_b32_e32 v3, 0
	v_mov_b32_e32 v0, 0
	s_and_saveexec_b64 s[30:31], s[28:29]
	s_cbranch_execz .LBB4_1357
; %bb.1350:                             ;   in Loop: Header=BB4_772 Depth=4
	v_cmp_ne_u16_sdwa vcc, v23, s97 src0_sel:BYTE_0 src1_sel:DWORD
	v_bfrev_b32_e32 v0, 1
	s_and_saveexec_b64 s[68:69], vcc
	s_cbranch_execz .LBB4_1356
; %bb.1351:                             ;   in Loop: Header=BB4_772 Depth=4
	v_and_b32_e32 v0, 0x7c, v23
	v_and_b32_e32 v7, 3, v23
	v_cmp_ne_u32_e32 vcc, s95, v0
                                        ; implicit-def: $vgpr0
	s_and_saveexec_b64 s[70:71], vcc
	s_xor_b64 s[70:71], exec, s[70:71]
	s_cbranch_execz .LBB4_1353
; %bb.1352:                             ;   in Loop: Header=BB4_772 Depth=4
	v_ffbh_u32_e32 v20, v7
	v_min_u32_e32 v26, 32, v20
	v_subrev_u32_e32 v20, 29, v26
	v_bfe_u32 v0, v23, 2, 5
	v_lshlrev_b64 v[20:21], v20, v[42:43]
	v_sub_u32_e32 v21, 30, v26
	v_cmp_eq_u32_e32 vcc, 0, v0
	v_and_b32_e32 v20, 3, v20
	v_cndmask_b32_e32 v0, v0, v21, vcc
	v_bfrev_b32_e32 v21, 28
	v_cndmask_b32_e32 v7, v7, v20, vcc
	v_lshlrev_b32_e32 v20, 24, v23
	v_lshl_add_u32 v0, v0, 23, v21
	v_and_or_b32 v0, v20, s96, v0
	v_lshl_or_b32 v0, v7, 21, v0
                                        ; implicit-def: $vgpr7
.LBB4_1353:                             ;   in Loop: Header=BB4_772 Depth=4
	s_andn2_saveexec_b64 s[70:71], s[70:71]
; %bb.1354:                             ;   in Loop: Header=BB4_772 Depth=4
	v_mov_b32_e32 v0, -1
	v_cmp_gt_i16_sdwa vcc, sext(v23), v0 src0_sel:BYTE_0 src1_sel:DWORD
	v_cndmask_b32_e32 v0, v6, v1, vcc
	v_cmp_eq_u32_e32 vcc, 0, v7
	v_mov_b32_e32 v7, 0x7f800001
	v_cndmask_b32_e32 v0, v7, v0, vcc
; %bb.1355:                             ;   in Loop: Header=BB4_772 Depth=4
	s_or_b64 exec, exec, s[70:71]
.LBB4_1356:                             ;   in Loop: Header=BB4_772 Depth=4
	s_or_b64 exec, exec, s[68:69]
.LBB4_1357:                             ;   in Loop: Header=BB4_772 Depth=4
	s_or_b64 exec, exec, s[30:31]
	v_cmp_ne_u16_sdwa vcc, v19, v43 src0_sel:BYTE_0 src1_sel:DWORD
	s_and_saveexec_b64 s[30:31], vcc
	s_cbranch_execz .LBB4_1365
; %bb.1358:                             ;   in Loop: Header=BB4_772 Depth=4
	v_cmp_ne_u16_sdwa vcc, v19, s97 src0_sel:BYTE_0 src1_sel:DWORD
	v_bfrev_b32_e32 v3, 1
	s_and_saveexec_b64 s[68:69], vcc
	s_cbranch_execz .LBB4_1364
; %bb.1359:                             ;   in Loop: Header=BB4_772 Depth=4
	v_and_b32_e32 v3, 0x7c, v19
	v_and_b32_e32 v7, 3, v19
	v_cmp_ne_u32_e32 vcc, s95, v3
                                        ; implicit-def: $vgpr3
	s_and_saveexec_b64 s[70:71], vcc
	s_xor_b64 s[70:71], exec, s[70:71]
	s_cbranch_execz .LBB4_1361
; %bb.1360:                             ;   in Loop: Header=BB4_772 Depth=4
	v_ffbh_u32_e32 v20, v7
	v_min_u32_e32 v26, 32, v20
	v_subrev_u32_e32 v20, 29, v26
	v_bfe_u32 v3, v19, 2, 5
	v_lshlrev_b64 v[20:21], v20, v[16:17]
	v_sub_u32_e32 v21, 30, v26
	v_cmp_eq_u32_e32 vcc, 0, v3
	v_and_b32_e32 v20, 3, v20
	v_cndmask_b32_e32 v3, v3, v21, vcc
	v_bfrev_b32_e32 v21, 28
	v_cndmask_b32_e32 v7, v7, v20, vcc
	v_lshlrev_b32_e32 v20, 24, v19
	v_lshl_add_u32 v3, v3, 23, v21
	v_and_or_b32 v3, v20, s96, v3
	v_lshl_or_b32 v3, v7, 21, v3
                                        ; implicit-def: $vgpr7
.LBB4_1361:                             ;   in Loop: Header=BB4_772 Depth=4
	s_andn2_saveexec_b64 s[70:71], s[70:71]
; %bb.1362:                             ;   in Loop: Header=BB4_772 Depth=4
	v_mov_b32_e32 v3, -1
	v_cmp_gt_i16_sdwa vcc, sext(v19), v3 src0_sel:BYTE_0 src1_sel:DWORD
	v_cndmask_b32_e32 v3, v6, v1, vcc
	v_cmp_eq_u32_e32 vcc, 0, v7
	v_mov_b32_e32 v7, 0x7f800001
	v_cndmask_b32_e32 v3, v7, v3, vcc
; %bb.1363:                             ;   in Loop: Header=BB4_772 Depth=4
	s_or_b64 exec, exec, s[70:71]
.LBB4_1364:                             ;   in Loop: Header=BB4_772 Depth=4
	s_or_b64 exec, exec, s[68:69]
.LBB4_1365:                             ;   in Loop: Header=BB4_772 Depth=4
	s_or_b64 exec, exec, s[30:31]
	v_max_f32_e32 v3, v3, v3
	v_max_f32_e32 v0, v0, v0
	;; [unrolled: 1-line block ×3, first 2 shown]
	s_branch .LBB4_1384
.LBB4_1366:                             ;   in Loop: Header=BB4_772 Depth=4
                                        ; implicit-def: $vgpr7
	s_cbranch_execz .LBB4_1384
; %bb.1367:                             ;   in Loop: Header=BB4_772 Depth=4
	v_mov_b32_e32 v3, 0
	v_mov_b32_e32 v0, 0
	s_and_saveexec_b64 s[30:31], s[28:29]
	s_cbranch_execz .LBB4_1375
; %bb.1368:                             ;   in Loop: Header=BB4_772 Depth=4
	v_cmp_ne_u16_sdwa vcc, v23, s97 src0_sel:BYTE_0 src1_sel:DWORD
	v_bfrev_b32_e32 v0, 1
	s_and_saveexec_b64 s[28:29], vcc
	s_cbranch_execz .LBB4_1374
; %bb.1369:                             ;   in Loop: Header=BB4_772 Depth=4
	v_and_b32_e32 v0, 0x7c, v23
	v_and_b32_e32 v7, 3, v23
	v_cmp_ne_u32_e32 vcc, s95, v0
                                        ; implicit-def: $vgpr0
	s_and_saveexec_b64 s[68:69], vcc
	s_xor_b64 s[68:69], exec, s[68:69]
	s_cbranch_execz .LBB4_1371
; %bb.1370:                             ;   in Loop: Header=BB4_772 Depth=4
	v_ffbh_u32_e32 v20, v7
	v_min_u32_e32 v26, 32, v20
	v_subrev_u32_e32 v20, 29, v26
	v_bfe_u32 v0, v23, 2, 5
	v_lshlrev_b64 v[20:21], v20, v[42:43]
	v_sub_u32_e32 v21, 30, v26
	v_cmp_eq_u32_e32 vcc, 0, v0
	v_and_b32_e32 v20, 3, v20
	v_cndmask_b32_e32 v0, v0, v21, vcc
	v_bfrev_b32_e32 v21, 28
	v_cndmask_b32_e32 v7, v7, v20, vcc
	v_lshlrev_b32_e32 v20, 24, v23
	v_lshl_add_u32 v0, v0, 23, v21
	v_and_or_b32 v0, v20, s96, v0
	v_lshl_or_b32 v0, v7, 21, v0
                                        ; implicit-def: $vgpr7
.LBB4_1371:                             ;   in Loop: Header=BB4_772 Depth=4
	s_andn2_saveexec_b64 s[68:69], s[68:69]
; %bb.1372:                             ;   in Loop: Header=BB4_772 Depth=4
	v_mov_b32_e32 v0, -1
	v_cmp_gt_i16_sdwa vcc, sext(v23), v0 src0_sel:BYTE_0 src1_sel:DWORD
	v_cndmask_b32_e32 v0, v6, v1, vcc
	v_cmp_eq_u32_e32 vcc, 0, v7
	v_mov_b32_e32 v7, 0x7f800001
	v_cndmask_b32_e32 v0, v7, v0, vcc
; %bb.1373:                             ;   in Loop: Header=BB4_772 Depth=4
	s_or_b64 exec, exec, s[68:69]
.LBB4_1374:                             ;   in Loop: Header=BB4_772 Depth=4
	s_or_b64 exec, exec, s[28:29]
.LBB4_1375:                             ;   in Loop: Header=BB4_772 Depth=4
	s_or_b64 exec, exec, s[30:31]
	v_cmp_ne_u16_sdwa vcc, v19, v43 src0_sel:BYTE_0 src1_sel:DWORD
	s_and_saveexec_b64 s[28:29], vcc
	s_cbranch_execz .LBB4_1383
; %bb.1376:                             ;   in Loop: Header=BB4_772 Depth=4
	v_cmp_ne_u16_sdwa vcc, v19, s97 src0_sel:BYTE_0 src1_sel:DWORD
	v_bfrev_b32_e32 v3, 1
	s_and_saveexec_b64 s[30:31], vcc
	s_cbranch_execz .LBB4_1382
; %bb.1377:                             ;   in Loop: Header=BB4_772 Depth=4
	v_and_b32_e32 v3, 0x7c, v19
	v_and_b32_e32 v7, 3, v19
	v_cmp_ne_u32_e32 vcc, s95, v3
                                        ; implicit-def: $vgpr3
	s_and_saveexec_b64 s[68:69], vcc
	s_xor_b64 s[68:69], exec, s[68:69]
	s_cbranch_execz .LBB4_1379
; %bb.1378:                             ;   in Loop: Header=BB4_772 Depth=4
	v_ffbh_u32_e32 v20, v7
	v_min_u32_e32 v26, 32, v20
	v_subrev_u32_e32 v20, 29, v26
	v_bfe_u32 v3, v19, 2, 5
	v_lshlrev_b64 v[20:21], v20, v[16:17]
	v_sub_u32_e32 v17, 30, v26
	v_and_b32_e32 v20, 3, v20
	v_cmp_eq_u32_e32 vcc, 0, v3
	v_cndmask_b32_e32 v3, v3, v17, vcc
	v_cndmask_b32_e32 v7, v7, v20, vcc
	v_bfrev_b32_e32 v20, 28
	v_lshlrev_b32_e32 v17, 24, v19
	v_lshl_add_u32 v3, v3, 23, v20
	v_and_or_b32 v3, v17, s96, v3
	v_lshl_or_b32 v3, v7, 21, v3
                                        ; implicit-def: $vgpr7
.LBB4_1379:                             ;   in Loop: Header=BB4_772 Depth=4
	s_andn2_saveexec_b64 s[68:69], s[68:69]
; %bb.1380:                             ;   in Loop: Header=BB4_772 Depth=4
	v_mov_b32_e32 v3, -1
	v_cmp_gt_i16_sdwa vcc, sext(v19), v3 src0_sel:BYTE_0 src1_sel:DWORD
	v_cndmask_b32_e32 v3, v6, v1, vcc
	v_cmp_eq_u32_e32 vcc, 0, v7
	v_mov_b32_e32 v7, 0x7f800001
	v_cndmask_b32_e32 v3, v7, v3, vcc
; %bb.1381:                             ;   in Loop: Header=BB4_772 Depth=4
	s_or_b64 exec, exec, s[68:69]
.LBB4_1382:                             ;   in Loop: Header=BB4_772 Depth=4
	s_or_b64 exec, exec, s[30:31]
.LBB4_1383:                             ;   in Loop: Header=BB4_772 Depth=4
	s_or_b64 exec, exec, s[28:29]
	v_max_f32_e32 v3, v3, v3
	v_max_f32_e32 v0, v0, v0
	v_min_f32_e32 v7, v0, v3
.LBB4_1384:                             ;   in Loop: Header=BB4_772 Depth=4
	v_and_b32_sdwa v0, v7, s97 dst_sel:DWORD dst_unused:UNUSED_PAD src0_sel:BYTE_3 src1_sel:DWORD
	v_and_b32_e32 v26, 0x7f800000, v7
	v_mov_b32_e32 v27, v43
	v_and_b32_e32 v20, 0x7fffff, v7
	v_mov_b32_e32 v21, v43
	v_or_b32_e32 v3, 0x7b, v0
	v_cmp_ne_u64_e32 vcc, s[52:53], v[26:27]
	s_and_saveexec_b64 s[28:29], vcc
	s_xor_b64 s[30:31], exec, s[28:29]
	s_cbranch_execz .LBB4_1394
; %bb.1385:                             ;   in Loop: Header=BB4_772 Depth=4
	v_and_b32_e32 v26, 0x7fffffff, v7
	v_mov_b32_e32 v27, v43
	v_cmp_gt_u64_e32 vcc, s[54:55], v[26:27]
	s_and_saveexec_b64 s[68:69], vcc
	s_cbranch_execz .LBB4_1393
; %bb.1386:                             ;   in Loop: Header=BB4_772 Depth=4
	v_cmp_ne_u32_e32 vcc, 0, v7
	v_mov_b32_e32 v3, 0
	s_and_saveexec_b64 s[70:71], vcc
	s_cbranch_execz .LBB4_1392
; %bb.1387:                             ;   in Loop: Header=BB4_772 Depth=4
	v_bfe_u32 v3, v7, 23, 8
	v_sub_u32_e32 v17, 0x71, v3
	v_cmp_gt_u32_e32 vcc, s38, v3
	v_add_u32_e32 v7, 0xffffff81, v3
	v_cndmask_b32_e32 v17, 0, v17, vcc
	v_cmp_eq_u32_e32 vcc, 0, v3
	v_mov_b32_e32 v3, 0xffffff82
	v_cndmask_b32_e32 v3, v7, v3, vcc
	v_mov_b32_e32 v7, 0x70
	v_cndmask_b32_e32 v7, v17, v7, vcc
	v_or_b32_e32 v26, 0x800000, v20
	v_add_u32_e32 v17, 21, v7
	v_cndmask_b32_e32 v20, v26, v20, vcc
	v_lshlrev_b64 v[26:27], v17, -1
	v_not_b32_e32 v17, v27
	v_not_b32_e32 v26, v26
	v_and_b32_e32 v27, 0, v17
	v_and_b32_e32 v26, v20, v26
	v_add_u32_e32 v17, 20, v7
	v_lshrrev_b64 v[20:21], v7, v[20:21]
	v_lshlrev_b64 v[36:37], v17, 1
	v_lshrrev_b32_e32 v17, 23, v20
	v_add3_u32 v17, v7, v3, v17
	v_bfe_u32 v3, v20, 21, 1
	v_add_u32_e32 v3, -1, v3
	v_cmp_eq_u64_e32 vcc, v[26:27], v[36:37]
	v_cndmask_b32_e32 v3, 0, v3, vcc
	v_add_u32_e32 v3, v3, v20
	v_and_b32_e32 v3, 0x1fffff, v3
	v_add_co_u32_e32 v20, vcc, v3, v20
	v_add_u32_e32 v7, 14, v17
	v_addc_co_u32_e32 v21, vcc, 0, v21, vcc
	v_cmp_ne_u32_e32 vcc, 0, v7
                                        ; implicit-def: $vgpr3
	s_and_saveexec_b64 s[28:29], vcc
	s_xor_b64 s[28:29], exec, s[28:29]
; %bb.1388:                             ;   in Loop: Header=BB4_772 Depth=4
	v_add_u32_e32 v3, 15, v17
	v_cmp_lt_u64_e32 vcc, s[56:57], v[20:21]
	v_cndmask_b32_e32 v3, v7, v3, vcc
	v_cndmask_b32_e64 v7, 0, 1, vcc
	v_lshrrev_b64 v[20:21], v7, v[20:21]
; %bb.1389:                             ;   in Loop: Header=BB4_772 Depth=4
	s_andn2_saveexec_b64 s[28:29], s[28:29]
; %bb.1390:                             ;   in Loop: Header=BB4_772 Depth=4
	v_bfe_u32 v3, v20, 23, 1
; %bb.1391:                             ;   in Loop: Header=BB4_772 Depth=4
	s_or_b64 exec, exec, s[28:29]
	v_lshrrev_b64 v[20:21], 21, v[20:21]
	v_cmp_gt_i32_e32 vcc, 32, v3
	v_cndmask_b32_e32 v21, 0, v21, vcc
	v_cndmask_b32_e32 v20, 3, v20, vcc
	v_cmp_eq_u32_e32 vcc, 0, v3
	v_min_i32_e32 v3, 31, v3
	v_cmp_eq_u64_e64 s[28:29], 0, v[20:21]
	v_lshlrev_b32_e32 v3, 2, v3
	v_and_or_b32 v3, v20, 3, v3
	s_and_b64 s[28:29], vcc, s[28:29]
	v_cndmask_b32_e64 v3, v3, 0, s[28:29]
	v_or_b32_e32 v3, v3, v0
.LBB4_1392:                             ;   in Loop: Header=BB4_772 Depth=4
	s_or_b64 exec, exec, s[70:71]
.LBB4_1393:                             ;   in Loop: Header=BB4_772 Depth=4
	s_or_b64 exec, exec, s[68:69]
                                        ; implicit-def: $vgpr7
                                        ; implicit-def: $vgpr20_vgpr21
.LBB4_1394:                             ;   in Loop: Header=BB4_772 Depth=4
	s_andn2_saveexec_b64 s[28:29], s[30:31]
; %bb.1395:                             ;   in Loop: Header=BB4_772 Depth=4
	v_or_b32_sdwa v0, v7, s39 dst_sel:DWORD dst_unused:UNUSED_PAD src0_sel:BYTE_3 src1_sel:DWORD
	v_cmp_eq_u64_e32 vcc, 0, v[20:21]
	v_cndmask_b32_e32 v3, v0, v3, vcc
; %bb.1396:                             ;   in Loop: Header=BB4_772 Depth=4
	s_or_b64 exec, exec, s[28:29]
	v_lshrrev_b16_e32 v26, 8, v42
	v_lshrrev_b16_e32 v20, 8, v16
	v_cmp_ne_u16_e64 s[28:29], 0, v26
	s_and_b64 vcc, exec, s[66:67]
	s_cbranch_vccz .LBB4_1414
; %bb.1397:                             ;   in Loop: Header=BB4_772 Depth=4
	v_mov_b32_e32 v7, 0
	v_mov_b32_e32 v0, 0
	s_and_saveexec_b64 s[30:31], s[28:29]
	s_cbranch_execz .LBB4_1405
; %bb.1398:                             ;   in Loop: Header=BB4_772 Depth=4
	v_cmp_ne_u16_e32 vcc, s97, v26
	v_bfrev_b32_e32 v0, 1
	s_and_saveexec_b64 s[68:69], vcc
	s_cbranch_execz .LBB4_1404
; %bb.1399:                             ;   in Loop: Header=BB4_772 Depth=4
	v_and_b32_e32 v0, 0x7c, v26
	v_and_b32_e32 v17, 3, v26
	v_cmp_ne_u32_e32 vcc, s95, v0
                                        ; implicit-def: $vgpr0
	s_and_saveexec_b64 s[70:71], vcc
	s_xor_b64 s[70:71], exec, s[70:71]
	s_cbranch_execz .LBB4_1401
; %bb.1400:                             ;   in Loop: Header=BB4_772 Depth=4
	v_ffbh_u32_e32 v21, v17
	v_min_u32_e32 v21, 32, v21
	v_mov_b32_e32 v27, v43
	v_subrev_u32_e32 v30, 29, v21
	v_bfe_u32 v0, v26, 2, 5
	v_lshlrev_b64 v[36:37], v30, v[26:27]
	v_sub_u32_e32 v21, 30, v21
	v_and_b32_e32 v27, 3, v36
	v_cmp_eq_u32_e32 vcc, 0, v0
	v_cndmask_b32_e32 v0, v0, v21, vcc
	v_cndmask_b32_e32 v17, v17, v27, vcc
	v_bfrev_b32_e32 v27, 28
	v_lshlrev_b32_e32 v21, 16, v42
	v_lshl_add_u32 v0, v0, 23, v27
	v_and_or_b32 v0, v21, s96, v0
	v_lshl_or_b32 v0, v17, 21, v0
                                        ; implicit-def: $vgpr17
.LBB4_1401:                             ;   in Loop: Header=BB4_772 Depth=4
	s_andn2_saveexec_b64 s[70:71], s[70:71]
; %bb.1402:                             ;   in Loop: Header=BB4_772 Depth=4
	v_cmp_lt_i16_e32 vcc, -1, v42
	v_cndmask_b32_e32 v0, v6, v1, vcc
	v_cmp_eq_u32_e32 vcc, 0, v17
	v_mov_b32_e32 v17, 0x7f800001
	v_cndmask_b32_e32 v0, v17, v0, vcc
; %bb.1403:                             ;   in Loop: Header=BB4_772 Depth=4
	s_or_b64 exec, exec, s[70:71]
.LBB4_1404:                             ;   in Loop: Header=BB4_772 Depth=4
	s_or_b64 exec, exec, s[68:69]
.LBB4_1405:                             ;   in Loop: Header=BB4_772 Depth=4
	s_or_b64 exec, exec, s[30:31]
	v_cmp_ne_u16_e32 vcc, 0, v20
	s_and_saveexec_b64 s[30:31], vcc
	s_cbranch_execz .LBB4_1413
; %bb.1406:                             ;   in Loop: Header=BB4_772 Depth=4
	v_cmp_ne_u16_e32 vcc, s97, v20
	v_bfrev_b32_e32 v7, 1
	s_and_saveexec_b64 s[68:69], vcc
	s_cbranch_execz .LBB4_1412
; %bb.1407:                             ;   in Loop: Header=BB4_772 Depth=4
	v_and_b32_e32 v7, 0x7c, v20
	v_and_b32_e32 v17, 3, v20
	v_cmp_ne_u32_e32 vcc, s95, v7
                                        ; implicit-def: $vgpr7
	s_and_saveexec_b64 s[70:71], vcc
	s_xor_b64 s[70:71], exec, s[70:71]
	s_cbranch_execz .LBB4_1409
; %bb.1408:                             ;   in Loop: Header=BB4_772 Depth=4
	v_ffbh_u32_e32 v27, v17
	v_min_u32_e32 v27, 32, v27
	v_mov_b32_e32 v21, v43
	v_subrev_u32_e32 v30, 29, v27
	v_bfe_u32 v7, v20, 2, 5
	v_lshlrev_b64 v[36:37], v30, v[20:21]
	v_sub_u32_e32 v21, 30, v27
	v_and_b32_e32 v27, 3, v36
	v_cmp_eq_u32_e32 vcc, 0, v7
	v_cndmask_b32_e32 v7, v7, v21, vcc
	v_cndmask_b32_e32 v17, v17, v27, vcc
	v_bfrev_b32_e32 v27, 28
	v_lshlrev_b32_e32 v21, 16, v16
	v_lshl_add_u32 v7, v7, 23, v27
	v_and_or_b32 v7, v21, s96, v7
	v_lshl_or_b32 v7, v17, 21, v7
                                        ; implicit-def: $vgpr17
.LBB4_1409:                             ;   in Loop: Header=BB4_772 Depth=4
	s_andn2_saveexec_b64 s[70:71], s[70:71]
; %bb.1410:                             ;   in Loop: Header=BB4_772 Depth=4
	v_cmp_lt_i16_e32 vcc, -1, v16
	v_cndmask_b32_e32 v7, v6, v1, vcc
	v_cmp_eq_u32_e32 vcc, 0, v17
	v_mov_b32_e32 v17, 0x7f800001
	v_cndmask_b32_e32 v7, v17, v7, vcc
; %bb.1411:                             ;   in Loop: Header=BB4_772 Depth=4
	s_or_b64 exec, exec, s[70:71]
.LBB4_1412:                             ;   in Loop: Header=BB4_772 Depth=4
	s_or_b64 exec, exec, s[68:69]
.LBB4_1413:                             ;   in Loop: Header=BB4_772 Depth=4
	s_or_b64 exec, exec, s[30:31]
	v_max_f32_e32 v7, v7, v7
	v_max_f32_e32 v0, v0, v0
	;; [unrolled: 1-line block ×3, first 2 shown]
	s_branch .LBB4_1432
.LBB4_1414:                             ;   in Loop: Header=BB4_772 Depth=4
                                        ; implicit-def: $vgpr7
	s_cbranch_execz .LBB4_1432
; %bb.1415:                             ;   in Loop: Header=BB4_772 Depth=4
	v_mov_b32_e32 v7, 0
	v_mov_b32_e32 v0, 0
	s_and_saveexec_b64 s[30:31], s[28:29]
	s_cbranch_execz .LBB4_1423
; %bb.1416:                             ;   in Loop: Header=BB4_772 Depth=4
	v_cmp_ne_u16_e32 vcc, s97, v26
	v_bfrev_b32_e32 v0, 1
	s_and_saveexec_b64 s[28:29], vcc
	s_cbranch_execz .LBB4_1422
; %bb.1417:                             ;   in Loop: Header=BB4_772 Depth=4
	v_and_b32_e32 v0, 0x7c, v26
	v_and_b32_e32 v17, 3, v26
	v_cmp_ne_u32_e32 vcc, s95, v0
                                        ; implicit-def: $vgpr0
	s_and_saveexec_b64 s[68:69], vcc
	s_xor_b64 s[68:69], exec, s[68:69]
	s_cbranch_execz .LBB4_1419
; %bb.1418:                             ;   in Loop: Header=BB4_772 Depth=4
	v_ffbh_u32_e32 v21, v17
	v_min_u32_e32 v21, 32, v21
	v_mov_b32_e32 v27, v43
	v_subrev_u32_e32 v30, 29, v21
	v_bfe_u32 v0, v26, 2, 5
	v_lshlrev_b64 v[26:27], v30, v[26:27]
	v_sub_u32_e32 v21, 30, v21
	v_and_b32_e32 v26, 3, v26
	v_cmp_eq_u32_e32 vcc, 0, v0
	v_cndmask_b32_e32 v0, v0, v21, vcc
	v_cndmask_b32_e32 v17, v17, v26, vcc
	v_bfrev_b32_e32 v26, 28
	v_lshlrev_b32_e32 v21, 16, v42
	v_lshl_add_u32 v0, v0, 23, v26
	v_and_or_b32 v0, v21, s96, v0
	v_lshl_or_b32 v0, v17, 21, v0
                                        ; implicit-def: $vgpr17
.LBB4_1419:                             ;   in Loop: Header=BB4_772 Depth=4
	s_andn2_saveexec_b64 s[68:69], s[68:69]
; %bb.1420:                             ;   in Loop: Header=BB4_772 Depth=4
	v_cmp_lt_i16_e32 vcc, -1, v42
	v_cndmask_b32_e32 v0, v6, v1, vcc
	v_cmp_eq_u32_e32 vcc, 0, v17
	v_mov_b32_e32 v17, 0x7f800001
	v_cndmask_b32_e32 v0, v17, v0, vcc
; %bb.1421:                             ;   in Loop: Header=BB4_772 Depth=4
	s_or_b64 exec, exec, s[68:69]
.LBB4_1422:                             ;   in Loop: Header=BB4_772 Depth=4
	s_or_b64 exec, exec, s[28:29]
.LBB4_1423:                             ;   in Loop: Header=BB4_772 Depth=4
	s_or_b64 exec, exec, s[30:31]
	v_cmp_ne_u16_e32 vcc, 0, v20
	s_and_saveexec_b64 s[28:29], vcc
	s_cbranch_execz .LBB4_1431
; %bb.1424:                             ;   in Loop: Header=BB4_772 Depth=4
	v_cmp_ne_u16_e32 vcc, s97, v20
	v_bfrev_b32_e32 v7, 1
	s_and_saveexec_b64 s[30:31], vcc
	s_cbranch_execz .LBB4_1430
; %bb.1425:                             ;   in Loop: Header=BB4_772 Depth=4
	v_and_b32_e32 v7, 0x7c, v20
	v_and_b32_e32 v26, 3, v20
	v_cmp_ne_u32_e32 vcc, s95, v7
                                        ; implicit-def: $vgpr7
	s_and_saveexec_b64 s[68:69], vcc
	s_xor_b64 s[68:69], exec, s[68:69]
	s_cbranch_execz .LBB4_1427
; %bb.1426:                             ;   in Loop: Header=BB4_772 Depth=4
	v_ffbh_u32_e32 v17, v26
	v_min_u32_e32 v17, 32, v17
	v_mov_b32_e32 v21, v43
	v_subrev_u32_e32 v27, 29, v17
	v_bfe_u32 v7, v20, 2, 5
	v_lshlrev_b64 v[20:21], v27, v[20:21]
	v_sub_u32_e32 v17, 30, v17
	v_and_b32_e32 v20, 3, v20
	v_cmp_eq_u32_e32 vcc, 0, v7
	v_cndmask_b32_e32 v7, v7, v17, vcc
	v_cndmask_b32_e32 v17, v26, v20, vcc
	v_bfrev_b32_e32 v20, 28
	v_lshlrev_b32_e32 v16, 16, v16
	v_lshl_add_u32 v7, v7, 23, v20
	v_and_or_b32 v7, v16, s96, v7
	v_lshl_or_b32 v7, v17, 21, v7
                                        ; implicit-def: $vgpr26
                                        ; implicit-def: $vgpr16_vgpr17
.LBB4_1427:                             ;   in Loop: Header=BB4_772 Depth=4
	s_andn2_saveexec_b64 s[68:69], s[68:69]
; %bb.1428:                             ;   in Loop: Header=BB4_772 Depth=4
	v_cmp_lt_i16_e32 vcc, -1, v16
	v_cndmask_b32_e32 v7, v6, v1, vcc
	v_cmp_eq_u32_e32 vcc, 0, v26
	v_mov_b32_e32 v16, 0x7f800001
	v_cndmask_b32_e32 v7, v16, v7, vcc
; %bb.1429:                             ;   in Loop: Header=BB4_772 Depth=4
	s_or_b64 exec, exec, s[68:69]
.LBB4_1430:                             ;   in Loop: Header=BB4_772 Depth=4
	s_or_b64 exec, exec, s[30:31]
.LBB4_1431:                             ;   in Loop: Header=BB4_772 Depth=4
	s_or_b64 exec, exec, s[28:29]
	v_max_f32_e32 v7, v7, v7
	v_max_f32_e32 v0, v0, v0
	v_min_f32_e32 v7, v0, v7
.LBB4_1432:                             ;   in Loop: Header=BB4_772 Depth=4
	v_and_b32_sdwa v0, v7, s97 dst_sel:DWORD dst_unused:UNUSED_PAD src0_sel:BYTE_3 src1_sel:DWORD
	v_and_b32_e32 v16, 0x7f800000, v7
	v_mov_b32_e32 v17, v43
	v_and_b32_e32 v42, 0x7fffff, v7
	v_or_b32_e32 v26, 0x7b, v0
	v_cmp_ne_u64_e32 vcc, s[52:53], v[16:17]
	s_and_saveexec_b64 s[28:29], vcc
	s_xor_b64 s[30:31], exec, s[28:29]
	s_cbranch_execz .LBB4_1442
; %bb.1433:                             ;   in Loop: Header=BB4_772 Depth=4
	v_and_b32_e32 v16, 0x7fffffff, v7
	v_mov_b32_e32 v17, v43
	v_cmp_gt_u64_e32 vcc, s[54:55], v[16:17]
	s_and_saveexec_b64 s[68:69], vcc
	s_cbranch_execz .LBB4_1441
; %bb.1434:                             ;   in Loop: Header=BB4_772 Depth=4
	v_cmp_ne_u32_e32 vcc, 0, v7
	v_mov_b32_e32 v26, 0
	s_and_saveexec_b64 s[70:71], vcc
	s_cbranch_execz .LBB4_1440
; %bb.1435:                             ;   in Loop: Header=BB4_772 Depth=4
	v_bfe_u32 v7, v7, 23, 8
	v_sub_u32_e32 v17, 0x71, v7
	v_cmp_gt_u32_e32 vcc, s38, v7
	v_add_u32_e32 v16, 0xffffff81, v7
	v_cndmask_b32_e32 v17, 0, v17, vcc
	v_cmp_eq_u32_e32 vcc, 0, v7
	v_mov_b32_e32 v7, 0xffffff82
	v_cndmask_b32_e32 v7, v16, v7, vcc
	v_mov_b32_e32 v16, 0x70
	v_or_b32_e32 v20, 0x800000, v42
	v_cndmask_b32_e32 v21, v17, v16, vcc
	v_cndmask_b32_e32 v42, v20, v42, vcc
	v_add_u32_e32 v16, 21, v21
	v_lshlrev_b64 v[16:17], v16, -1
	v_add_u32_e32 v20, 20, v21
	v_lshrrev_b64 v[36:37], v21, v[42:43]
	v_not_b32_e32 v17, v17
	v_not_b32_e32 v16, v16
	v_lshlrev_b64 v[26:27], v20, 1
	v_lshrrev_b32_e32 v20, 23, v36
	v_and_b32_e32 v17, 0, v17
	v_and_b32_e32 v16, v42, v16
	v_add3_u32 v21, v21, v7, v20
	v_bfe_u32 v7, v36, 21, 1
	v_add_u32_e32 v7, -1, v7
	v_cmp_eq_u64_e32 vcc, v[16:17], v[26:27]
	v_cndmask_b32_e32 v7, 0, v7, vcc
	v_add_u32_e32 v7, v7, v36
	v_and_b32_e32 v7, 0x1fffff, v7
	v_add_co_u32_e32 v16, vcc, v7, v36
	v_add_u32_e32 v20, 14, v21
	v_addc_co_u32_e32 v17, vcc, 0, v37, vcc
	v_cmp_ne_u32_e32 vcc, 0, v20
                                        ; implicit-def: $vgpr7
	s_and_saveexec_b64 s[28:29], vcc
	s_xor_b64 s[28:29], exec, s[28:29]
; %bb.1436:                             ;   in Loop: Header=BB4_772 Depth=4
	v_add_u32_e32 v7, 15, v21
	v_cmp_lt_u64_e32 vcc, s[56:57], v[16:17]
	v_cndmask_b32_e32 v7, v20, v7, vcc
	v_cndmask_b32_e64 v20, 0, 1, vcc
	v_lshrrev_b64 v[16:17], v20, v[16:17]
; %bb.1437:                             ;   in Loop: Header=BB4_772 Depth=4
	s_andn2_saveexec_b64 s[28:29], s[28:29]
; %bb.1438:                             ;   in Loop: Header=BB4_772 Depth=4
	v_bfe_u32 v7, v16, 23, 1
; %bb.1439:                             ;   in Loop: Header=BB4_772 Depth=4
	s_or_b64 exec, exec, s[28:29]
	v_lshrrev_b64 v[16:17], 21, v[16:17]
	v_cmp_gt_i32_e32 vcc, 32, v7
	v_cndmask_b32_e32 v17, 0, v17, vcc
	v_cndmask_b32_e32 v16, 3, v16, vcc
	v_cmp_eq_u32_e32 vcc, 0, v7
	v_min_i32_e32 v7, 31, v7
	v_cmp_eq_u64_e64 s[28:29], 0, v[16:17]
	v_lshlrev_b32_e32 v7, 2, v7
	v_and_or_b32 v7, v16, 3, v7
	s_and_b64 s[28:29], vcc, s[28:29]
	v_cndmask_b32_e64 v7, v7, 0, s[28:29]
	v_or_b32_e32 v26, v7, v0
.LBB4_1440:                             ;   in Loop: Header=BB4_772 Depth=4
	s_or_b64 exec, exec, s[70:71]
.LBB4_1441:                             ;   in Loop: Header=BB4_772 Depth=4
	s_or_b64 exec, exec, s[68:69]
                                        ; implicit-def: $vgpr7
.LBB4_1442:                             ;   in Loop: Header=BB4_772 Depth=4
	s_andn2_saveexec_b64 s[28:29], s[30:31]
; %bb.1443:                             ;   in Loop: Header=BB4_772 Depth=4
	v_or_b32_sdwa v0, v7, s39 dst_sel:DWORD dst_unused:UNUSED_PAD src0_sel:BYTE_3 src1_sel:DWORD
	v_cmp_eq_u64_e32 vcc, 0, v[42:43]
	v_cndmask_b32_e32 v26, v0, v26, vcc
; %bb.1444:                             ;   in Loop: Header=BB4_772 Depth=4
	s_or_b64 exec, exec, s[28:29]
	v_lshrrev_b32_e32 v20, 16, v23
	v_lshrrev_b32_e32 v16, 16, v19
	v_cmp_ne_u16_sdwa s[28:29], v20, v43 src0_sel:BYTE_0 src1_sel:DWORD
	s_and_b64 vcc, exec, s[66:67]
	s_cbranch_vccz .LBB4_1462
; %bb.1445:                             ;   in Loop: Header=BB4_772 Depth=4
	v_mov_b32_e32 v7, 0
	v_mov_b32_e32 v0, 0
	s_and_saveexec_b64 s[30:31], s[28:29]
	s_cbranch_execz .LBB4_1453
; %bb.1446:                             ;   in Loop: Header=BB4_772 Depth=4
	v_cmp_ne_u16_sdwa vcc, v20, s97 src0_sel:BYTE_0 src1_sel:DWORD
	v_bfrev_b32_e32 v0, 1
	s_and_saveexec_b64 s[68:69], vcc
	s_cbranch_execz .LBB4_1452
; %bb.1447:                             ;   in Loop: Header=BB4_772 Depth=4
	v_and_b32_e32 v0, 0x7c0000, v23
	v_bfe_u32 v17, v23, 16, 2
	v_cmp_ne_u32_e32 vcc, s36, v0
                                        ; implicit-def: $vgpr0
	s_and_saveexec_b64 s[70:71], vcc
	s_xor_b64 s[70:71], exec, s[70:71]
	s_cbranch_execz .LBB4_1449
; %bb.1448:                             ;   in Loop: Header=BB4_772 Depth=4
	v_ffbh_u32_e32 v21, v17
	v_min_u32_e32 v21, 32, v21
	v_subrev_u32_e32 v27, 29, v21
	v_bfe_u32 v0, v23, 18, 5
	v_lshlrev_b64 v[36:37], v27, v[20:21]
	v_sub_u32_e32 v21, 30, v21
	v_and_b32_e32 v27, 3, v36
	v_cmp_eq_u32_e32 vcc, 0, v0
	v_cndmask_b32_e32 v0, v0, v21, vcc
	v_cndmask_b32_e32 v17, v17, v27, vcc
	v_bfrev_b32_e32 v27, 28
	v_lshlrev_b32_e32 v21, 24, v20
	v_lshl_add_u32 v0, v0, 23, v27
	v_and_or_b32 v0, v21, s96, v0
	v_lshl_or_b32 v0, v17, 21, v0
                                        ; implicit-def: $vgpr17
.LBB4_1449:                             ;   in Loop: Header=BB4_772 Depth=4
	s_andn2_saveexec_b64 s[70:71], s[70:71]
; %bb.1450:                             ;   in Loop: Header=BB4_772 Depth=4
	v_mov_b32_e32 v0, -1
	v_cmp_gt_i16_sdwa vcc, sext(v20), v0 src0_sel:BYTE_0 src1_sel:DWORD
	v_cndmask_b32_e32 v0, v6, v1, vcc
	v_cmp_eq_u32_e32 vcc, 0, v17
	v_mov_b32_e32 v17, 0x7f800001
	v_cndmask_b32_e32 v0, v17, v0, vcc
; %bb.1451:                             ;   in Loop: Header=BB4_772 Depth=4
	s_or_b64 exec, exec, s[70:71]
.LBB4_1452:                             ;   in Loop: Header=BB4_772 Depth=4
	s_or_b64 exec, exec, s[68:69]
.LBB4_1453:                             ;   in Loop: Header=BB4_772 Depth=4
	s_or_b64 exec, exec, s[30:31]
	v_cmp_ne_u16_sdwa vcc, v16, v43 src0_sel:BYTE_0 src1_sel:DWORD
	s_and_saveexec_b64 s[30:31], vcc
	s_cbranch_execz .LBB4_1461
; %bb.1454:                             ;   in Loop: Header=BB4_772 Depth=4
	v_cmp_ne_u16_sdwa vcc, v16, s97 src0_sel:BYTE_0 src1_sel:DWORD
	v_bfrev_b32_e32 v7, 1
	s_and_saveexec_b64 s[68:69], vcc
	s_cbranch_execz .LBB4_1460
; %bb.1455:                             ;   in Loop: Header=BB4_772 Depth=4
	v_and_b32_e32 v7, 0x7c0000, v19
	v_bfe_u32 v17, v19, 16, 2
	v_cmp_ne_u32_e32 vcc, s36, v7
                                        ; implicit-def: $vgpr7
	s_and_saveexec_b64 s[70:71], vcc
	s_xor_b64 s[70:71], exec, s[70:71]
	s_cbranch_execz .LBB4_1457
; %bb.1456:                             ;   in Loop: Header=BB4_772 Depth=4
	v_ffbh_u32_e32 v21, v17
	v_min_u32_e32 v21, 32, v21
	v_subrev_u32_e32 v27, 29, v21
	v_bfe_u32 v7, v19, 18, 5
	v_lshlrev_b64 v[36:37], v27, v[16:17]
	v_sub_u32_e32 v21, 30, v21
	v_and_b32_e32 v27, 3, v36
	v_cmp_eq_u32_e32 vcc, 0, v7
	v_cndmask_b32_e32 v7, v7, v21, vcc
	v_cndmask_b32_e32 v17, v17, v27, vcc
	v_bfrev_b32_e32 v27, 28
	v_lshlrev_b32_e32 v21, 24, v16
	v_lshl_add_u32 v7, v7, 23, v27
	v_and_or_b32 v7, v21, s96, v7
	v_lshl_or_b32 v7, v17, 21, v7
                                        ; implicit-def: $vgpr17
.LBB4_1457:                             ;   in Loop: Header=BB4_772 Depth=4
	s_andn2_saveexec_b64 s[70:71], s[70:71]
; %bb.1458:                             ;   in Loop: Header=BB4_772 Depth=4
	v_mov_b32_e32 v7, -1
	v_cmp_gt_i16_sdwa vcc, sext(v16), v7 src0_sel:BYTE_0 src1_sel:DWORD
	v_cndmask_b32_e32 v7, v6, v1, vcc
	v_cmp_eq_u32_e32 vcc, 0, v17
	v_mov_b32_e32 v17, 0x7f800001
	v_cndmask_b32_e32 v7, v17, v7, vcc
; %bb.1459:                             ;   in Loop: Header=BB4_772 Depth=4
	s_or_b64 exec, exec, s[70:71]
.LBB4_1460:                             ;   in Loop: Header=BB4_772 Depth=4
	s_or_b64 exec, exec, s[68:69]
.LBB4_1461:                             ;   in Loop: Header=BB4_772 Depth=4
	s_or_b64 exec, exec, s[30:31]
	v_max_f32_e32 v7, v7, v7
	v_max_f32_e32 v0, v0, v0
	;; [unrolled: 1-line block ×3, first 2 shown]
	s_branch .LBB4_1480
.LBB4_1462:                             ;   in Loop: Header=BB4_772 Depth=4
                                        ; implicit-def: $vgpr7
	s_cbranch_execz .LBB4_1480
; %bb.1463:                             ;   in Loop: Header=BB4_772 Depth=4
	v_mov_b32_e32 v7, 0
	v_mov_b32_e32 v0, 0
	s_and_saveexec_b64 s[30:31], s[28:29]
	s_cbranch_execz .LBB4_1471
; %bb.1464:                             ;   in Loop: Header=BB4_772 Depth=4
	v_cmp_ne_u16_sdwa vcc, v20, s97 src0_sel:BYTE_0 src1_sel:DWORD
	v_bfrev_b32_e32 v0, 1
	s_and_saveexec_b64 s[28:29], vcc
	s_cbranch_execz .LBB4_1470
; %bb.1465:                             ;   in Loop: Header=BB4_772 Depth=4
	v_and_b32_e32 v0, 0x7c0000, v23
	v_bfe_u32 v17, v23, 16, 2
	v_cmp_ne_u32_e32 vcc, s36, v0
                                        ; implicit-def: $vgpr0
	s_and_saveexec_b64 s[68:69], vcc
	s_xor_b64 s[68:69], exec, s[68:69]
	s_cbranch_execz .LBB4_1467
; %bb.1466:                             ;   in Loop: Header=BB4_772 Depth=4
	v_ffbh_u32_e32 v21, v17
	v_min_u32_e32 v21, 32, v21
	v_bfe_u32 v0, v23, 18, 5
	v_subrev_u32_e32 v27, 29, v21
	v_lshlrev_b64 v[36:37], v27, v[20:21]
	v_sub_u32_e32 v21, 30, v21
	v_cmp_eq_u32_e32 vcc, 0, v0
	v_cndmask_b32_e32 v0, v0, v21, vcc
	v_bfrev_b32_e32 v21, 28
	v_and_b32_e32 v27, 3, v36
	v_lshlrev_b32_e32 v20, 24, v20
	v_lshl_add_u32 v0, v0, 23, v21
	v_cndmask_b32_e32 v17, v17, v27, vcc
	v_and_or_b32 v0, v20, s96, v0
	v_lshl_or_b32 v0, v17, 21, v0
                                        ; implicit-def: $vgpr17
                                        ; implicit-def: $vgpr20
.LBB4_1467:                             ;   in Loop: Header=BB4_772 Depth=4
	s_andn2_saveexec_b64 s[68:69], s[68:69]
; %bb.1468:                             ;   in Loop: Header=BB4_772 Depth=4
	v_mov_b32_e32 v0, -1
	v_cmp_gt_i16_sdwa vcc, sext(v20), v0 src0_sel:BYTE_0 src1_sel:DWORD
	v_cndmask_b32_e32 v0, v6, v1, vcc
	v_cmp_eq_u32_e32 vcc, 0, v17
	v_mov_b32_e32 v17, 0x7f800001
	v_cndmask_b32_e32 v0, v17, v0, vcc
; %bb.1469:                             ;   in Loop: Header=BB4_772 Depth=4
	s_or_b64 exec, exec, s[68:69]
.LBB4_1470:                             ;   in Loop: Header=BB4_772 Depth=4
	s_or_b64 exec, exec, s[28:29]
.LBB4_1471:                             ;   in Loop: Header=BB4_772 Depth=4
	s_or_b64 exec, exec, s[30:31]
	v_cmp_ne_u16_sdwa vcc, v16, v43 src0_sel:BYTE_0 src1_sel:DWORD
	s_and_saveexec_b64 s[28:29], vcc
	s_cbranch_execz .LBB4_1479
; %bb.1472:                             ;   in Loop: Header=BB4_772 Depth=4
	v_cmp_ne_u16_sdwa vcc, v16, s97 src0_sel:BYTE_0 src1_sel:DWORD
	v_bfrev_b32_e32 v7, 1
	s_and_saveexec_b64 s[30:31], vcc
	s_cbranch_execz .LBB4_1478
; %bb.1473:                             ;   in Loop: Header=BB4_772 Depth=4
	v_and_b32_e32 v7, 0x7c0000, v19
	v_bfe_u32 v17, v19, 16, 2
	v_cmp_ne_u32_e32 vcc, s36, v7
                                        ; implicit-def: $vgpr7
	s_and_saveexec_b64 s[68:69], vcc
	s_xor_b64 s[68:69], exec, s[68:69]
	s_cbranch_execz .LBB4_1475
; %bb.1474:                             ;   in Loop: Header=BB4_772 Depth=4
	v_ffbh_u32_e32 v20, v17
	v_min_u32_e32 v27, 32, v20
	v_subrev_u32_e32 v20, 29, v27
	v_bfe_u32 v7, v19, 18, 5
	v_lshlrev_b64 v[20:21], v20, v[16:17]
	v_sub_u32_e32 v21, 30, v27
	v_and_b32_e32 v20, 3, v20
	v_cmp_eq_u32_e32 vcc, 0, v7
	v_cndmask_b32_e32 v7, v7, v21, vcc
	v_cndmask_b32_e32 v17, v17, v20, vcc
	v_bfrev_b32_e32 v20, 28
	v_lshlrev_b32_e32 v16, 24, v16
	v_lshl_add_u32 v7, v7, 23, v20
	v_and_or_b32 v7, v16, s96, v7
	v_lshl_or_b32 v7, v17, 21, v7
                                        ; implicit-def: $vgpr17
                                        ; implicit-def: $vgpr16
.LBB4_1475:                             ;   in Loop: Header=BB4_772 Depth=4
	s_andn2_saveexec_b64 s[68:69], s[68:69]
; %bb.1476:                             ;   in Loop: Header=BB4_772 Depth=4
	v_mov_b32_e32 v7, -1
	v_cmp_gt_i16_sdwa vcc, sext(v16), v7 src0_sel:BYTE_0 src1_sel:DWORD
	v_cndmask_b32_e32 v7, v6, v1, vcc
	v_cmp_eq_u32_e32 vcc, 0, v17
	v_mov_b32_e32 v16, 0x7f800001
	v_cndmask_b32_e32 v7, v16, v7, vcc
; %bb.1477:                             ;   in Loop: Header=BB4_772 Depth=4
	s_or_b64 exec, exec, s[68:69]
.LBB4_1478:                             ;   in Loop: Header=BB4_772 Depth=4
	s_or_b64 exec, exec, s[30:31]
.LBB4_1479:                             ;   in Loop: Header=BB4_772 Depth=4
	s_or_b64 exec, exec, s[28:29]
	v_max_f32_e32 v7, v7, v7
	v_max_f32_e32 v0, v0, v0
	v_min_f32_e32 v7, v0, v7
.LBB4_1480:                             ;   in Loop: Header=BB4_772 Depth=4
	v_and_b32_sdwa v0, v7, s97 dst_sel:DWORD dst_unused:UNUSED_PAD src0_sel:BYTE_3 src1_sel:DWORD
	v_and_b32_e32 v16, 0x7f800000, v7
	v_mov_b32_e32 v17, v43
	v_and_b32_e32 v42, 0x7fffff, v7
	v_or_b32_e32 v27, 0x7b, v0
	v_cmp_ne_u64_e32 vcc, s[52:53], v[16:17]
	s_and_saveexec_b64 s[28:29], vcc
	s_xor_b64 s[30:31], exec, s[28:29]
	s_cbranch_execz .LBB4_1490
; %bb.1481:                             ;   in Loop: Header=BB4_772 Depth=4
	v_and_b32_e32 v16, 0x7fffffff, v7
	v_mov_b32_e32 v17, v43
	v_cmp_gt_u64_e32 vcc, s[54:55], v[16:17]
	s_and_saveexec_b64 s[68:69], vcc
	s_cbranch_execz .LBB4_1489
; %bb.1482:                             ;   in Loop: Header=BB4_772 Depth=4
	v_cmp_ne_u32_e32 vcc, 0, v7
	v_mov_b32_e32 v27, 0
	s_and_saveexec_b64 s[70:71], vcc
	s_cbranch_execz .LBB4_1488
; %bb.1483:                             ;   in Loop: Header=BB4_772 Depth=4
	v_bfe_u32 v7, v7, 23, 8
	v_sub_u32_e32 v17, 0x71, v7
	v_cmp_gt_u32_e32 vcc, s38, v7
	v_add_u32_e32 v16, 0xffffff81, v7
	v_cndmask_b32_e32 v17, 0, v17, vcc
	v_cmp_eq_u32_e32 vcc, 0, v7
	v_mov_b32_e32 v7, 0xffffff82
	v_cndmask_b32_e32 v7, v16, v7, vcc
	v_mov_b32_e32 v16, 0x70
	v_or_b32_e32 v20, 0x800000, v42
	v_cndmask_b32_e32 v21, v17, v16, vcc
	v_cndmask_b32_e32 v42, v20, v42, vcc
	v_add_u32_e32 v16, 21, v21
	v_lshlrev_b64 v[16:17], v16, -1
	v_add_u32_e32 v20, 20, v21
	v_lshrrev_b64 v[50:51], v21, v[42:43]
	v_not_b32_e32 v17, v17
	v_not_b32_e32 v16, v16
	v_lshlrev_b64 v[36:37], v20, 1
	v_lshrrev_b32_e32 v20, 23, v50
	v_and_b32_e32 v17, 0, v17
	v_and_b32_e32 v16, v42, v16
	v_add3_u32 v21, v21, v7, v20
	v_bfe_u32 v7, v50, 21, 1
	v_add_u32_e32 v7, -1, v7
	v_cmp_eq_u64_e32 vcc, v[16:17], v[36:37]
	v_cndmask_b32_e32 v7, 0, v7, vcc
	v_add_u32_e32 v7, v7, v50
	v_and_b32_e32 v7, 0x1fffff, v7
	v_add_co_u32_e32 v16, vcc, v7, v50
	v_add_u32_e32 v20, 14, v21
	v_addc_co_u32_e32 v17, vcc, 0, v51, vcc
	v_cmp_ne_u32_e32 vcc, 0, v20
                                        ; implicit-def: $vgpr7
	s_and_saveexec_b64 s[28:29], vcc
	s_xor_b64 s[28:29], exec, s[28:29]
; %bb.1484:                             ;   in Loop: Header=BB4_772 Depth=4
	v_add_u32_e32 v7, 15, v21
	v_cmp_lt_u64_e32 vcc, s[56:57], v[16:17]
	v_cndmask_b32_e32 v7, v20, v7, vcc
	v_cndmask_b32_e64 v20, 0, 1, vcc
	v_lshrrev_b64 v[16:17], v20, v[16:17]
; %bb.1485:                             ;   in Loop: Header=BB4_772 Depth=4
	s_andn2_saveexec_b64 s[28:29], s[28:29]
; %bb.1486:                             ;   in Loop: Header=BB4_772 Depth=4
	v_bfe_u32 v7, v16, 23, 1
; %bb.1487:                             ;   in Loop: Header=BB4_772 Depth=4
	s_or_b64 exec, exec, s[28:29]
	v_lshrrev_b64 v[16:17], 21, v[16:17]
	v_cmp_gt_i32_e32 vcc, 32, v7
	v_cndmask_b32_e32 v17, 0, v17, vcc
	v_cndmask_b32_e32 v16, 3, v16, vcc
	v_cmp_eq_u32_e32 vcc, 0, v7
	v_min_i32_e32 v7, 31, v7
	v_cmp_eq_u64_e64 s[28:29], 0, v[16:17]
	v_lshlrev_b32_e32 v7, 2, v7
	v_and_or_b32 v7, v16, 3, v7
	s_and_b64 s[28:29], vcc, s[28:29]
	v_cndmask_b32_e64 v7, v7, 0, s[28:29]
	v_or_b32_e32 v27, v7, v0
.LBB4_1488:                             ;   in Loop: Header=BB4_772 Depth=4
	s_or_b64 exec, exec, s[70:71]
.LBB4_1489:                             ;   in Loop: Header=BB4_772 Depth=4
	s_or_b64 exec, exec, s[68:69]
                                        ; implicit-def: $vgpr7
.LBB4_1490:                             ;   in Loop: Header=BB4_772 Depth=4
	s_andn2_saveexec_b64 s[28:29], s[30:31]
; %bb.1491:                             ;   in Loop: Header=BB4_772 Depth=4
	v_or_b32_sdwa v0, v7, s39 dst_sel:DWORD dst_unused:UNUSED_PAD src0_sel:BYTE_3 src1_sel:DWORD
	v_cmp_eq_u64_e32 vcc, 0, v[42:43]
	v_cndmask_b32_e32 v27, v0, v27, vcc
; %bb.1492:                             ;   in Loop: Header=BB4_772 Depth=4
	s_or_b64 exec, exec, s[28:29]
	v_lshrrev_b32_e32 v20, 24, v23
	v_lshrrev_b32_e32 v16, 24, v19
	v_cmp_lt_u64_e64 s[28:29], s[42:43], v[22:23]
	s_and_b64 vcc, exec, s[66:67]
	s_cbranch_vccz .LBB4_1510
; %bb.1493:                             ;   in Loop: Header=BB4_772 Depth=4
	v_mov_b32_e32 v7, 0
	v_mov_b32_e32 v0, 0
	s_and_saveexec_b64 s[30:31], s[28:29]
	s_cbranch_execz .LBB4_1501
; %bb.1494:                             ;   in Loop: Header=BB4_772 Depth=4
	v_cmp_ne_u32_e32 vcc, s97, v20
	v_bfrev_b32_e32 v0, 1
	s_and_saveexec_b64 s[68:69], vcc
	s_cbranch_execz .LBB4_1500
; %bb.1495:                             ;   in Loop: Header=BB4_772 Depth=4
	v_and_b32_e32 v0, 0x7c000000, v23
	v_bfe_u32 v17, v23, 24, 2
	v_cmp_ne_u32_e32 vcc, s37, v0
                                        ; implicit-def: $vgpr0
	s_and_saveexec_b64 s[70:71], vcc
	s_xor_b64 s[70:71], exec, s[70:71]
	s_cbranch_execz .LBB4_1497
; %bb.1496:                             ;   in Loop: Header=BB4_772 Depth=4
	v_ffbh_u32_e32 v21, v17
	v_min_u32_e32 v21, 32, v21
	v_bfe_u32 v0, v23, 26, 5
	v_subrev_u32_e32 v30, 29, v21
	v_lshlrev_b64 v[36:37], v30, v[20:21]
	v_sub_u32_e32 v21, 30, v21
	v_cmp_eq_u32_e32 vcc, 0, v0
	v_cndmask_b32_e32 v0, v0, v21, vcc
	v_bfrev_b32_e32 v21, 28
	v_and_b32_e32 v30, 3, v36
	v_lshl_add_u32 v0, v0, 23, v21
	v_cndmask_b32_e32 v17, v17, v30, vcc
	v_and_or_b32 v0, v23, s96, v0
	v_lshl_or_b32 v0, v17, 21, v0
                                        ; implicit-def: $vgpr17
.LBB4_1497:                             ;   in Loop: Header=BB4_772 Depth=4
	s_andn2_saveexec_b64 s[70:71], s[70:71]
; %bb.1498:                             ;   in Loop: Header=BB4_772 Depth=4
	v_cmp_lt_i64_e32 vcc, -1, v[22:23]
	v_cndmask_b32_e32 v0, v6, v1, vcc
	v_cmp_eq_u32_e32 vcc, 0, v17
	v_mov_b32_e32 v17, 0x7f800001
	v_cndmask_b32_e32 v0, v17, v0, vcc
; %bb.1499:                             ;   in Loop: Header=BB4_772 Depth=4
	s_or_b64 exec, exec, s[70:71]
.LBB4_1500:                             ;   in Loop: Header=BB4_772 Depth=4
	s_or_b64 exec, exec, s[68:69]
.LBB4_1501:                             ;   in Loop: Header=BB4_772 Depth=4
	s_or_b64 exec, exec, s[30:31]
	v_cmp_lt_u64_e32 vcc, s[42:43], v[18:19]
	s_and_saveexec_b64 s[30:31], vcc
	s_cbranch_execz .LBB4_1509
; %bb.1502:                             ;   in Loop: Header=BB4_772 Depth=4
	v_cmp_ne_u32_e32 vcc, s97, v16
	v_bfrev_b32_e32 v7, 1
	s_and_saveexec_b64 s[68:69], vcc
	s_cbranch_execz .LBB4_1508
; %bb.1503:                             ;   in Loop: Header=BB4_772 Depth=4
	v_and_b32_e32 v7, 0x7c000000, v19
	v_bfe_u32 v17, v19, 24, 2
	v_cmp_ne_u32_e32 vcc, s37, v7
                                        ; implicit-def: $vgpr7
	s_and_saveexec_b64 s[70:71], vcc
	s_xor_b64 s[70:71], exec, s[70:71]
	s_cbranch_execz .LBB4_1505
; %bb.1504:                             ;   in Loop: Header=BB4_772 Depth=4
	v_ffbh_u32_e32 v21, v17
	v_bfe_u32 v7, v19, 26, 5
	v_min_u32_e32 v21, 32, v21
	v_subrev_u32_e32 v30, 29, v21
	v_sub_u32_e32 v21, 30, v21
	v_cmp_eq_u32_e32 vcc, 0, v7
	v_lshlrev_b64 v[36:37], v30, v[16:17]
	v_cndmask_b32_e32 v7, v7, v21, vcc
	v_bfrev_b32_e32 v21, 28
	v_and_b32_e32 v30, 3, v36
	v_lshl_add_u32 v7, v7, 23, v21
	v_cndmask_b32_e32 v17, v17, v30, vcc
	v_and_or_b32 v7, v19, s96, v7
	v_lshl_or_b32 v7, v17, 21, v7
                                        ; implicit-def: $vgpr17
.LBB4_1505:                             ;   in Loop: Header=BB4_772 Depth=4
	s_andn2_saveexec_b64 s[70:71], s[70:71]
; %bb.1506:                             ;   in Loop: Header=BB4_772 Depth=4
	v_cmp_lt_i64_e32 vcc, -1, v[18:19]
	v_cndmask_b32_e32 v7, v6, v1, vcc
	v_cmp_eq_u32_e32 vcc, 0, v17
	v_mov_b32_e32 v17, 0x7f800001
	v_cndmask_b32_e32 v7, v17, v7, vcc
; %bb.1507:                             ;   in Loop: Header=BB4_772 Depth=4
	s_or_b64 exec, exec, s[70:71]
.LBB4_1508:                             ;   in Loop: Header=BB4_772 Depth=4
	s_or_b64 exec, exec, s[68:69]
.LBB4_1509:                             ;   in Loop: Header=BB4_772 Depth=4
	s_or_b64 exec, exec, s[30:31]
	v_max_f32_e32 v7, v7, v7
	v_max_f32_e32 v0, v0, v0
	;; [unrolled: 1-line block ×3, first 2 shown]
	s_branch .LBB4_1528
.LBB4_1510:                             ;   in Loop: Header=BB4_772 Depth=4
                                        ; implicit-def: $vgpr7
	s_cbranch_execz .LBB4_1528
; %bb.1511:                             ;   in Loop: Header=BB4_772 Depth=4
	v_mov_b32_e32 v7, 0
	v_mov_b32_e32 v0, 0
	s_and_saveexec_b64 s[30:31], s[28:29]
	s_cbranch_execz .LBB4_1519
; %bb.1512:                             ;   in Loop: Header=BB4_772 Depth=4
	v_cmp_ne_u32_e32 vcc, s97, v20
	v_bfrev_b32_e32 v0, 1
	s_and_saveexec_b64 s[28:29], vcc
	s_cbranch_execz .LBB4_1518
; %bb.1513:                             ;   in Loop: Header=BB4_772 Depth=4
	v_and_b32_e32 v0, 0x7c000000, v23
	v_bfe_u32 v17, v23, 24, 2
	v_cmp_ne_u32_e32 vcc, s37, v0
                                        ; implicit-def: $vgpr0
	s_and_saveexec_b64 s[68:69], vcc
	s_xor_b64 s[68:69], exec, s[68:69]
	s_cbranch_execz .LBB4_1515
; %bb.1514:                             ;   in Loop: Header=BB4_772 Depth=4
	v_ffbh_u32_e32 v21, v17
	v_min_u32_e32 v22, 32, v21
	v_subrev_u32_e32 v21, 29, v22
	v_bfe_u32 v0, v23, 26, 5
	v_lshlrev_b64 v[20:21], v21, v[20:21]
	v_sub_u32_e32 v21, 30, v22
	v_and_b32_e32 v20, 3, v20
	v_cmp_eq_u32_e32 vcc, 0, v0
	v_cndmask_b32_e32 v0, v0, v21, vcc
	v_cndmask_b32_e32 v17, v17, v20, vcc
	v_bfrev_b32_e32 v20, 28
	v_lshl_add_u32 v0, v0, 23, v20
	v_and_or_b32 v0, v23, s96, v0
	v_lshl_or_b32 v0, v17, 21, v0
                                        ; implicit-def: $vgpr17
                                        ; implicit-def: $vgpr22_vgpr23
.LBB4_1515:                             ;   in Loop: Header=BB4_772 Depth=4
	s_andn2_saveexec_b64 s[68:69], s[68:69]
; %bb.1516:                             ;   in Loop: Header=BB4_772 Depth=4
	v_cmp_lt_i64_e32 vcc, -1, v[22:23]
	v_cndmask_b32_e32 v0, v6, v1, vcc
	v_cmp_eq_u32_e32 vcc, 0, v17
	v_mov_b32_e32 v17, 0x7f800001
	v_cndmask_b32_e32 v0, v17, v0, vcc
; %bb.1517:                             ;   in Loop: Header=BB4_772 Depth=4
	s_or_b64 exec, exec, s[68:69]
.LBB4_1518:                             ;   in Loop: Header=BB4_772 Depth=4
	s_or_b64 exec, exec, s[28:29]
.LBB4_1519:                             ;   in Loop: Header=BB4_772 Depth=4
	s_or_b64 exec, exec, s[30:31]
	v_cmp_lt_u64_e32 vcc, s[42:43], v[18:19]
	s_and_saveexec_b64 s[28:29], vcc
	s_cbranch_execz .LBB4_1527
; %bb.1520:                             ;   in Loop: Header=BB4_772 Depth=4
	v_cmp_ne_u32_e32 vcc, s97, v16
	v_bfrev_b32_e32 v7, 1
	s_and_saveexec_b64 s[30:31], vcc
	s_cbranch_execz .LBB4_1526
; %bb.1521:                             ;   in Loop: Header=BB4_772 Depth=4
	v_and_b32_e32 v7, 0x7c000000, v19
	v_bfe_u32 v17, v19, 24, 2
	v_cmp_ne_u32_e32 vcc, s37, v7
                                        ; implicit-def: $vgpr7
	s_and_saveexec_b64 s[68:69], vcc
	s_xor_b64 s[68:69], exec, s[68:69]
	s_cbranch_execz .LBB4_1523
; %bb.1522:                             ;   in Loop: Header=BB4_772 Depth=4
	v_ffbh_u32_e32 v18, v17
	v_min_u32_e32 v18, 32, v18
	v_subrev_u32_e32 v20, 29, v18
	v_bfe_u32 v7, v19, 26, 5
	v_lshlrev_b64 v[20:21], v20, v[16:17]
	v_sub_u32_e32 v16, 30, v18
	v_and_b32_e32 v18, 3, v20
	v_cmp_eq_u32_e32 vcc, 0, v7
	v_cndmask_b32_e32 v7, v7, v16, vcc
	v_cndmask_b32_e32 v16, v17, v18, vcc
	v_bfrev_b32_e32 v17, 28
	v_lshl_add_u32 v7, v7, 23, v17
	v_and_or_b32 v7, v19, s96, v7
	v_lshl_or_b32 v7, v16, 21, v7
                                        ; implicit-def: $vgpr17
                                        ; implicit-def: $vgpr18_vgpr19
.LBB4_1523:                             ;   in Loop: Header=BB4_772 Depth=4
	s_andn2_saveexec_b64 s[68:69], s[68:69]
; %bb.1524:                             ;   in Loop: Header=BB4_772 Depth=4
	v_cmp_lt_i64_e32 vcc, -1, v[18:19]
	v_cndmask_b32_e32 v7, v6, v1, vcc
	v_cmp_eq_u32_e32 vcc, 0, v17
	v_mov_b32_e32 v16, 0x7f800001
	v_cndmask_b32_e32 v7, v16, v7, vcc
; %bb.1525:                             ;   in Loop: Header=BB4_772 Depth=4
	s_or_b64 exec, exec, s[68:69]
.LBB4_1526:                             ;   in Loop: Header=BB4_772 Depth=4
	s_or_b64 exec, exec, s[30:31]
.LBB4_1527:                             ;   in Loop: Header=BB4_772 Depth=4
	s_or_b64 exec, exec, s[28:29]
	v_max_f32_e32 v7, v7, v7
	v_max_f32_e32 v0, v0, v0
	v_min_f32_e32 v7, v0, v7
.LBB4_1528:                             ;   in Loop: Header=BB4_772 Depth=4
	v_and_b32_sdwa v0, v7, s97 dst_sel:DWORD dst_unused:UNUSED_PAD src0_sel:BYTE_3 src1_sel:DWORD
	v_and_b32_e32 v16, 0x7f800000, v7
	v_mov_b32_e32 v17, v43
	v_and_b32_e32 v42, 0x7fffff, v7
	v_or_b32_e32 v22, 0x7b, v0
	v_cmp_ne_u64_e32 vcc, s[52:53], v[16:17]
	s_and_saveexec_b64 s[28:29], vcc
	s_xor_b64 s[30:31], exec, s[28:29]
	s_cbranch_execz .LBB4_1538
; %bb.1529:                             ;   in Loop: Header=BB4_772 Depth=4
	v_and_b32_e32 v16, 0x7fffffff, v7
	v_mov_b32_e32 v17, v43
	v_cmp_gt_u64_e32 vcc, s[54:55], v[16:17]
	s_and_saveexec_b64 s[68:69], vcc
	s_cbranch_execz .LBB4_1537
; %bb.1530:                             ;   in Loop: Header=BB4_772 Depth=4
	v_cmp_ne_u32_e32 vcc, 0, v7
	v_mov_b32_e32 v22, 0
	s_and_saveexec_b64 s[70:71], vcc
	s_cbranch_execz .LBB4_1536
; %bb.1531:                             ;   in Loop: Header=BB4_772 Depth=4
	v_bfe_u32 v7, v7, 23, 8
	v_sub_u32_e32 v17, 0x71, v7
	v_cmp_gt_u32_e32 vcc, s38, v7
	v_add_u32_e32 v16, 0xffffff81, v7
	v_cndmask_b32_e32 v17, 0, v17, vcc
	v_cmp_eq_u32_e32 vcc, 0, v7
	v_mov_b32_e32 v7, 0xffffff82
	v_cndmask_b32_e32 v7, v16, v7, vcc
	v_mov_b32_e32 v16, 0x70
	v_or_b32_e32 v18, 0x800000, v42
	v_cndmask_b32_e32 v19, v17, v16, vcc
	v_cndmask_b32_e32 v42, v18, v42, vcc
	v_add_u32_e32 v16, 21, v19
	v_lshlrev_b64 v[16:17], v16, -1
	v_add_u32_e32 v18, 20, v19
	v_lshrrev_b64 v[22:23], v19, v[42:43]
	v_not_b32_e32 v17, v17
	v_not_b32_e32 v16, v16
	v_lshlrev_b64 v[20:21], v18, 1
	v_lshrrev_b32_e32 v18, 23, v22
	v_and_b32_e32 v17, 0, v17
	v_and_b32_e32 v16, v42, v16
	v_add3_u32 v19, v19, v7, v18
	v_bfe_u32 v7, v22, 21, 1
	v_add_u32_e32 v7, -1, v7
	v_cmp_eq_u64_e32 vcc, v[16:17], v[20:21]
	v_cndmask_b32_e32 v7, 0, v7, vcc
	v_add_u32_e32 v7, v7, v22
	v_and_b32_e32 v7, 0x1fffff, v7
	v_add_co_u32_e32 v16, vcc, v7, v22
	v_add_u32_e32 v18, 14, v19
	v_addc_co_u32_e32 v17, vcc, 0, v23, vcc
	v_cmp_ne_u32_e32 vcc, 0, v18
                                        ; implicit-def: $vgpr7
	s_and_saveexec_b64 s[28:29], vcc
	s_xor_b64 s[28:29], exec, s[28:29]
; %bb.1532:                             ;   in Loop: Header=BB4_772 Depth=4
	v_add_u32_e32 v7, 15, v19
	v_cmp_lt_u64_e32 vcc, s[56:57], v[16:17]
	v_cndmask_b32_e32 v7, v18, v7, vcc
	v_cndmask_b32_e64 v18, 0, 1, vcc
	v_lshrrev_b64 v[16:17], v18, v[16:17]
; %bb.1533:                             ;   in Loop: Header=BB4_772 Depth=4
	s_andn2_saveexec_b64 s[28:29], s[28:29]
; %bb.1534:                             ;   in Loop: Header=BB4_772 Depth=4
	v_bfe_u32 v7, v16, 23, 1
; %bb.1535:                             ;   in Loop: Header=BB4_772 Depth=4
	s_or_b64 exec, exec, s[28:29]
	v_lshrrev_b64 v[16:17], 21, v[16:17]
	v_cmp_gt_i32_e32 vcc, 32, v7
	v_cndmask_b32_e32 v17, 0, v17, vcc
	v_cndmask_b32_e32 v16, 3, v16, vcc
	v_cmp_eq_u32_e32 vcc, 0, v7
	v_min_i32_e32 v7, 31, v7
	v_lshlrev_b32_e32 v7, 2, v7
	v_cmp_eq_u64_e64 s[28:29], 0, v[16:17]
	v_and_b32_e32 v7, 0xfc, v7
	v_and_or_b32 v7, v16, 3, v7
	s_and_b64 s[28:29], vcc, s[28:29]
	v_cndmask_b32_e64 v7, v7, 0, s[28:29]
	v_or_b32_e32 v22, v7, v0
.LBB4_1536:                             ;   in Loop: Header=BB4_772 Depth=4
	s_or_b64 exec, exec, s[70:71]
.LBB4_1537:                             ;   in Loop: Header=BB4_772 Depth=4
	s_or_b64 exec, exec, s[68:69]
                                        ; implicit-def: $vgpr7
.LBB4_1538:                             ;   in Loop: Header=BB4_772 Depth=4
	s_andn2_saveexec_b64 s[28:29], s[30:31]
; %bb.1539:                             ;   in Loop: Header=BB4_772 Depth=4
	v_or_b32_sdwa v0, v7, s39 dst_sel:DWORD dst_unused:UNUSED_PAD src0_sel:BYTE_3 src1_sel:DWORD
	v_cmp_eq_u64_e32 vcc, 0, v[42:43]
	v_cndmask_b32_e32 v22, v0, v22, vcc
; %bb.1540:                             ;   in Loop: Header=BB4_772 Depth=4
	s_or_b64 exec, exec, s[28:29]
	v_cndmask_b32_e64 v0, 0, 1, s[66:67]
	v_cmp_ne_u32_e64 s[28:29], 1, v0
	s_andn2_b64 vcc, exec, s[66:67]
	v_cmp_ne_u16_sdwa s[30:31], v12, v43 src0_sel:BYTE_0 src1_sel:DWORD
	s_cbranch_vccnz .LBB4_1558
; %bb.1541:                             ;   in Loop: Header=BB4_772 Depth=4
	v_mov_b32_e32 v7, 0
	v_mov_b32_e32 v0, 0
	s_and_saveexec_b64 s[68:69], s[30:31]
	s_cbranch_execz .LBB4_1549
; %bb.1542:                             ;   in Loop: Header=BB4_772 Depth=4
	v_cmp_ne_u16_sdwa vcc, sext(v12), s94 src0_sel:BYTE_0 src1_sel:DWORD
	v_bfrev_b32_e32 v0, 1
	s_and_saveexec_b64 s[70:71], vcc
	s_cbranch_execz .LBB4_1548
; %bb.1543:                             ;   in Loop: Header=BB4_772 Depth=4
	v_and_b32_e32 v0, 0x7c, v12
	v_and_b32_e32 v16, 3, v12
	v_cmp_ne_u32_e32 vcc, s95, v0
                                        ; implicit-def: $vgpr0
	s_and_saveexec_b64 s[72:73], vcc
	s_xor_b64 s[72:73], exec, s[72:73]
	s_cbranch_execz .LBB4_1545
; %bb.1544:                             ;   in Loop: Header=BB4_772 Depth=4
	v_ffbh_u32_e32 v17, v16
	v_min_u32_e32 v17, 32, v17
	v_subrev_u32_e32 v18, 29, v17
	v_bfe_u32 v0, v12, 2, 5
	v_lshlrev_b64 v[18:19], v18, v[12:13]
	v_sub_u32_e32 v17, 30, v17
	v_and_b32_e32 v18, 3, v18
	v_cmp_eq_u32_e32 vcc, 0, v0
	v_cndmask_b32_e32 v0, v0, v17, vcc
	v_cndmask_b32_e32 v16, v16, v18, vcc
	v_bfrev_b32_e32 v18, 28
	v_lshlrev_b32_e32 v17, 24, v12
	v_lshl_add_u32 v0, v0, 23, v18
	v_and_or_b32 v0, v17, s96, v0
	v_lshl_or_b32 v0, v16, 21, v0
                                        ; implicit-def: $vgpr16
.LBB4_1545:                             ;   in Loop: Header=BB4_772 Depth=4
	s_andn2_saveexec_b64 s[72:73], s[72:73]
; %bb.1546:                             ;   in Loop: Header=BB4_772 Depth=4
	v_mov_b32_e32 v0, -1
	v_cmp_gt_i16_sdwa vcc, sext(v12), v0 src0_sel:BYTE_0 src1_sel:DWORD
	v_cndmask_b32_e32 v0, v6, v1, vcc
	v_cmp_eq_u32_e32 vcc, 0, v16
	v_mov_b32_e32 v16, 0x7f800001
	v_cndmask_b32_e32 v0, v16, v0, vcc
; %bb.1547:                             ;   in Loop: Header=BB4_772 Depth=4
	s_or_b64 exec, exec, s[72:73]
.LBB4_1548:                             ;   in Loop: Header=BB4_772 Depth=4
	s_or_b64 exec, exec, s[70:71]
.LBB4_1549:                             ;   in Loop: Header=BB4_772 Depth=4
	s_or_b64 exec, exec, s[68:69]
	v_cmp_ne_u16_sdwa vcc, sext(v8), v43 src0_sel:BYTE_0 src1_sel:DWORD
	s_and_saveexec_b64 s[68:69], vcc
	s_cbranch_execz .LBB4_1557
; %bb.1550:                             ;   in Loop: Header=BB4_772 Depth=4
	v_cmp_ne_u16_sdwa vcc, sext(v8), s94 src0_sel:BYTE_0 src1_sel:DWORD
	v_bfrev_b32_e32 v7, 1
	s_and_saveexec_b64 s[70:71], vcc
	s_cbranch_execz .LBB4_1556
; %bb.1551:                             ;   in Loop: Header=BB4_772 Depth=4
	v_and_b32_e32 v7, 0x7c, v8
	v_and_b32_e32 v16, 3, v8
	v_cmp_ne_u32_e32 vcc, s95, v7
                                        ; implicit-def: $vgpr7
	s_and_saveexec_b64 s[72:73], vcc
	s_xor_b64 s[72:73], exec, s[72:73]
	s_cbranch_execz .LBB4_1553
; %bb.1552:                             ;   in Loop: Header=BB4_772 Depth=4
	v_ffbh_u32_e32 v17, v16
	v_min_u32_e32 v17, 32, v17
	v_subrev_u32_e32 v18, 29, v17
	v_bfe_u32 v7, v8, 2, 5
	v_lshlrev_b64 v[18:19], v18, v[8:9]
	v_sub_u32_e32 v17, 30, v17
	v_and_b32_e32 v18, 3, v18
	v_cmp_eq_u32_e32 vcc, 0, v7
	v_cndmask_b32_e32 v7, v7, v17, vcc
	v_cndmask_b32_e32 v16, v16, v18, vcc
	v_bfrev_b32_e32 v18, 28
	v_lshlrev_b32_e32 v17, 24, v8
	v_lshl_add_u32 v7, v7, 23, v18
	v_and_or_b32 v7, v17, s96, v7
	v_lshl_or_b32 v7, v16, 21, v7
                                        ; implicit-def: $vgpr16
.LBB4_1553:                             ;   in Loop: Header=BB4_772 Depth=4
	s_andn2_saveexec_b64 s[72:73], s[72:73]
; %bb.1554:                             ;   in Loop: Header=BB4_772 Depth=4
	v_mov_b32_e32 v7, -1
	v_cmp_gt_i16_sdwa vcc, sext(v8), v7 src0_sel:BYTE_0 src1_sel:DWORD
	v_cndmask_b32_e32 v7, v6, v1, vcc
	v_cmp_eq_u32_e32 vcc, 0, v16
	v_mov_b32_e32 v16, 0x7f800001
	v_cndmask_b32_e32 v7, v16, v7, vcc
; %bb.1555:                             ;   in Loop: Header=BB4_772 Depth=4
	s_or_b64 exec, exec, s[72:73]
.LBB4_1556:                             ;   in Loop: Header=BB4_772 Depth=4
	s_or_b64 exec, exec, s[70:71]
.LBB4_1557:                             ;   in Loop: Header=BB4_772 Depth=4
	s_or_b64 exec, exec, s[68:69]
	v_max_f32_e32 v7, v7, v7
	v_max_f32_e32 v0, v0, v0
	;; [unrolled: 1-line block ×3, first 2 shown]
	s_branch .LBB4_1576
.LBB4_1558:                             ;   in Loop: Header=BB4_772 Depth=4
                                        ; implicit-def: $vgpr7
	s_cbranch_execz .LBB4_1576
; %bb.1559:                             ;   in Loop: Header=BB4_772 Depth=4
	v_mov_b32_e32 v7, 0
	v_mov_b32_e32 v0, 0
	s_and_saveexec_b64 s[68:69], s[30:31]
	s_cbranch_execz .LBB4_1567
; %bb.1560:                             ;   in Loop: Header=BB4_772 Depth=4
	v_cmp_ne_u16_sdwa vcc, sext(v12), s94 src0_sel:BYTE_0 src1_sel:DWORD
	v_bfrev_b32_e32 v0, 1
	s_and_saveexec_b64 s[30:31], vcc
	s_cbranch_execz .LBB4_1566
; %bb.1561:                             ;   in Loop: Header=BB4_772 Depth=4
	v_and_b32_e32 v0, 0x7c, v12
	v_and_b32_e32 v16, 3, v12
	v_cmp_ne_u32_e32 vcc, s95, v0
                                        ; implicit-def: $vgpr0
	s_and_saveexec_b64 s[70:71], vcc
	s_xor_b64 s[70:71], exec, s[70:71]
	s_cbranch_execz .LBB4_1563
; %bb.1562:                             ;   in Loop: Header=BB4_772 Depth=4
	v_ffbh_u32_e32 v17, v16
	v_min_u32_e32 v17, 32, v17
	v_subrev_u32_e32 v18, 29, v17
	v_bfe_u32 v0, v12, 2, 5
	v_lshlrev_b64 v[18:19], v18, v[12:13]
	v_sub_u32_e32 v17, 30, v17
	v_and_b32_e32 v18, 3, v18
	v_cmp_eq_u32_e32 vcc, 0, v0
	v_cndmask_b32_e32 v0, v0, v17, vcc
	v_cndmask_b32_e32 v16, v16, v18, vcc
	v_bfrev_b32_e32 v18, 28
	v_lshlrev_b32_e32 v17, 24, v12
	v_lshl_add_u32 v0, v0, 23, v18
	v_and_or_b32 v0, v17, s96, v0
	v_lshl_or_b32 v0, v16, 21, v0
                                        ; implicit-def: $vgpr16
.LBB4_1563:                             ;   in Loop: Header=BB4_772 Depth=4
	s_andn2_saveexec_b64 s[70:71], s[70:71]
; %bb.1564:                             ;   in Loop: Header=BB4_772 Depth=4
	v_mov_b32_e32 v0, -1
	v_cmp_gt_i16_sdwa vcc, sext(v12), v0 src0_sel:BYTE_0 src1_sel:DWORD
	v_cndmask_b32_e32 v0, v6, v1, vcc
	v_cmp_eq_u32_e32 vcc, 0, v16
	v_mov_b32_e32 v16, 0x7f800001
	v_cndmask_b32_e32 v0, v16, v0, vcc
; %bb.1565:                             ;   in Loop: Header=BB4_772 Depth=4
	s_or_b64 exec, exec, s[70:71]
.LBB4_1566:                             ;   in Loop: Header=BB4_772 Depth=4
	s_or_b64 exec, exec, s[30:31]
.LBB4_1567:                             ;   in Loop: Header=BB4_772 Depth=4
	s_or_b64 exec, exec, s[68:69]
	v_cmp_ne_u16_sdwa vcc, sext(v8), v43 src0_sel:BYTE_0 src1_sel:DWORD
	s_and_saveexec_b64 s[30:31], vcc
	s_cbranch_execz .LBB4_1575
; %bb.1568:                             ;   in Loop: Header=BB4_772 Depth=4
	v_cmp_ne_u16_sdwa vcc, sext(v8), s94 src0_sel:BYTE_0 src1_sel:DWORD
	v_bfrev_b32_e32 v7, 1
	s_and_saveexec_b64 s[68:69], vcc
	s_cbranch_execz .LBB4_1574
; %bb.1569:                             ;   in Loop: Header=BB4_772 Depth=4
	v_and_b32_e32 v7, 0x7c, v8
	v_and_b32_e32 v16, 3, v8
	v_cmp_ne_u32_e32 vcc, s95, v7
                                        ; implicit-def: $vgpr7
	s_and_saveexec_b64 s[70:71], vcc
	s_xor_b64 s[70:71], exec, s[70:71]
	s_cbranch_execz .LBB4_1571
; %bb.1570:                             ;   in Loop: Header=BB4_772 Depth=4
	v_ffbh_u32_e32 v17, v16
	v_min_u32_e32 v17, 32, v17
	v_subrev_u32_e32 v18, 29, v17
	v_bfe_u32 v7, v8, 2, 5
	v_lshlrev_b64 v[18:19], v18, v[8:9]
	v_sub_u32_e32 v17, 30, v17
	v_and_b32_e32 v18, 3, v18
	v_cmp_eq_u32_e32 vcc, 0, v7
	v_cndmask_b32_e32 v7, v7, v17, vcc
	v_cndmask_b32_e32 v16, v16, v18, vcc
	v_bfrev_b32_e32 v18, 28
	v_lshlrev_b32_e32 v17, 24, v8
	v_lshl_add_u32 v7, v7, 23, v18
	v_and_or_b32 v7, v17, s96, v7
	v_lshl_or_b32 v7, v16, 21, v7
                                        ; implicit-def: $vgpr16
.LBB4_1571:                             ;   in Loop: Header=BB4_772 Depth=4
	s_andn2_saveexec_b64 s[70:71], s[70:71]
; %bb.1572:                             ;   in Loop: Header=BB4_772 Depth=4
	v_mov_b32_e32 v7, -1
	v_cmp_gt_i16_sdwa vcc, sext(v8), v7 src0_sel:BYTE_0 src1_sel:DWORD
	v_cndmask_b32_e32 v7, v6, v1, vcc
	v_cmp_eq_u32_e32 vcc, 0, v16
	v_mov_b32_e32 v16, 0x7f800001
	v_cndmask_b32_e32 v7, v16, v7, vcc
; %bb.1573:                             ;   in Loop: Header=BB4_772 Depth=4
	s_or_b64 exec, exec, s[70:71]
.LBB4_1574:                             ;   in Loop: Header=BB4_772 Depth=4
	s_or_b64 exec, exec, s[68:69]
.LBB4_1575:                             ;   in Loop: Header=BB4_772 Depth=4
	s_or_b64 exec, exec, s[30:31]
	v_max_f32_e32 v7, v7, v7
	v_max_f32_e32 v0, v0, v0
	v_min_f32_e32 v7, v0, v7
.LBB4_1576:                             ;   in Loop: Header=BB4_772 Depth=4
	v_and_b32_sdwa v0, v7, s97 dst_sel:DWORD dst_unused:UNUSED_PAD src0_sel:BYTE_3 src1_sel:DWORD
	v_and_b32_e32 v16, 0x7f800000, v7
	v_mov_b32_e32 v17, v43
	v_and_b32_e32 v42, 0x7fffff, v7
	v_or_b32_e32 v23, 0x7b, v0
	v_cmp_ne_u64_e32 vcc, s[52:53], v[16:17]
	s_and_saveexec_b64 s[30:31], vcc
	s_xor_b64 s[68:69], exec, s[30:31]
	s_cbranch_execz .LBB4_1586
; %bb.1577:                             ;   in Loop: Header=BB4_772 Depth=4
	v_and_b32_e32 v16, 0x7fffffff, v7
	v_mov_b32_e32 v17, v43
	v_cmp_gt_u64_e32 vcc, s[54:55], v[16:17]
	s_and_saveexec_b64 s[70:71], vcc
	s_cbranch_execz .LBB4_1585
; %bb.1578:                             ;   in Loop: Header=BB4_772 Depth=4
	v_cmp_ne_u32_e32 vcc, 0, v7
	v_mov_b32_e32 v23, 0
	s_and_saveexec_b64 s[72:73], vcc
	s_cbranch_execz .LBB4_1584
; %bb.1579:                             ;   in Loop: Header=BB4_772 Depth=4
	v_bfe_u32 v7, v7, 23, 8
	v_cmp_eq_u32_e32 vcc, 0, v7
	v_add_u32_e32 v16, 0xffffff81, v7
	v_cmp_gt_u32_e64 s[30:31], s38, v7
	v_sub_u32_e32 v7, 0x71, v7
	v_mov_b32_e32 v18, 0xffffff82
	v_cndmask_b32_e64 v7, 0, v7, s[30:31]
	v_cndmask_b32_e32 v20, v16, v18, vcc
	v_mov_b32_e32 v16, 0x70
	v_cndmask_b32_e32 v7, v7, v16, vcc
	v_or_b32_e32 v17, 0x800000, v42
	v_add_u32_e32 v16, 21, v7
	v_cndmask_b32_e32 v42, v17, v42, vcc
	v_lshlrev_b64 v[16:17], v16, -1
	v_not_b32_e32 v17, v17
	v_not_b32_e32 v16, v16
	v_add_u32_e32 v18, 20, v7
	v_and_b32_e32 v17, 0, v17
	v_and_b32_e32 v16, v42, v16
	v_lshlrev_b64 v[18:19], v18, 1
	v_cmp_eq_u64_e32 vcc, v[16:17], v[18:19]
	v_lshrrev_b64 v[16:17], v7, v[42:43]
	v_lshrrev_b32_e32 v18, 23, v16
	v_add3_u32 v19, v7, v20, v18
	v_bfe_u32 v7, v16, 21, 1
	v_add_u32_e32 v7, -1, v7
	v_cndmask_b32_e32 v7, 0, v7, vcc
	v_add_u32_e32 v7, v7, v16
	v_and_b32_e32 v7, 0x1fffff, v7
	v_add_co_u32_e32 v16, vcc, v7, v16
	v_add_u32_e32 v18, 14, v19
	v_addc_co_u32_e32 v17, vcc, 0, v17, vcc
	v_cmp_ne_u32_e32 vcc, 0, v18
                                        ; implicit-def: $vgpr7
	s_and_saveexec_b64 s[30:31], vcc
	s_xor_b64 s[30:31], exec, s[30:31]
; %bb.1580:                             ;   in Loop: Header=BB4_772 Depth=4
	v_add_u32_e32 v7, 15, v19
	v_cmp_lt_u64_e32 vcc, s[56:57], v[16:17]
	v_cndmask_b32_e32 v7, v18, v7, vcc
	v_cndmask_b32_e64 v18, 0, 1, vcc
	v_lshrrev_b64 v[16:17], v18, v[16:17]
; %bb.1581:                             ;   in Loop: Header=BB4_772 Depth=4
	s_andn2_saveexec_b64 vcc, s[30:31]
; %bb.1582:                             ;   in Loop: Header=BB4_772 Depth=4
	v_bfe_u32 v7, v16, 23, 1
; %bb.1583:                             ;   in Loop: Header=BB4_772 Depth=4
	s_or_b64 exec, exec, vcc
	v_lshrrev_b64 v[16:17], 21, v[16:17]
	v_cmp_gt_i32_e32 vcc, 32, v7
	v_cndmask_b32_e32 v17, 0, v17, vcc
	v_cndmask_b32_e32 v16, 3, v16, vcc
	v_cmp_eq_u32_e32 vcc, 0, v7
	v_min_i32_e32 v7, 31, v7
	v_cmp_eq_u64_e64 s[30:31], 0, v[16:17]
	v_lshlrev_b32_e32 v7, 2, v7
	v_and_or_b32 v7, v16, 3, v7
	s_and_b64 vcc, vcc, s[30:31]
	v_cndmask_b32_e64 v7, v7, 0, vcc
	v_or_b32_e32 v23, v7, v0
.LBB4_1584:                             ;   in Loop: Header=BB4_772 Depth=4
	s_or_b64 exec, exec, s[72:73]
.LBB4_1585:                             ;   in Loop: Header=BB4_772 Depth=4
	s_or_b64 exec, exec, s[70:71]
                                        ; implicit-def: $vgpr7
.LBB4_1586:                             ;   in Loop: Header=BB4_772 Depth=4
	s_andn2_saveexec_b64 s[30:31], s[68:69]
; %bb.1587:                             ;   in Loop: Header=BB4_772 Depth=4
	v_or_b32_sdwa v0, v7, s39 dst_sel:DWORD dst_unused:UNUSED_PAD src0_sel:BYTE_3 src1_sel:DWORD
	v_cmp_eq_u64_e32 vcc, 0, v[42:43]
	v_cndmask_b32_e32 v23, v0, v23, vcc
; %bb.1588:                             ;   in Loop: Header=BB4_772 Depth=4
	s_or_b64 exec, exec, s[30:31]
	v_lshrrev_b16_e32 v42, 8, v12
	v_lshrrev_b16_e32 v16, 8, v8
	s_and_b64 vcc, exec, s[28:29]
	v_cmp_ne_u16_e64 s[30:31], 0, v42
	s_cbranch_vccnz .LBB4_1606
; %bb.1589:                             ;   in Loop: Header=BB4_772 Depth=4
	v_mov_b32_e32 v7, 0
	v_mov_b32_e32 v0, 0
	s_and_saveexec_b64 s[68:69], s[30:31]
	s_cbranch_execz .LBB4_1597
; %bb.1590:                             ;   in Loop: Header=BB4_772 Depth=4
	v_cmp_ne_u16_e32 vcc, s97, v42
	v_bfrev_b32_e32 v0, 1
	s_and_saveexec_b64 s[70:71], vcc
	s_cbranch_execz .LBB4_1596
; %bb.1591:                             ;   in Loop: Header=BB4_772 Depth=4
	v_and_b32_e32 v0, 0x7c, v42
	v_and_b32_e32 v17, 3, v42
	v_cmp_ne_u32_e32 vcc, s95, v0
                                        ; implicit-def: $vgpr0
	s_and_saveexec_b64 s[72:73], vcc
	s_xor_b64 s[72:73], exec, s[72:73]
	s_cbranch_execz .LBB4_1593
; %bb.1592:                             ;   in Loop: Header=BB4_772 Depth=4
	v_ffbh_u32_e32 v18, v17
	v_min_u32_e32 v20, 32, v18
	v_subrev_u32_e32 v18, 29, v20
	v_bfe_u32 v0, v42, 2, 5
	v_lshlrev_b64 v[18:19], v18, v[42:43]
	v_sub_u32_e32 v19, 30, v20
	v_cmp_eq_u32_e32 vcc, 0, v0
	v_and_b32_e32 v18, 3, v18
	v_cndmask_b32_e32 v0, v0, v19, vcc
	v_bfrev_b32_e32 v19, 28
	v_cndmask_b32_e32 v17, v17, v18, vcc
	v_lshlrev_b32_e32 v18, 16, v12
	v_lshl_add_u32 v0, v0, 23, v19
	v_and_or_b32 v0, v18, s96, v0
	v_lshl_or_b32 v0, v17, 21, v0
                                        ; implicit-def: $vgpr17
.LBB4_1593:                             ;   in Loop: Header=BB4_772 Depth=4
	s_andn2_saveexec_b64 s[72:73], s[72:73]
; %bb.1594:                             ;   in Loop: Header=BB4_772 Depth=4
	v_cmp_lt_i16_e32 vcc, -1, v12
	v_cndmask_b32_e32 v0, v6, v1, vcc
	v_cmp_eq_u32_e32 vcc, 0, v17
	v_mov_b32_e32 v17, 0x7f800001
	v_cndmask_b32_e32 v0, v17, v0, vcc
; %bb.1595:                             ;   in Loop: Header=BB4_772 Depth=4
	s_or_b64 exec, exec, s[72:73]
.LBB4_1596:                             ;   in Loop: Header=BB4_772 Depth=4
	s_or_b64 exec, exec, s[70:71]
.LBB4_1597:                             ;   in Loop: Header=BB4_772 Depth=4
	s_or_b64 exec, exec, s[68:69]
	v_cmp_ne_u16_e32 vcc, 0, v16
	s_and_saveexec_b64 s[68:69], vcc
	s_cbranch_execz .LBB4_1605
; %bb.1598:                             ;   in Loop: Header=BB4_772 Depth=4
	v_cmp_ne_u16_e32 vcc, s97, v16
	v_bfrev_b32_e32 v7, 1
	s_and_saveexec_b64 s[70:71], vcc
	s_cbranch_execz .LBB4_1604
; %bb.1599:                             ;   in Loop: Header=BB4_772 Depth=4
	v_and_b32_e32 v7, 0x7c, v16
	v_and_b32_e32 v18, 3, v16
	v_cmp_ne_u32_e32 vcc, s95, v7
                                        ; implicit-def: $vgpr7
	s_and_saveexec_b64 s[72:73], vcc
	s_xor_b64 s[72:73], exec, s[72:73]
	s_cbranch_execz .LBB4_1601
; %bb.1600:                             ;   in Loop: Header=BB4_772 Depth=4
	v_ffbh_u32_e32 v19, v18
	v_min_u32_e32 v19, 32, v19
	v_mov_b32_e32 v17, v43
	v_subrev_u32_e32 v20, 29, v19
	v_bfe_u32 v7, v16, 2, 5
	v_lshlrev_b64 v[20:21], v20, v[16:17]
	v_sub_u32_e32 v17, 30, v19
	v_and_b32_e32 v19, 3, v20
	v_cmp_eq_u32_e32 vcc, 0, v7
	v_cndmask_b32_e32 v7, v7, v17, vcc
	v_cndmask_b32_e32 v17, v18, v19, vcc
	v_bfrev_b32_e32 v19, 28
	v_lshlrev_b32_e32 v18, 16, v8
	v_lshl_add_u32 v7, v7, 23, v19
	v_and_or_b32 v7, v18, s96, v7
	v_lshl_or_b32 v7, v17, 21, v7
                                        ; implicit-def: $vgpr18
.LBB4_1601:                             ;   in Loop: Header=BB4_772 Depth=4
	s_andn2_saveexec_b64 s[72:73], s[72:73]
; %bb.1602:                             ;   in Loop: Header=BB4_772 Depth=4
	v_cmp_lt_i16_e32 vcc, -1, v8
	v_cndmask_b32_e32 v7, v6, v1, vcc
	v_cmp_eq_u32_e32 vcc, 0, v18
	v_mov_b32_e32 v17, 0x7f800001
	v_cndmask_b32_e32 v7, v17, v7, vcc
; %bb.1603:                             ;   in Loop: Header=BB4_772 Depth=4
	s_or_b64 exec, exec, s[72:73]
.LBB4_1604:                             ;   in Loop: Header=BB4_772 Depth=4
	s_or_b64 exec, exec, s[70:71]
.LBB4_1605:                             ;   in Loop: Header=BB4_772 Depth=4
	s_or_b64 exec, exec, s[68:69]
	v_max_f32_e32 v7, v7, v7
	v_max_f32_e32 v0, v0, v0
	;; [unrolled: 1-line block ×3, first 2 shown]
	s_branch .LBB4_1624
.LBB4_1606:                             ;   in Loop: Header=BB4_772 Depth=4
                                        ; implicit-def: $vgpr17
	s_cbranch_execz .LBB4_1624
; %bb.1607:                             ;   in Loop: Header=BB4_772 Depth=4
	v_mov_b32_e32 v7, 0
	v_mov_b32_e32 v0, 0
	s_and_saveexec_b64 s[68:69], s[30:31]
	s_cbranch_execz .LBB4_1615
; %bb.1608:                             ;   in Loop: Header=BB4_772 Depth=4
	v_cmp_ne_u16_e32 vcc, s97, v42
	v_bfrev_b32_e32 v0, 1
	s_and_saveexec_b64 s[30:31], vcc
	s_cbranch_execz .LBB4_1614
; %bb.1609:                             ;   in Loop: Header=BB4_772 Depth=4
	v_and_b32_e32 v0, 0x7c, v42
	v_and_b32_e32 v17, 3, v42
	v_cmp_ne_u32_e32 vcc, s95, v0
                                        ; implicit-def: $vgpr0
	s_and_saveexec_b64 s[70:71], vcc
	s_xor_b64 s[70:71], exec, s[70:71]
	s_cbranch_execz .LBB4_1611
; %bb.1610:                             ;   in Loop: Header=BB4_772 Depth=4
	v_ffbh_u32_e32 v18, v17
	v_min_u32_e32 v20, 32, v18
	v_subrev_u32_e32 v18, 29, v20
	v_bfe_u32 v0, v42, 2, 5
	v_lshlrev_b64 v[18:19], v18, v[42:43]
	v_sub_u32_e32 v19, 30, v20
	v_cmp_eq_u32_e32 vcc, 0, v0
	v_and_b32_e32 v18, 3, v18
	v_cndmask_b32_e32 v0, v0, v19, vcc
	v_bfrev_b32_e32 v19, 28
	v_cndmask_b32_e32 v17, v17, v18, vcc
	v_lshlrev_b32_e32 v18, 16, v12
	v_lshl_add_u32 v0, v0, 23, v19
	v_and_or_b32 v0, v18, s96, v0
	v_lshl_or_b32 v0, v17, 21, v0
                                        ; implicit-def: $vgpr17
.LBB4_1611:                             ;   in Loop: Header=BB4_772 Depth=4
	s_andn2_saveexec_b64 s[70:71], s[70:71]
; %bb.1612:                             ;   in Loop: Header=BB4_772 Depth=4
	v_cmp_lt_i16_e32 vcc, -1, v12
	v_cndmask_b32_e32 v0, v6, v1, vcc
	v_cmp_eq_u32_e32 vcc, 0, v17
	v_mov_b32_e32 v17, 0x7f800001
	v_cndmask_b32_e32 v0, v17, v0, vcc
; %bb.1613:                             ;   in Loop: Header=BB4_772 Depth=4
	s_or_b64 exec, exec, s[70:71]
.LBB4_1614:                             ;   in Loop: Header=BB4_772 Depth=4
	s_or_b64 exec, exec, s[30:31]
.LBB4_1615:                             ;   in Loop: Header=BB4_772 Depth=4
	s_or_b64 exec, exec, s[68:69]
	v_cmp_ne_u16_e32 vcc, 0, v16
	s_and_saveexec_b64 s[30:31], vcc
	s_cbranch_execz .LBB4_1623
; %bb.1616:                             ;   in Loop: Header=BB4_772 Depth=4
	v_cmp_ne_u16_e32 vcc, s97, v16
	v_bfrev_b32_e32 v7, 1
	s_and_saveexec_b64 s[68:69], vcc
	s_cbranch_execz .LBB4_1622
; %bb.1617:                             ;   in Loop: Header=BB4_772 Depth=4
	v_and_b32_e32 v7, 0x7c, v16
	v_and_b32_e32 v18, 3, v16
	v_cmp_ne_u32_e32 vcc, s95, v7
                                        ; implicit-def: $vgpr7
	s_and_saveexec_b64 s[70:71], vcc
	s_xor_b64 s[70:71], exec, s[70:71]
	s_cbranch_execz .LBB4_1619
; %bb.1618:                             ;   in Loop: Header=BB4_772 Depth=4
	v_ffbh_u32_e32 v19, v18
	v_min_u32_e32 v19, 32, v19
	v_mov_b32_e32 v17, v43
	v_subrev_u32_e32 v20, 29, v19
	v_bfe_u32 v7, v16, 2, 5
	v_lshlrev_b64 v[16:17], v20, v[16:17]
	v_sub_u32_e32 v17, 30, v19
	v_and_b32_e32 v16, 3, v16
	v_cmp_eq_u32_e32 vcc, 0, v7
	v_cndmask_b32_e32 v7, v7, v17, vcc
	v_cndmask_b32_e32 v16, v18, v16, vcc
	v_bfrev_b32_e32 v18, 28
	v_lshlrev_b32_e32 v17, 16, v8
	v_lshl_add_u32 v7, v7, 23, v18
	v_and_or_b32 v7, v17, s96, v7
	v_lshl_or_b32 v7, v16, 21, v7
                                        ; implicit-def: $vgpr18
.LBB4_1619:                             ;   in Loop: Header=BB4_772 Depth=4
	s_andn2_saveexec_b64 s[70:71], s[70:71]
; %bb.1620:                             ;   in Loop: Header=BB4_772 Depth=4
	v_cmp_lt_i16_e32 vcc, -1, v8
	v_cndmask_b32_e32 v7, v6, v1, vcc
	v_cmp_eq_u32_e32 vcc, 0, v18
	v_mov_b32_e32 v16, 0x7f800001
	v_cndmask_b32_e32 v7, v16, v7, vcc
; %bb.1621:                             ;   in Loop: Header=BB4_772 Depth=4
	s_or_b64 exec, exec, s[70:71]
.LBB4_1622:                             ;   in Loop: Header=BB4_772 Depth=4
	s_or_b64 exec, exec, s[68:69]
.LBB4_1623:                             ;   in Loop: Header=BB4_772 Depth=4
	s_or_b64 exec, exec, s[30:31]
	v_max_f32_e32 v7, v7, v7
	v_max_f32_e32 v0, v0, v0
	v_min_f32_e32 v17, v0, v7
.LBB4_1624:                             ;   in Loop: Header=BB4_772 Depth=4
	v_and_b32_sdwa v0, v17, s97 dst_sel:DWORD dst_unused:UNUSED_PAD src0_sel:BYTE_3 src1_sel:DWORD
	v_and_b32_e32 v18, 0x7f800000, v17
	v_mov_b32_e32 v19, v43
	v_and_b32_e32 v42, 0x7fffff, v17
	v_or_b32_e32 v7, 0x7b, v0
	v_cmp_ne_u64_e32 vcc, s[52:53], v[18:19]
	s_and_saveexec_b64 s[30:31], vcc
	s_xor_b64 s[68:69], exec, s[30:31]
	s_cbranch_execz .LBB4_1634
; %bb.1625:                             ;   in Loop: Header=BB4_772 Depth=4
	v_and_b32_e32 v18, 0x7fffffff, v17
	v_mov_b32_e32 v19, v43
	v_cmp_gt_u64_e32 vcc, s[54:55], v[18:19]
	s_and_saveexec_b64 s[70:71], vcc
	s_cbranch_execz .LBB4_1633
; %bb.1626:                             ;   in Loop: Header=BB4_772 Depth=4
	v_cmp_ne_u32_e32 vcc, 0, v17
	v_mov_b32_e32 v7, 0
	s_and_saveexec_b64 s[72:73], vcc
	s_cbranch_execz .LBB4_1632
; %bb.1627:                             ;   in Loop: Header=BB4_772 Depth=4
	v_bfe_u32 v7, v17, 23, 8
	v_cmp_eq_u32_e32 vcc, 0, v7
	v_add_u32_e32 v16, 0xffffff81, v7
	v_cmp_gt_u32_e64 s[30:31], s38, v7
	v_sub_u32_e32 v7, 0x71, v7
	v_mov_b32_e32 v18, 0xffffff82
	v_cndmask_b32_e64 v7, 0, v7, s[30:31]
	v_cndmask_b32_e32 v20, v16, v18, vcc
	v_mov_b32_e32 v16, 0x70
	v_cndmask_b32_e32 v7, v7, v16, vcc
	v_or_b32_e32 v17, 0x800000, v42
	v_add_u32_e32 v16, 21, v7
	v_cndmask_b32_e32 v42, v17, v42, vcc
	v_lshlrev_b64 v[16:17], v16, -1
	v_not_b32_e32 v17, v17
	v_not_b32_e32 v16, v16
	v_add_u32_e32 v18, 20, v7
	v_and_b32_e32 v17, 0, v17
	v_and_b32_e32 v16, v42, v16
	v_lshlrev_b64 v[18:19], v18, 1
	v_cmp_eq_u64_e32 vcc, v[16:17], v[18:19]
	v_lshrrev_b64 v[16:17], v7, v[42:43]
	v_lshrrev_b32_e32 v18, 23, v16
	v_add3_u32 v19, v7, v20, v18
	v_bfe_u32 v7, v16, 21, 1
	v_add_u32_e32 v7, -1, v7
	v_cndmask_b32_e32 v7, 0, v7, vcc
	v_add_u32_e32 v7, v7, v16
	v_and_b32_e32 v7, 0x1fffff, v7
	v_add_co_u32_e32 v16, vcc, v7, v16
	v_add_u32_e32 v18, 14, v19
	v_addc_co_u32_e32 v17, vcc, 0, v17, vcc
	v_cmp_ne_u32_e32 vcc, 0, v18
                                        ; implicit-def: $vgpr7
	s_and_saveexec_b64 s[30:31], vcc
	s_xor_b64 s[30:31], exec, s[30:31]
; %bb.1628:                             ;   in Loop: Header=BB4_772 Depth=4
	v_add_u32_e32 v7, 15, v19
	v_cmp_lt_u64_e32 vcc, s[56:57], v[16:17]
	v_cndmask_b32_e32 v7, v18, v7, vcc
	v_cndmask_b32_e64 v18, 0, 1, vcc
	v_lshrrev_b64 v[16:17], v18, v[16:17]
; %bb.1629:                             ;   in Loop: Header=BB4_772 Depth=4
	s_andn2_saveexec_b64 vcc, s[30:31]
; %bb.1630:                             ;   in Loop: Header=BB4_772 Depth=4
	v_bfe_u32 v7, v16, 23, 1
; %bb.1631:                             ;   in Loop: Header=BB4_772 Depth=4
	s_or_b64 exec, exec, vcc
	v_lshrrev_b64 v[16:17], 21, v[16:17]
	v_cmp_gt_i32_e32 vcc, 32, v7
	v_cndmask_b32_e32 v17, 0, v17, vcc
	v_cndmask_b32_e32 v16, 3, v16, vcc
	v_cmp_eq_u32_e32 vcc, 0, v7
	v_min_i32_e32 v7, 31, v7
	v_cmp_eq_u64_e64 s[30:31], 0, v[16:17]
	v_lshlrev_b32_e32 v7, 2, v7
	v_and_or_b32 v7, v16, 3, v7
	s_and_b64 vcc, vcc, s[30:31]
	v_cndmask_b32_e64 v7, v7, 0, vcc
	v_or_b32_e32 v7, v7, v0
.LBB4_1632:                             ;   in Loop: Header=BB4_772 Depth=4
	s_or_b64 exec, exec, s[72:73]
.LBB4_1633:                             ;   in Loop: Header=BB4_772 Depth=4
	s_or_b64 exec, exec, s[70:71]
                                        ; implicit-def: $vgpr17
.LBB4_1634:                             ;   in Loop: Header=BB4_772 Depth=4
	s_andn2_saveexec_b64 s[30:31], s[68:69]
; %bb.1635:                             ;   in Loop: Header=BB4_772 Depth=4
	v_or_b32_sdwa v0, v17, s39 dst_sel:DWORD dst_unused:UNUSED_PAD src0_sel:BYTE_3 src1_sel:DWORD
	v_cmp_eq_u64_e32 vcc, 0, v[42:43]
	v_cndmask_b32_e32 v7, v0, v7, vcc
; %bb.1636:                             ;   in Loop: Header=BB4_772 Depth=4
	s_or_b64 exec, exec, s[30:31]
	v_lshrrev_b32_e32 v18, 16, v12
	v_lshrrev_b32_e32 v16, 16, v8
	s_and_b64 vcc, exec, s[28:29]
	v_cmp_ne_u16_sdwa s[30:31], v18, v43 src0_sel:BYTE_0 src1_sel:DWORD
	s_cbranch_vccnz .LBB4_1654
; %bb.1637:                             ;   in Loop: Header=BB4_772 Depth=4
	v_mov_b32_e32 v17, 0
	v_mov_b32_e32 v0, 0
	s_and_saveexec_b64 s[68:69], s[30:31]
	s_cbranch_execz .LBB4_1645
; %bb.1638:                             ;   in Loop: Header=BB4_772 Depth=4
	v_cmp_ne_u16_sdwa vcc, v18, s97 src0_sel:BYTE_0 src1_sel:DWORD
	v_bfrev_b32_e32 v0, 1
	s_and_saveexec_b64 s[70:71], vcc
	s_cbranch_execz .LBB4_1644
; %bb.1639:                             ;   in Loop: Header=BB4_772 Depth=4
	v_and_b32_e32 v0, 0x7c0000, v12
	v_bfe_u32 v19, v12, 16, 2
	v_cmp_ne_u32_e32 vcc, s36, v0
                                        ; implicit-def: $vgpr0
	s_and_saveexec_b64 s[72:73], vcc
	s_xor_b64 s[72:73], exec, s[72:73]
	s_cbranch_execz .LBB4_1641
; %bb.1640:                             ;   in Loop: Header=BB4_772 Depth=4
	v_ffbh_u32_e32 v20, v19
	v_min_u32_e32 v30, 32, v20
	v_subrev_u32_e32 v20, 29, v30
	v_bfe_u32 v0, v12, 18, 5
	v_lshlrev_b64 v[20:21], v20, v[18:19]
	v_sub_u32_e32 v21, 30, v30
	v_cmp_eq_u32_e32 vcc, 0, v0
	v_and_b32_e32 v20, 3, v20
	v_cndmask_b32_e32 v0, v0, v21, vcc
	v_bfrev_b32_e32 v21, 28
	v_cndmask_b32_e32 v19, v19, v20, vcc
	v_lshlrev_b32_e32 v20, 24, v18
	v_lshl_add_u32 v0, v0, 23, v21
	v_and_or_b32 v0, v20, s96, v0
	v_lshl_or_b32 v0, v19, 21, v0
                                        ; implicit-def: $vgpr19
.LBB4_1641:                             ;   in Loop: Header=BB4_772 Depth=4
	s_andn2_saveexec_b64 s[72:73], s[72:73]
; %bb.1642:                             ;   in Loop: Header=BB4_772 Depth=4
	v_mov_b32_e32 v0, -1
	v_cmp_gt_i16_sdwa vcc, sext(v18), v0 src0_sel:BYTE_0 src1_sel:DWORD
	v_cndmask_b32_e32 v0, v6, v1, vcc
	v_cmp_eq_u32_e32 vcc, 0, v19
	v_mov_b32_e32 v19, 0x7f800001
	v_cndmask_b32_e32 v0, v19, v0, vcc
; %bb.1643:                             ;   in Loop: Header=BB4_772 Depth=4
	s_or_b64 exec, exec, s[72:73]
.LBB4_1644:                             ;   in Loop: Header=BB4_772 Depth=4
	s_or_b64 exec, exec, s[70:71]
.LBB4_1645:                             ;   in Loop: Header=BB4_772 Depth=4
	s_or_b64 exec, exec, s[68:69]
	v_cmp_ne_u16_sdwa vcc, v16, v43 src0_sel:BYTE_0 src1_sel:DWORD
	s_and_saveexec_b64 s[68:69], vcc
	s_cbranch_execz .LBB4_1653
; %bb.1646:                             ;   in Loop: Header=BB4_772 Depth=4
	v_cmp_ne_u16_sdwa vcc, v16, s97 src0_sel:BYTE_0 src1_sel:DWORD
	v_bfrev_b32_e32 v17, 1
	s_and_saveexec_b64 s[70:71], vcc
	s_cbranch_execz .LBB4_1652
; %bb.1647:                             ;   in Loop: Header=BB4_772 Depth=4
	v_and_b32_e32 v17, 0x7c0000, v8
	v_bfe_u32 v19, v8, 16, 2
	v_cmp_ne_u32_e32 vcc, s36, v17
                                        ; implicit-def: $vgpr17
	s_and_saveexec_b64 s[72:73], vcc
	s_xor_b64 s[72:73], exec, s[72:73]
	s_cbranch_execz .LBB4_1649
; %bb.1648:                             ;   in Loop: Header=BB4_772 Depth=4
	v_ffbh_u32_e32 v20, v19
	v_min_u32_e32 v30, 32, v20
	v_bfe_u32 v17, v8, 18, 5
	v_subrev_u32_e32 v20, 29, v30
	v_lshlrev_b64 v[20:21], v20, v[16:17]
	v_sub_u32_e32 v21, 30, v30
	v_cmp_eq_u32_e32 vcc, 0, v17
	v_and_b32_e32 v20, 3, v20
	v_cndmask_b32_e32 v17, v17, v21, vcc
	v_bfrev_b32_e32 v21, 28
	v_cndmask_b32_e32 v19, v19, v20, vcc
	v_lshlrev_b32_e32 v20, 24, v16
	v_lshl_add_u32 v17, v17, 23, v21
	v_and_or_b32 v17, v20, s96, v17
	v_lshl_or_b32 v17, v19, 21, v17
                                        ; implicit-def: $vgpr19
.LBB4_1649:                             ;   in Loop: Header=BB4_772 Depth=4
	s_andn2_saveexec_b64 s[72:73], s[72:73]
; %bb.1650:                             ;   in Loop: Header=BB4_772 Depth=4
	v_mov_b32_e32 v17, -1
	v_cmp_gt_i16_sdwa vcc, sext(v16), v17 src0_sel:BYTE_0 src1_sel:DWORD
	v_cndmask_b32_e32 v17, v6, v1, vcc
	v_cmp_eq_u32_e32 vcc, 0, v19
	v_mov_b32_e32 v19, 0x7f800001
	v_cndmask_b32_e32 v17, v19, v17, vcc
; %bb.1651:                             ;   in Loop: Header=BB4_772 Depth=4
	s_or_b64 exec, exec, s[72:73]
.LBB4_1652:                             ;   in Loop: Header=BB4_772 Depth=4
	s_or_b64 exec, exec, s[70:71]
.LBB4_1653:                             ;   in Loop: Header=BB4_772 Depth=4
	s_or_b64 exec, exec, s[68:69]
	v_max_f32_e32 v17, v17, v17
	v_max_f32_e32 v0, v0, v0
	;; [unrolled: 1-line block ×3, first 2 shown]
	s_branch .LBB4_1672
.LBB4_1654:                             ;   in Loop: Header=BB4_772 Depth=4
                                        ; implicit-def: $vgpr17
	s_cbranch_execz .LBB4_1672
; %bb.1655:                             ;   in Loop: Header=BB4_772 Depth=4
	v_mov_b32_e32 v17, 0
	v_mov_b32_e32 v0, 0
	s_and_saveexec_b64 s[68:69], s[30:31]
	s_cbranch_execz .LBB4_1663
; %bb.1656:                             ;   in Loop: Header=BB4_772 Depth=4
	v_cmp_ne_u16_sdwa vcc, v18, s97 src0_sel:BYTE_0 src1_sel:DWORD
	v_bfrev_b32_e32 v0, 1
	s_and_saveexec_b64 s[30:31], vcc
	s_cbranch_execz .LBB4_1662
; %bb.1657:                             ;   in Loop: Header=BB4_772 Depth=4
	v_and_b32_e32 v0, 0x7c0000, v12
	v_bfe_u32 v19, v12, 16, 2
	v_cmp_ne_u32_e32 vcc, s36, v0
                                        ; implicit-def: $vgpr0
	s_and_saveexec_b64 s[70:71], vcc
	s_xor_b64 s[70:71], exec, s[70:71]
	s_cbranch_execz .LBB4_1659
; %bb.1658:                             ;   in Loop: Header=BB4_772 Depth=4
	v_ffbh_u32_e32 v20, v19
	v_min_u32_e32 v30, 32, v20
	v_subrev_u32_e32 v20, 29, v30
	v_bfe_u32 v0, v12, 18, 5
	v_lshlrev_b64 v[20:21], v20, v[18:19]
	v_sub_u32_e32 v21, 30, v30
	v_and_b32_e32 v20, 3, v20
	v_cmp_eq_u32_e32 vcc, 0, v0
	v_cndmask_b32_e32 v0, v0, v21, vcc
	v_cndmask_b32_e32 v19, v19, v20, vcc
	v_bfrev_b32_e32 v20, 28
	v_lshlrev_b32_e32 v18, 24, v18
	v_lshl_add_u32 v0, v0, 23, v20
	v_and_or_b32 v0, v18, s96, v0
	v_lshl_or_b32 v0, v19, 21, v0
                                        ; implicit-def: $vgpr19
                                        ; implicit-def: $vgpr18
.LBB4_1659:                             ;   in Loop: Header=BB4_772 Depth=4
	s_andn2_saveexec_b64 s[70:71], s[70:71]
; %bb.1660:                             ;   in Loop: Header=BB4_772 Depth=4
	v_mov_b32_e32 v0, -1
	v_cmp_gt_i16_sdwa vcc, sext(v18), v0 src0_sel:BYTE_0 src1_sel:DWORD
	v_cndmask_b32_e32 v0, v6, v1, vcc
	v_cmp_eq_u32_e32 vcc, 0, v19
	v_mov_b32_e32 v18, 0x7f800001
	v_cndmask_b32_e32 v0, v18, v0, vcc
; %bb.1661:                             ;   in Loop: Header=BB4_772 Depth=4
	s_or_b64 exec, exec, s[70:71]
.LBB4_1662:                             ;   in Loop: Header=BB4_772 Depth=4
	s_or_b64 exec, exec, s[30:31]
.LBB4_1663:                             ;   in Loop: Header=BB4_772 Depth=4
	s_or_b64 exec, exec, s[68:69]
	v_cmp_ne_u16_sdwa vcc, v16, v43 src0_sel:BYTE_0 src1_sel:DWORD
	s_and_saveexec_b64 s[30:31], vcc
	s_cbranch_execz .LBB4_1671
; %bb.1664:                             ;   in Loop: Header=BB4_772 Depth=4
	v_cmp_ne_u16_sdwa vcc, v16, s97 src0_sel:BYTE_0 src1_sel:DWORD
	v_bfrev_b32_e32 v17, 1
	s_and_saveexec_b64 s[68:69], vcc
	s_cbranch_execz .LBB4_1670
; %bb.1665:                             ;   in Loop: Header=BB4_772 Depth=4
	v_and_b32_e32 v17, 0x7c0000, v8
	v_bfe_u32 v18, v8, 16, 2
	v_cmp_ne_u32_e32 vcc, s36, v17
                                        ; implicit-def: $vgpr17
	s_and_saveexec_b64 s[70:71], vcc
	s_xor_b64 s[70:71], exec, s[70:71]
	s_cbranch_execz .LBB4_1667
; %bb.1666:                             ;   in Loop: Header=BB4_772 Depth=4
	v_ffbh_u32_e32 v19, v18
	v_bfe_u32 v17, v8, 18, 5
	v_min_u32_e32 v19, 32, v19
	v_subrev_u32_e32 v20, 29, v19
	v_sub_u32_e32 v19, 30, v19
	v_cmp_eq_u32_e32 vcc, 0, v17
	v_lshlrev_b64 v[20:21], v20, v[16:17]
	v_cndmask_b32_e32 v17, v17, v19, vcc
	v_bfrev_b32_e32 v19, 28
	v_and_b32_e32 v20, 3, v20
	v_lshlrev_b32_e32 v16, 24, v16
	v_lshl_add_u32 v17, v17, 23, v19
	v_cndmask_b32_e32 v18, v18, v20, vcc
	v_and_or_b32 v16, v16, s96, v17
	v_lshl_or_b32 v17, v18, 21, v16
                                        ; implicit-def: $vgpr18
                                        ; implicit-def: $vgpr16
.LBB4_1667:                             ;   in Loop: Header=BB4_772 Depth=4
	s_andn2_saveexec_b64 s[70:71], s[70:71]
; %bb.1668:                             ;   in Loop: Header=BB4_772 Depth=4
	v_mov_b32_e32 v17, -1
	v_cmp_gt_i16_sdwa vcc, sext(v16), v17 src0_sel:BYTE_0 src1_sel:DWORD
	v_cndmask_b32_e32 v16, v6, v1, vcc
	v_cmp_eq_u32_e32 vcc, 0, v18
	v_mov_b32_e32 v17, 0x7f800001
	v_cndmask_b32_e32 v17, v17, v16, vcc
; %bb.1669:                             ;   in Loop: Header=BB4_772 Depth=4
	s_or_b64 exec, exec, s[70:71]
.LBB4_1670:                             ;   in Loop: Header=BB4_772 Depth=4
	s_or_b64 exec, exec, s[68:69]
.LBB4_1671:                             ;   in Loop: Header=BB4_772 Depth=4
	s_or_b64 exec, exec, s[30:31]
	v_max_f32_e32 v16, v17, v17
	v_max_f32_e32 v0, v0, v0
	v_min_f32_e32 v17, v0, v16
.LBB4_1672:                             ;   in Loop: Header=BB4_772 Depth=4
	v_and_b32_sdwa v0, v17, s97 dst_sel:DWORD dst_unused:UNUSED_PAD src0_sel:BYTE_3 src1_sel:DWORD
	v_and_b32_e32 v18, 0x7f800000, v17
	v_mov_b32_e32 v19, v43
	v_and_b32_e32 v42, 0x7fffff, v17
	v_or_b32_e32 v30, 0x7b, v0
	v_cmp_ne_u64_e32 vcc, s[52:53], v[18:19]
	s_and_saveexec_b64 s[30:31], vcc
	s_xor_b64 s[68:69], exec, s[30:31]
	s_cbranch_execz .LBB4_1682
; %bb.1673:                             ;   in Loop: Header=BB4_772 Depth=4
	v_and_b32_e32 v18, 0x7fffffff, v17
	v_mov_b32_e32 v19, v43
	v_cmp_gt_u64_e32 vcc, s[54:55], v[18:19]
	s_and_saveexec_b64 s[70:71], vcc
	s_cbranch_execz .LBB4_1681
; %bb.1674:                             ;   in Loop: Header=BB4_772 Depth=4
	v_cmp_ne_u32_e32 vcc, 0, v17
	v_mov_b32_e32 v30, 0
	s_and_saveexec_b64 s[72:73], vcc
	s_cbranch_execz .LBB4_1680
; %bb.1675:                             ;   in Loop: Header=BB4_772 Depth=4
	v_bfe_u32 v16, v17, 23, 8
	v_cmp_eq_u32_e32 vcc, 0, v16
	v_add_u32_e32 v17, 0xffffff81, v16
	v_cmp_gt_u32_e64 s[30:31], s38, v16
	v_sub_u32_e32 v16, 0x71, v16
	v_mov_b32_e32 v19, 0xffffff82
	v_cndmask_b32_e64 v16, 0, v16, s[30:31]
	v_cndmask_b32_e32 v20, v17, v19, vcc
	v_mov_b32_e32 v17, 0x70
	v_cndmask_b32_e32 v21, v16, v17, vcc
	v_add_u32_e32 v16, 21, v21
	v_or_b32_e32 v18, 0x800000, v42
	v_lshlrev_b64 v[16:17], v16, -1
	v_cndmask_b32_e32 v42, v18, v42, vcc
	v_not_b32_e32 v17, v17
	v_not_b32_e32 v16, v16
	v_add_u32_e32 v18, 20, v21
	v_and_b32_e32 v17, 0, v17
	v_and_b32_e32 v16, v42, v16
	v_lshlrev_b64 v[18:19], v18, 1
	v_cmp_eq_u64_e32 vcc, v[16:17], v[18:19]
	v_lshrrev_b64 v[16:17], v21, v[42:43]
	v_lshrrev_b32_e32 v18, 23, v16
	v_add3_u32 v20, v21, v20, v18
	v_bfe_u32 v18, v16, 21, 1
	v_add_u32_e32 v18, -1, v18
	v_cndmask_b32_e32 v18, 0, v18, vcc
	v_add_u32_e32 v18, v18, v16
	v_and_b32_e32 v18, 0x1fffff, v18
	v_add_co_u32_e32 v16, vcc, v18, v16
	v_add_u32_e32 v19, 14, v20
	v_addc_co_u32_e32 v17, vcc, 0, v17, vcc
	v_cmp_ne_u32_e32 vcc, 0, v19
                                        ; implicit-def: $vgpr18
	s_and_saveexec_b64 s[30:31], vcc
	s_xor_b64 s[30:31], exec, s[30:31]
; %bb.1676:                             ;   in Loop: Header=BB4_772 Depth=4
	v_add_u32_e32 v18, 15, v20
	v_cmp_lt_u64_e32 vcc, s[56:57], v[16:17]
	v_cndmask_b32_e32 v18, v19, v18, vcc
	v_cndmask_b32_e64 v19, 0, 1, vcc
	v_lshrrev_b64 v[16:17], v19, v[16:17]
; %bb.1677:                             ;   in Loop: Header=BB4_772 Depth=4
	s_andn2_saveexec_b64 vcc, s[30:31]
; %bb.1678:                             ;   in Loop: Header=BB4_772 Depth=4
	v_bfe_u32 v18, v16, 23, 1
; %bb.1679:                             ;   in Loop: Header=BB4_772 Depth=4
	s_or_b64 exec, exec, vcc
	v_lshrrev_b64 v[16:17], 21, v[16:17]
	v_cmp_gt_i32_e32 vcc, 32, v18
	v_cndmask_b32_e32 v17, 0, v17, vcc
	v_cndmask_b32_e32 v16, 3, v16, vcc
	v_cmp_eq_u64_e64 s[30:31], 0, v[16:17]
	v_min_i32_e32 v17, 31, v18
	v_cmp_eq_u32_e32 vcc, 0, v18
	v_lshlrev_b32_e32 v17, 2, v17
	v_and_or_b32 v16, v16, 3, v17
	s_and_b64 vcc, vcc, s[30:31]
	v_cndmask_b32_e64 v16, v16, 0, vcc
	v_or_b32_e32 v30, v16, v0
.LBB4_1680:                             ;   in Loop: Header=BB4_772 Depth=4
	s_or_b64 exec, exec, s[72:73]
.LBB4_1681:                             ;   in Loop: Header=BB4_772 Depth=4
	s_or_b64 exec, exec, s[70:71]
                                        ; implicit-def: $vgpr17
.LBB4_1682:                             ;   in Loop: Header=BB4_772 Depth=4
	s_andn2_saveexec_b64 s[30:31], s[68:69]
; %bb.1683:                             ;   in Loop: Header=BB4_772 Depth=4
	v_or_b32_sdwa v0, v17, s39 dst_sel:DWORD dst_unused:UNUSED_PAD src0_sel:BYTE_3 src1_sel:DWORD
	v_cmp_eq_u64_e32 vcc, 0, v[42:43]
	v_cndmask_b32_e32 v30, v0, v30, vcc
; %bb.1684:                             ;   in Loop: Header=BB4_772 Depth=4
	s_or_b64 exec, exec, s[30:31]
	v_lshrrev_b32_e32 v18, 24, v12
	v_lshrrev_b32_e32 v16, 24, v8
	s_and_b64 vcc, exec, s[28:29]
	v_cmp_lt_u32_e64 s[30:31], s43, v12
	s_cbranch_vccnz .LBB4_1702
; %bb.1685:                             ;   in Loop: Header=BB4_772 Depth=4
	v_mov_b32_e32 v17, 0
	v_mov_b32_e32 v0, 0
	s_and_saveexec_b64 s[68:69], s[30:31]
	s_cbranch_execz .LBB4_1693
; %bb.1686:                             ;   in Loop: Header=BB4_772 Depth=4
	v_cmp_ne_u32_e32 vcc, s97, v18
	v_bfrev_b32_e32 v0, 1
	s_and_saveexec_b64 s[70:71], vcc
	s_cbranch_execz .LBB4_1692
; %bb.1687:                             ;   in Loop: Header=BB4_772 Depth=4
	v_and_b32_e32 v0, 0x7c000000, v12
	v_bfe_u32 v19, v12, 24, 2
	v_cmp_ne_u32_e32 vcc, s37, v0
                                        ; implicit-def: $vgpr0
	s_and_saveexec_b64 s[72:73], vcc
	s_xor_b64 s[72:73], exec, s[72:73]
	s_cbranch_execz .LBB4_1689
; %bb.1688:                             ;   in Loop: Header=BB4_772 Depth=4
	v_ffbh_u32_e32 v20, v19
	v_min_u32_e32 v32, 32, v20
	v_subrev_u32_e32 v20, 29, v32
	v_bfe_u32 v0, v12, 26, 5
	v_lshlrev_b64 v[20:21], v20, v[18:19]
	v_sub_u32_e32 v21, 30, v32
	v_and_b32_e32 v20, 3, v20
	v_cmp_eq_u32_e32 vcc, 0, v0
	v_cndmask_b32_e32 v0, v0, v21, vcc
	v_cndmask_b32_e32 v19, v19, v20, vcc
	v_bfrev_b32_e32 v20, 28
	v_lshl_add_u32 v0, v0, 23, v20
	v_and_or_b32 v0, v12, s96, v0
	v_lshl_or_b32 v0, v19, 21, v0
                                        ; implicit-def: $vgpr19
.LBB4_1689:                             ;   in Loop: Header=BB4_772 Depth=4
	s_andn2_saveexec_b64 s[72:73], s[72:73]
; %bb.1690:                             ;   in Loop: Header=BB4_772 Depth=4
	v_cmp_lt_i32_e32 vcc, -1, v12
	v_cndmask_b32_e32 v0, v6, v1, vcc
	v_cmp_eq_u32_e32 vcc, 0, v19
	v_mov_b32_e32 v19, 0x7f800001
	v_cndmask_b32_e32 v0, v19, v0, vcc
; %bb.1691:                             ;   in Loop: Header=BB4_772 Depth=4
	s_or_b64 exec, exec, s[72:73]
.LBB4_1692:                             ;   in Loop: Header=BB4_772 Depth=4
	s_or_b64 exec, exec, s[70:71]
.LBB4_1693:                             ;   in Loop: Header=BB4_772 Depth=4
	s_or_b64 exec, exec, s[68:69]
	v_cmp_lt_u32_e32 vcc, s43, v8
	s_and_saveexec_b64 s[68:69], vcc
	s_cbranch_execz .LBB4_1701
; %bb.1694:                             ;   in Loop: Header=BB4_772 Depth=4
	v_cmp_ne_u32_e32 vcc, s97, v16
	v_bfrev_b32_e32 v17, 1
	s_and_saveexec_b64 s[70:71], vcc
	s_cbranch_execz .LBB4_1700
; %bb.1695:                             ;   in Loop: Header=BB4_772 Depth=4
	v_and_b32_e32 v17, 0x7c000000, v8
	v_bfe_u32 v19, v8, 24, 2
	v_cmp_ne_u32_e32 vcc, s37, v17
                                        ; implicit-def: $vgpr17
	s_and_saveexec_b64 s[72:73], vcc
	s_xor_b64 s[72:73], exec, s[72:73]
	s_cbranch_execz .LBB4_1697
; %bb.1696:                             ;   in Loop: Header=BB4_772 Depth=4
	v_ffbh_u32_e32 v20, v19
	v_min_u32_e32 v32, 32, v20
	v_bfe_u32 v17, v8, 26, 5
	v_subrev_u32_e32 v20, 29, v32
	v_lshlrev_b64 v[20:21], v20, v[16:17]
	v_sub_u32_e32 v21, 30, v32
	v_and_b32_e32 v20, 3, v20
	v_cmp_eq_u32_e32 vcc, 0, v17
	v_cndmask_b32_e32 v17, v17, v21, vcc
	v_cndmask_b32_e32 v19, v19, v20, vcc
	v_bfrev_b32_e32 v20, 28
	v_lshl_add_u32 v17, v17, 23, v20
	v_and_or_b32 v17, v8, s96, v17
	v_lshl_or_b32 v17, v19, 21, v17
                                        ; implicit-def: $vgpr19
.LBB4_1697:                             ;   in Loop: Header=BB4_772 Depth=4
	s_andn2_saveexec_b64 s[72:73], s[72:73]
; %bb.1698:                             ;   in Loop: Header=BB4_772 Depth=4
	v_cmp_lt_i32_e32 vcc, -1, v8
	v_cndmask_b32_e32 v17, v6, v1, vcc
	v_cmp_eq_u32_e32 vcc, 0, v19
	v_mov_b32_e32 v19, 0x7f800001
	v_cndmask_b32_e32 v17, v19, v17, vcc
; %bb.1699:                             ;   in Loop: Header=BB4_772 Depth=4
	s_or_b64 exec, exec, s[72:73]
.LBB4_1700:                             ;   in Loop: Header=BB4_772 Depth=4
	s_or_b64 exec, exec, s[70:71]
.LBB4_1701:                             ;   in Loop: Header=BB4_772 Depth=4
	s_or_b64 exec, exec, s[68:69]
	v_max_f32_e32 v17, v17, v17
	v_max_f32_e32 v0, v0, v0
	;; [unrolled: 1-line block ×3, first 2 shown]
	s_branch .LBB4_1720
.LBB4_1702:                             ;   in Loop: Header=BB4_772 Depth=4
                                        ; implicit-def: $vgpr17
	s_cbranch_execz .LBB4_1720
; %bb.1703:                             ;   in Loop: Header=BB4_772 Depth=4
	v_mov_b32_e32 v17, 0
	v_mov_b32_e32 v0, 0
	s_and_saveexec_b64 s[68:69], s[30:31]
	s_cbranch_execz .LBB4_1711
; %bb.1704:                             ;   in Loop: Header=BB4_772 Depth=4
	v_cmp_ne_u32_e32 vcc, s97, v18
	v_bfrev_b32_e32 v0, 1
	s_and_saveexec_b64 s[30:31], vcc
	s_cbranch_execz .LBB4_1710
; %bb.1705:                             ;   in Loop: Header=BB4_772 Depth=4
	v_and_b32_e32 v0, 0x7c000000, v12
	v_bfe_u32 v19, v12, 24, 2
	v_cmp_ne_u32_e32 vcc, s37, v0
                                        ; implicit-def: $vgpr0
	s_and_saveexec_b64 s[70:71], vcc
	s_xor_b64 s[70:71], exec, s[70:71]
	s_cbranch_execz .LBB4_1707
; %bb.1706:                             ;   in Loop: Header=BB4_772 Depth=4
	v_ffbh_u32_e32 v20, v19
	v_min_u32_e32 v32, 32, v20
	v_subrev_u32_e32 v20, 29, v32
	v_bfe_u32 v0, v12, 26, 5
	v_lshlrev_b64 v[20:21], v20, v[18:19]
	v_sub_u32_e32 v18, 30, v32
	v_and_b32_e32 v20, 3, v20
	v_cmp_eq_u32_e32 vcc, 0, v0
	v_cndmask_b32_e32 v0, v0, v18, vcc
	v_cndmask_b32_e32 v18, v19, v20, vcc
	v_bfrev_b32_e32 v19, 28
	v_lshl_add_u32 v0, v0, 23, v19
	v_and_or_b32 v0, v12, s96, v0
	v_lshl_or_b32 v0, v18, 21, v0
                                        ; implicit-def: $vgpr19
.LBB4_1707:                             ;   in Loop: Header=BB4_772 Depth=4
	s_andn2_saveexec_b64 s[70:71], s[70:71]
; %bb.1708:                             ;   in Loop: Header=BB4_772 Depth=4
	v_cmp_lt_i32_e32 vcc, -1, v12
	v_cndmask_b32_e32 v0, v6, v1, vcc
	v_cmp_eq_u32_e32 vcc, 0, v19
	v_mov_b32_e32 v18, 0x7f800001
	v_cndmask_b32_e32 v0, v18, v0, vcc
; %bb.1709:                             ;   in Loop: Header=BB4_772 Depth=4
	s_or_b64 exec, exec, s[70:71]
.LBB4_1710:                             ;   in Loop: Header=BB4_772 Depth=4
	s_or_b64 exec, exec, s[30:31]
.LBB4_1711:                             ;   in Loop: Header=BB4_772 Depth=4
	s_or_b64 exec, exec, s[68:69]
	v_cmp_lt_u32_e32 vcc, s43, v8
	s_and_saveexec_b64 s[30:31], vcc
	s_cbranch_execz .LBB4_1719
; %bb.1712:                             ;   in Loop: Header=BB4_772 Depth=4
	v_cmp_ne_u32_e32 vcc, s97, v16
	v_bfrev_b32_e32 v17, 1
	s_and_saveexec_b64 s[68:69], vcc
	s_cbranch_execz .LBB4_1718
; %bb.1713:                             ;   in Loop: Header=BB4_772 Depth=4
	v_and_b32_e32 v17, 0x7c000000, v8
	v_bfe_u32 v18, v8, 24, 2
	v_cmp_ne_u32_e32 vcc, s37, v17
                                        ; implicit-def: $vgpr17
	s_and_saveexec_b64 s[70:71], vcc
	s_xor_b64 s[70:71], exec, s[70:71]
	s_cbranch_execz .LBB4_1715
; %bb.1714:                             ;   in Loop: Header=BB4_772 Depth=4
	v_ffbh_u32_e32 v17, v18
	v_min_u32_e32 v20, 32, v17
	v_subrev_u32_e32 v17, 29, v20
	v_bfe_u32 v19, v8, 26, 5
	v_lshlrev_b64 v[16:17], v17, v[16:17]
	v_sub_u32_e32 v17, 30, v20
	v_and_b32_e32 v16, 3, v16
	v_cmp_eq_u32_e32 vcc, 0, v19
	v_cndmask_b32_e32 v17, v19, v17, vcc
	v_cndmask_b32_e32 v16, v18, v16, vcc
	v_bfrev_b32_e32 v18, 28
	v_lshl_add_u32 v17, v17, 23, v18
	v_and_or_b32 v17, v8, s96, v17
	v_lshl_or_b32 v17, v16, 21, v17
                                        ; implicit-def: $vgpr18
.LBB4_1715:                             ;   in Loop: Header=BB4_772 Depth=4
	s_andn2_saveexec_b64 s[70:71], s[70:71]
; %bb.1716:                             ;   in Loop: Header=BB4_772 Depth=4
	v_cmp_lt_i32_e32 vcc, -1, v8
	v_cndmask_b32_e32 v16, v6, v1, vcc
	v_cmp_eq_u32_e32 vcc, 0, v18
	v_mov_b32_e32 v17, 0x7f800001
	v_cndmask_b32_e32 v17, v17, v16, vcc
; %bb.1717:                             ;   in Loop: Header=BB4_772 Depth=4
	s_or_b64 exec, exec, s[70:71]
.LBB4_1718:                             ;   in Loop: Header=BB4_772 Depth=4
	s_or_b64 exec, exec, s[68:69]
.LBB4_1719:                             ;   in Loop: Header=BB4_772 Depth=4
	s_or_b64 exec, exec, s[30:31]
	v_max_f32_e32 v16, v17, v17
	v_max_f32_e32 v0, v0, v0
	v_min_f32_e32 v17, v0, v16
.LBB4_1720:                             ;   in Loop: Header=BB4_772 Depth=4
	v_and_b32_sdwa v0, v17, s97 dst_sel:DWORD dst_unused:UNUSED_PAD src0_sel:BYTE_3 src1_sel:DWORD
	v_and_b32_e32 v18, 0x7f800000, v17
	v_mov_b32_e32 v19, v43
	v_and_b32_e32 v42, 0x7fffff, v17
	v_or_b32_e32 v60, 0x7b, v0
	v_cmp_ne_u64_e32 vcc, s[52:53], v[18:19]
	s_and_saveexec_b64 s[30:31], vcc
	s_xor_b64 s[68:69], exec, s[30:31]
	s_cbranch_execz .LBB4_1730
; %bb.1721:                             ;   in Loop: Header=BB4_772 Depth=4
	v_and_b32_e32 v18, 0x7fffffff, v17
	v_mov_b32_e32 v19, v43
	v_cmp_gt_u64_e32 vcc, s[54:55], v[18:19]
	s_and_saveexec_b64 s[70:71], vcc
	s_cbranch_execz .LBB4_1729
; %bb.1722:                             ;   in Loop: Header=BB4_772 Depth=4
	v_cmp_ne_u32_e32 vcc, 0, v17
	v_mov_b32_e32 v60, 0
	s_and_saveexec_b64 s[72:73], vcc
	s_cbranch_execz .LBB4_1728
; %bb.1723:                             ;   in Loop: Header=BB4_772 Depth=4
	v_bfe_u32 v16, v17, 23, 8
	v_cmp_eq_u32_e32 vcc, 0, v16
	v_add_u32_e32 v17, 0xffffff81, v16
	v_cmp_gt_u32_e64 s[30:31], s38, v16
	v_sub_u32_e32 v16, 0x71, v16
	v_mov_b32_e32 v19, 0xffffff82
	v_cndmask_b32_e64 v16, 0, v16, s[30:31]
	v_cndmask_b32_e32 v20, v17, v19, vcc
	v_mov_b32_e32 v17, 0x70
	v_cndmask_b32_e32 v21, v16, v17, vcc
	v_add_u32_e32 v16, 21, v21
	v_or_b32_e32 v18, 0x800000, v42
	v_lshlrev_b64 v[16:17], v16, -1
	v_cndmask_b32_e32 v42, v18, v42, vcc
	v_not_b32_e32 v17, v17
	v_not_b32_e32 v16, v16
	v_add_u32_e32 v18, 20, v21
	v_and_b32_e32 v17, 0, v17
	v_and_b32_e32 v16, v42, v16
	v_lshlrev_b64 v[18:19], v18, 1
	v_cmp_eq_u64_e32 vcc, v[16:17], v[18:19]
	v_lshrrev_b64 v[16:17], v21, v[42:43]
	v_lshrrev_b32_e32 v18, 23, v16
	v_add3_u32 v20, v21, v20, v18
	v_bfe_u32 v18, v16, 21, 1
	v_add_u32_e32 v18, -1, v18
	v_cndmask_b32_e32 v18, 0, v18, vcc
	v_add_u32_e32 v18, v18, v16
	v_and_b32_e32 v18, 0x1fffff, v18
	v_add_co_u32_e32 v16, vcc, v18, v16
	v_add_u32_e32 v19, 14, v20
	v_addc_co_u32_e32 v17, vcc, 0, v17, vcc
	v_cmp_ne_u32_e32 vcc, 0, v19
                                        ; implicit-def: $vgpr18
	s_and_saveexec_b64 s[30:31], vcc
	s_xor_b64 s[30:31], exec, s[30:31]
; %bb.1724:                             ;   in Loop: Header=BB4_772 Depth=4
	v_add_u32_e32 v18, 15, v20
	v_cmp_lt_u64_e32 vcc, s[56:57], v[16:17]
	v_cndmask_b32_e32 v18, v19, v18, vcc
	v_cndmask_b32_e64 v19, 0, 1, vcc
	v_lshrrev_b64 v[16:17], v19, v[16:17]
; %bb.1725:                             ;   in Loop: Header=BB4_772 Depth=4
	s_andn2_saveexec_b64 vcc, s[30:31]
; %bb.1726:                             ;   in Loop: Header=BB4_772 Depth=4
	v_bfe_u32 v18, v16, 23, 1
; %bb.1727:                             ;   in Loop: Header=BB4_772 Depth=4
	s_or_b64 exec, exec, vcc
	v_lshrrev_b64 v[16:17], 21, v[16:17]
	v_cmp_gt_i32_e32 vcc, 32, v18
	v_cndmask_b32_e32 v17, 0, v17, vcc
	v_cndmask_b32_e32 v16, 3, v16, vcc
	v_cmp_eq_u64_e64 s[30:31], 0, v[16:17]
	v_min_i32_e32 v17, 31, v18
	v_cmp_eq_u32_e32 vcc, 0, v18
	v_lshlrev_b32_e32 v17, 2, v17
	v_and_or_b32 v16, v16, 3, v17
	s_and_b64 vcc, vcc, s[30:31]
	v_cndmask_b32_e64 v16, v16, 0, vcc
	v_or_b32_e32 v60, v16, v0
.LBB4_1728:                             ;   in Loop: Header=BB4_772 Depth=4
	s_or_b64 exec, exec, s[72:73]
.LBB4_1729:                             ;   in Loop: Header=BB4_772 Depth=4
	s_or_b64 exec, exec, s[70:71]
                                        ; implicit-def: $vgpr17
.LBB4_1730:                             ;   in Loop: Header=BB4_772 Depth=4
	s_andn2_saveexec_b64 s[30:31], s[68:69]
; %bb.1731:                             ;   in Loop: Header=BB4_772 Depth=4
	v_or_b32_sdwa v0, v17, s39 dst_sel:DWORD dst_unused:UNUSED_PAD src0_sel:BYTE_3 src1_sel:DWORD
	v_cmp_eq_u64_e32 vcc, 0, v[42:43]
	v_cndmask_b32_e32 v60, v0, v60, vcc
; %bb.1732:                             ;   in Loop: Header=BB4_772 Depth=4
	s_or_b64 exec, exec, s[30:31]
	v_mov_b32_e32 v42, v13
	v_mov_b32_e32 v16, v9
	;; [unrolled: 1-line block ×3, first 2 shown]
	s_and_b64 vcc, exec, s[28:29]
	v_cmp_ne_u16_sdwa s[30:31], v13, v43 src0_sel:BYTE_0 src1_sel:DWORD
	s_cbranch_vccnz .LBB4_1750
; %bb.1733:                             ;   in Loop: Header=BB4_772 Depth=4
	v_mov_b32_e32 v18, 0
	v_mov_b32_e32 v0, 0
	s_and_saveexec_b64 s[68:69], s[30:31]
	s_cbranch_execz .LBB4_1741
; %bb.1734:                             ;   in Loop: Header=BB4_772 Depth=4
	v_cmp_ne_u16_sdwa vcc, v13, s97 src0_sel:BYTE_0 src1_sel:DWORD
	v_bfrev_b32_e32 v0, 1
	s_and_saveexec_b64 s[70:71], vcc
	s_cbranch_execz .LBB4_1740
; %bb.1735:                             ;   in Loop: Header=BB4_772 Depth=4
	v_and_b32_e32 v0, 0x7c, v13
	v_and_b32_e32 v19, 3, v13
	v_cmp_ne_u32_e32 vcc, s95, v0
                                        ; implicit-def: $vgpr0
	s_and_saveexec_b64 s[72:73], vcc
	s_xor_b64 s[72:73], exec, s[72:73]
	s_cbranch_execz .LBB4_1737
; %bb.1736:                             ;   in Loop: Header=BB4_772 Depth=4
	v_ffbh_u32_e32 v20, v19
	v_min_u32_e32 v32, 32, v20
	v_subrev_u32_e32 v20, 29, v32
	v_bfe_u32 v0, v13, 2, 5
	v_lshlrev_b64 v[20:21], v20, v[42:43]
	v_sub_u32_e32 v21, 30, v32
	v_cmp_eq_u32_e32 vcc, 0, v0
	v_and_b32_e32 v20, 3, v20
	v_cndmask_b32_e32 v0, v0, v21, vcc
	v_bfrev_b32_e32 v21, 28
	v_cndmask_b32_e32 v19, v19, v20, vcc
	v_lshlrev_b32_e32 v20, 24, v13
	v_lshl_add_u32 v0, v0, 23, v21
	v_and_or_b32 v0, v20, s96, v0
	v_lshl_or_b32 v0, v19, 21, v0
                                        ; implicit-def: $vgpr19
.LBB4_1737:                             ;   in Loop: Header=BB4_772 Depth=4
	s_andn2_saveexec_b64 s[72:73], s[72:73]
; %bb.1738:                             ;   in Loop: Header=BB4_772 Depth=4
	v_mov_b32_e32 v0, -1
	v_cmp_gt_i16_sdwa vcc, sext(v13), v0 src0_sel:BYTE_0 src1_sel:DWORD
	v_cndmask_b32_e32 v0, v6, v1, vcc
	v_cmp_eq_u32_e32 vcc, 0, v19
	v_mov_b32_e32 v19, 0x7f800001
	v_cndmask_b32_e32 v0, v19, v0, vcc
; %bb.1739:                             ;   in Loop: Header=BB4_772 Depth=4
	s_or_b64 exec, exec, s[72:73]
.LBB4_1740:                             ;   in Loop: Header=BB4_772 Depth=4
	s_or_b64 exec, exec, s[70:71]
.LBB4_1741:                             ;   in Loop: Header=BB4_772 Depth=4
	s_or_b64 exec, exec, s[68:69]
	v_cmp_ne_u16_sdwa vcc, v9, v43 src0_sel:BYTE_0 src1_sel:DWORD
	s_and_saveexec_b64 s[68:69], vcc
	s_cbranch_execz .LBB4_1749
; %bb.1742:                             ;   in Loop: Header=BB4_772 Depth=4
	v_cmp_ne_u16_sdwa vcc, v9, s97 src0_sel:BYTE_0 src1_sel:DWORD
	v_bfrev_b32_e32 v18, 1
	s_and_saveexec_b64 s[70:71], vcc
	s_cbranch_execz .LBB4_1748
; %bb.1743:                             ;   in Loop: Header=BB4_772 Depth=4
	v_and_b32_e32 v18, 0x7c, v9
	v_and_b32_e32 v19, 3, v9
	v_cmp_ne_u32_e32 vcc, s95, v18
                                        ; implicit-def: $vgpr18
	s_and_saveexec_b64 s[72:73], vcc
	s_xor_b64 s[72:73], exec, s[72:73]
	s_cbranch_execz .LBB4_1745
; %bb.1744:                             ;   in Loop: Header=BB4_772 Depth=4
	v_ffbh_u32_e32 v20, v19
	v_min_u32_e32 v32, 32, v20
	v_subrev_u32_e32 v20, 29, v32
	v_bfe_u32 v18, v9, 2, 5
	v_lshlrev_b64 v[20:21], v20, v[16:17]
	v_sub_u32_e32 v21, 30, v32
	v_cmp_eq_u32_e32 vcc, 0, v18
	v_and_b32_e32 v20, 3, v20
	v_cndmask_b32_e32 v18, v18, v21, vcc
	v_bfrev_b32_e32 v21, 28
	v_cndmask_b32_e32 v19, v19, v20, vcc
	v_lshlrev_b32_e32 v20, 24, v9
	v_lshl_add_u32 v18, v18, 23, v21
	v_and_or_b32 v18, v20, s96, v18
	v_lshl_or_b32 v18, v19, 21, v18
                                        ; implicit-def: $vgpr19
.LBB4_1745:                             ;   in Loop: Header=BB4_772 Depth=4
	s_andn2_saveexec_b64 s[72:73], s[72:73]
; %bb.1746:                             ;   in Loop: Header=BB4_772 Depth=4
	v_mov_b32_e32 v18, -1
	v_cmp_gt_i16_sdwa vcc, sext(v9), v18 src0_sel:BYTE_0 src1_sel:DWORD
	v_cndmask_b32_e32 v18, v6, v1, vcc
	v_cmp_eq_u32_e32 vcc, 0, v19
	v_mov_b32_e32 v19, 0x7f800001
	v_cndmask_b32_e32 v18, v19, v18, vcc
; %bb.1747:                             ;   in Loop: Header=BB4_772 Depth=4
	s_or_b64 exec, exec, s[72:73]
.LBB4_1748:                             ;   in Loop: Header=BB4_772 Depth=4
	s_or_b64 exec, exec, s[70:71]
.LBB4_1749:                             ;   in Loop: Header=BB4_772 Depth=4
	s_or_b64 exec, exec, s[68:69]
	v_max_f32_e32 v18, v18, v18
	v_max_f32_e32 v0, v0, v0
	;; [unrolled: 1-line block ×3, first 2 shown]
	s_branch .LBB4_1768
.LBB4_1750:                             ;   in Loop: Header=BB4_772 Depth=4
                                        ; implicit-def: $vgpr20
	s_cbranch_execz .LBB4_1768
; %bb.1751:                             ;   in Loop: Header=BB4_772 Depth=4
	v_mov_b32_e32 v18, 0
	v_mov_b32_e32 v0, 0
	s_and_saveexec_b64 s[68:69], s[30:31]
	s_cbranch_execz .LBB4_1759
; %bb.1752:                             ;   in Loop: Header=BB4_772 Depth=4
	v_cmp_ne_u16_sdwa vcc, v13, s97 src0_sel:BYTE_0 src1_sel:DWORD
	v_bfrev_b32_e32 v0, 1
	s_and_saveexec_b64 s[30:31], vcc
	s_cbranch_execz .LBB4_1758
; %bb.1753:                             ;   in Loop: Header=BB4_772 Depth=4
	v_and_b32_e32 v0, 0x7c, v13
	v_and_b32_e32 v19, 3, v13
	v_cmp_ne_u32_e32 vcc, s95, v0
                                        ; implicit-def: $vgpr0
	s_and_saveexec_b64 s[70:71], vcc
	s_xor_b64 s[70:71], exec, s[70:71]
	s_cbranch_execz .LBB4_1755
; %bb.1754:                             ;   in Loop: Header=BB4_772 Depth=4
	v_ffbh_u32_e32 v20, v19
	v_min_u32_e32 v32, 32, v20
	v_subrev_u32_e32 v20, 29, v32
	v_bfe_u32 v0, v13, 2, 5
	v_lshlrev_b64 v[20:21], v20, v[42:43]
	v_sub_u32_e32 v21, 30, v32
	v_cmp_eq_u32_e32 vcc, 0, v0
	v_and_b32_e32 v20, 3, v20
	v_cndmask_b32_e32 v0, v0, v21, vcc
	v_bfrev_b32_e32 v21, 28
	v_cndmask_b32_e32 v19, v19, v20, vcc
	v_lshlrev_b32_e32 v20, 24, v13
	v_lshl_add_u32 v0, v0, 23, v21
	v_and_or_b32 v0, v20, s96, v0
	v_lshl_or_b32 v0, v19, 21, v0
                                        ; implicit-def: $vgpr19
.LBB4_1755:                             ;   in Loop: Header=BB4_772 Depth=4
	s_andn2_saveexec_b64 s[70:71], s[70:71]
; %bb.1756:                             ;   in Loop: Header=BB4_772 Depth=4
	v_mov_b32_e32 v0, -1
	v_cmp_gt_i16_sdwa vcc, sext(v13), v0 src0_sel:BYTE_0 src1_sel:DWORD
	v_cndmask_b32_e32 v0, v6, v1, vcc
	v_cmp_eq_u32_e32 vcc, 0, v19
	v_mov_b32_e32 v19, 0x7f800001
	v_cndmask_b32_e32 v0, v19, v0, vcc
; %bb.1757:                             ;   in Loop: Header=BB4_772 Depth=4
	s_or_b64 exec, exec, s[70:71]
.LBB4_1758:                             ;   in Loop: Header=BB4_772 Depth=4
	s_or_b64 exec, exec, s[30:31]
.LBB4_1759:                             ;   in Loop: Header=BB4_772 Depth=4
	s_or_b64 exec, exec, s[68:69]
	v_cmp_ne_u16_sdwa vcc, v9, v43 src0_sel:BYTE_0 src1_sel:DWORD
	s_and_saveexec_b64 s[30:31], vcc
	s_cbranch_execz .LBB4_1767
; %bb.1760:                             ;   in Loop: Header=BB4_772 Depth=4
	v_cmp_ne_u16_sdwa vcc, v9, s97 src0_sel:BYTE_0 src1_sel:DWORD
	v_bfrev_b32_e32 v18, 1
	s_and_saveexec_b64 s[68:69], vcc
	s_cbranch_execz .LBB4_1766
; %bb.1761:                             ;   in Loop: Header=BB4_772 Depth=4
	v_and_b32_e32 v18, 0x7c, v9
	v_and_b32_e32 v19, 3, v9
	v_cmp_ne_u32_e32 vcc, s95, v18
                                        ; implicit-def: $vgpr18
	s_and_saveexec_b64 s[70:71], vcc
	s_xor_b64 s[70:71], exec, s[70:71]
	s_cbranch_execz .LBB4_1763
; %bb.1762:                             ;   in Loop: Header=BB4_772 Depth=4
	v_ffbh_u32_e32 v20, v19
	v_min_u32_e32 v32, 32, v20
	v_subrev_u32_e32 v20, 29, v32
	v_bfe_u32 v18, v9, 2, 5
	v_lshlrev_b64 v[20:21], v20, v[16:17]
	v_sub_u32_e32 v17, 30, v32
	v_and_b32_e32 v20, 3, v20
	v_cmp_eq_u32_e32 vcc, 0, v18
	v_cndmask_b32_e32 v17, v18, v17, vcc
	v_cndmask_b32_e32 v18, v19, v20, vcc
	v_bfrev_b32_e32 v20, 28
	v_lshlrev_b32_e32 v19, 24, v9
	v_lshl_add_u32 v17, v17, 23, v20
	v_and_or_b32 v17, v19, s96, v17
	v_lshl_or_b32 v18, v18, 21, v17
                                        ; implicit-def: $vgpr19
.LBB4_1763:                             ;   in Loop: Header=BB4_772 Depth=4
	s_andn2_saveexec_b64 s[70:71], s[70:71]
; %bb.1764:                             ;   in Loop: Header=BB4_772 Depth=4
	v_mov_b32_e32 v17, -1
	v_cmp_gt_i16_sdwa vcc, sext(v9), v17 src0_sel:BYTE_0 src1_sel:DWORD
	v_cndmask_b32_e32 v17, v6, v1, vcc
	v_cmp_eq_u32_e32 vcc, 0, v19
	v_mov_b32_e32 v18, 0x7f800001
	v_cndmask_b32_e32 v18, v18, v17, vcc
; %bb.1765:                             ;   in Loop: Header=BB4_772 Depth=4
	s_or_b64 exec, exec, s[70:71]
.LBB4_1766:                             ;   in Loop: Header=BB4_772 Depth=4
	s_or_b64 exec, exec, s[68:69]
.LBB4_1767:                             ;   in Loop: Header=BB4_772 Depth=4
	s_or_b64 exec, exec, s[30:31]
	v_max_f32_e32 v17, v18, v18
	v_max_f32_e32 v0, v0, v0
	v_min_f32_e32 v20, v0, v17
.LBB4_1768:                             ;   in Loop: Header=BB4_772 Depth=4
	v_and_b32_sdwa v17, v20, s97 dst_sel:DWORD dst_unused:UNUSED_PAD src0_sel:BYTE_3 src1_sel:DWORD
	v_and_b32_e32 v36, 0x7f800000, v20
	v_mov_b32_e32 v37, v43
	v_and_b32_e32 v18, 0x7fffff, v20
	v_mov_b32_e32 v19, v43
	v_or_b32_e32 v0, 0x7b, v17
	v_cmp_ne_u64_e32 vcc, s[52:53], v[36:37]
	s_and_saveexec_b64 s[30:31], vcc
	s_xor_b64 s[68:69], exec, s[30:31]
	s_cbranch_execz .LBB4_1778
; %bb.1769:                             ;   in Loop: Header=BB4_772 Depth=4
	v_and_b32_e32 v36, 0x7fffffff, v20
	v_mov_b32_e32 v37, v43
	v_cmp_gt_u64_e32 vcc, s[54:55], v[36:37]
	s_and_saveexec_b64 s[70:71], vcc
	s_cbranch_execz .LBB4_1777
; %bb.1770:                             ;   in Loop: Header=BB4_772 Depth=4
	v_cmp_ne_u32_e32 vcc, 0, v20
	v_mov_b32_e32 v0, 0
	s_and_saveexec_b64 s[72:73], vcc
	s_cbranch_execz .LBB4_1776
; %bb.1771:                             ;   in Loop: Header=BB4_772 Depth=4
	v_bfe_u32 v0, v20, 23, 8
	v_cmp_eq_u32_e32 vcc, 0, v0
	v_add_u32_e32 v20, 0xffffff81, v0
	v_cmp_gt_u32_e64 s[30:31], s38, v0
	v_sub_u32_e32 v0, 0x71, v0
	v_mov_b32_e32 v32, 0xffffff82
	v_cndmask_b32_e64 v0, 0, v0, s[30:31]
	v_cndmask_b32_e32 v32, v20, v32, vcc
	v_mov_b32_e32 v20, 0x70
	v_cndmask_b32_e32 v0, v0, v20, vcc
	v_or_b32_e32 v21, 0x800000, v18
	v_add_u32_e32 v20, 21, v0
	v_cndmask_b32_e32 v18, v21, v18, vcc
	v_lshlrev_b64 v[20:21], v20, -1
	v_not_b32_e32 v21, v21
	v_not_b32_e32 v20, v20
	v_add_u32_e32 v33, 20, v0
	v_and_b32_e32 v21, 0, v21
	v_and_b32_e32 v20, v18, v20
	v_lshlrev_b64 v[36:37], v33, 1
	v_lshrrev_b64 v[18:19], v0, v[18:19]
	v_cmp_eq_u64_e32 vcc, v[20:21], v[36:37]
	v_lshrrev_b32_e32 v20, 23, v18
	v_add3_u32 v21, v0, v32, v20
	v_bfe_u32 v0, v18, 21, 1
	v_add_u32_e32 v0, -1, v0
	v_cndmask_b32_e32 v0, 0, v0, vcc
	v_add_u32_e32 v0, v0, v18
	v_and_b32_e32 v0, 0x1fffff, v0
	v_add_co_u32_e32 v18, vcc, v0, v18
	v_add_u32_e32 v20, 14, v21
	v_addc_co_u32_e32 v19, vcc, 0, v19, vcc
	v_cmp_ne_u32_e32 vcc, 0, v20
                                        ; implicit-def: $vgpr0
	s_and_saveexec_b64 s[30:31], vcc
	s_xor_b64 s[30:31], exec, s[30:31]
; %bb.1772:                             ;   in Loop: Header=BB4_772 Depth=4
	v_add_u32_e32 v0, 15, v21
	v_cmp_lt_u64_e32 vcc, s[56:57], v[18:19]
	v_cndmask_b32_e32 v0, v20, v0, vcc
	v_cndmask_b32_e64 v20, 0, 1, vcc
	v_lshrrev_b64 v[18:19], v20, v[18:19]
; %bb.1773:                             ;   in Loop: Header=BB4_772 Depth=4
	s_andn2_saveexec_b64 vcc, s[30:31]
; %bb.1774:                             ;   in Loop: Header=BB4_772 Depth=4
	v_bfe_u32 v0, v18, 23, 1
; %bb.1775:                             ;   in Loop: Header=BB4_772 Depth=4
	s_or_b64 exec, exec, vcc
	v_lshrrev_b64 v[18:19], 21, v[18:19]
	v_cmp_gt_i32_e32 vcc, 32, v0
	v_cndmask_b32_e32 v19, 0, v19, vcc
	v_cndmask_b32_e32 v18, 3, v18, vcc
	v_cmp_eq_u32_e32 vcc, 0, v0
	v_min_i32_e32 v0, 31, v0
	v_cmp_eq_u64_e64 s[30:31], 0, v[18:19]
	v_lshlrev_b32_e32 v0, 2, v0
	v_and_or_b32 v0, v18, 3, v0
	s_and_b64 vcc, vcc, s[30:31]
	v_cndmask_b32_e64 v0, v0, 0, vcc
	v_or_b32_e32 v0, v0, v17
.LBB4_1776:                             ;   in Loop: Header=BB4_772 Depth=4
	s_or_b64 exec, exec, s[72:73]
.LBB4_1777:                             ;   in Loop: Header=BB4_772 Depth=4
	s_or_b64 exec, exec, s[70:71]
                                        ; implicit-def: $vgpr20
                                        ; implicit-def: $vgpr18_vgpr19
.LBB4_1778:                             ;   in Loop: Header=BB4_772 Depth=4
	s_andn2_saveexec_b64 s[30:31], s[68:69]
; %bb.1779:                             ;   in Loop: Header=BB4_772 Depth=4
	v_or_b32_sdwa v17, v20, s39 dst_sel:DWORD dst_unused:UNUSED_PAD src0_sel:BYTE_3 src1_sel:DWORD
	v_cmp_eq_u64_e32 vcc, 0, v[18:19]
	v_cndmask_b32_e32 v0, v17, v0, vcc
; %bb.1780:                             ;   in Loop: Header=BB4_772 Depth=4
	s_or_b64 exec, exec, s[30:31]
	v_lshrrev_b16_e32 v20, 8, v42
	v_lshrrev_b16_e32 v18, 8, v16
	s_and_b64 vcc, exec, s[28:29]
	v_cmp_ne_u16_e64 s[30:31], 0, v20
	s_cbranch_vccnz .LBB4_1798
; %bb.1781:                             ;   in Loop: Header=BB4_772 Depth=4
	v_mov_b32_e32 v19, 0
	v_mov_b32_e32 v17, 0
	s_and_saveexec_b64 s[68:69], s[30:31]
	s_cbranch_execz .LBB4_1789
; %bb.1782:                             ;   in Loop: Header=BB4_772 Depth=4
	v_cmp_ne_u16_e32 vcc, s97, v20
	v_bfrev_b32_e32 v17, 1
	s_and_saveexec_b64 s[70:71], vcc
	s_cbranch_execz .LBB4_1788
; %bb.1783:                             ;   in Loop: Header=BB4_772 Depth=4
	v_and_b32_e32 v17, 0x7c, v20
	v_and_b32_e32 v36, 3, v20
	v_cmp_ne_u32_e32 vcc, s95, v17
                                        ; implicit-def: $vgpr17
	s_and_saveexec_b64 s[72:73], vcc
	s_xor_b64 s[72:73], exec, s[72:73]
	s_cbranch_execz .LBB4_1785
; %bb.1784:                             ;   in Loop: Header=BB4_772 Depth=4
	v_ffbh_u32_e32 v32, v36
	v_min_u32_e32 v32, 32, v32
	v_mov_b32_e32 v21, v43
	v_bfe_u32 v17, v20, 2, 5
	v_subrev_u32_e32 v33, 29, v32
	v_lshlrev_b64 v[50:51], v33, v[20:21]
	v_sub_u32_e32 v21, 30, v32
	v_cmp_eq_u32_e32 vcc, 0, v17
	v_and_b32_e32 v32, 3, v50
	v_cndmask_b32_e32 v17, v17, v21, vcc
	v_bfrev_b32_e32 v33, 28
	v_cndmask_b32_e32 v21, v36, v32, vcc
	v_lshlrev_b32_e32 v32, 16, v42
	v_lshl_add_u32 v17, v17, 23, v33
	v_and_or_b32 v17, v32, s96, v17
	v_lshl_or_b32 v17, v21, 21, v17
                                        ; implicit-def: $vgpr36
.LBB4_1785:                             ;   in Loop: Header=BB4_772 Depth=4
	s_andn2_saveexec_b64 s[72:73], s[72:73]
; %bb.1786:                             ;   in Loop: Header=BB4_772 Depth=4
	v_cmp_lt_i16_e32 vcc, -1, v42
	v_cndmask_b32_e32 v17, v6, v1, vcc
	v_cmp_eq_u32_e32 vcc, 0, v36
	v_mov_b32_e32 v21, 0x7f800001
	v_cndmask_b32_e32 v17, v21, v17, vcc
; %bb.1787:                             ;   in Loop: Header=BB4_772 Depth=4
	s_or_b64 exec, exec, s[72:73]
.LBB4_1788:                             ;   in Loop: Header=BB4_772 Depth=4
	s_or_b64 exec, exec, s[70:71]
.LBB4_1789:                             ;   in Loop: Header=BB4_772 Depth=4
	s_or_b64 exec, exec, s[68:69]
	v_cmp_ne_u16_e32 vcc, 0, v18
	s_and_saveexec_b64 s[68:69], vcc
	s_cbranch_execz .LBB4_1797
; %bb.1790:                             ;   in Loop: Header=BB4_772 Depth=4
	v_cmp_ne_u16_e32 vcc, s97, v18
	v_bfrev_b32_e32 v19, 1
	s_and_saveexec_b64 s[70:71], vcc
	s_cbranch_execz .LBB4_1796
; %bb.1791:                             ;   in Loop: Header=BB4_772 Depth=4
	v_and_b32_e32 v19, 0x7c, v18
	v_and_b32_e32 v21, 3, v18
	v_cmp_ne_u32_e32 vcc, s95, v19
                                        ; implicit-def: $vgpr19
	s_and_saveexec_b64 s[72:73], vcc
	s_xor_b64 s[72:73], exec, s[72:73]
	s_cbranch_execz .LBB4_1793
; %bb.1792:                             ;   in Loop: Header=BB4_772 Depth=4
	v_ffbh_u32_e32 v33, v21
	v_min_u32_e32 v33, 32, v33
	v_mov_b32_e32 v19, v43
	v_subrev_u32_e32 v36, 29, v33
	v_bfe_u32 v32, v18, 2, 5
	v_lshlrev_b64 v[36:37], v36, v[18:19]
	v_sub_u32_e32 v19, 30, v33
	v_and_b32_e32 v33, 3, v36
	v_cmp_eq_u32_e32 vcc, 0, v32
	v_cndmask_b32_e32 v19, v32, v19, vcc
	v_cndmask_b32_e32 v21, v21, v33, vcc
	v_bfrev_b32_e32 v33, 28
	v_lshlrev_b32_e32 v32, 16, v16
	v_lshl_add_u32 v19, v19, 23, v33
	v_and_or_b32 v19, v32, s96, v19
	v_lshl_or_b32 v19, v21, 21, v19
                                        ; implicit-def: $vgpr21
.LBB4_1793:                             ;   in Loop: Header=BB4_772 Depth=4
	s_andn2_saveexec_b64 s[72:73], s[72:73]
; %bb.1794:                             ;   in Loop: Header=BB4_772 Depth=4
	v_cmp_lt_i16_e32 vcc, -1, v16
	v_cndmask_b32_e32 v19, v6, v1, vcc
	v_cmp_eq_u32_e32 vcc, 0, v21
	v_mov_b32_e32 v21, 0x7f800001
	v_cndmask_b32_e32 v19, v21, v19, vcc
; %bb.1795:                             ;   in Loop: Header=BB4_772 Depth=4
	s_or_b64 exec, exec, s[72:73]
.LBB4_1796:                             ;   in Loop: Header=BB4_772 Depth=4
	s_or_b64 exec, exec, s[70:71]
.LBB4_1797:                             ;   in Loop: Header=BB4_772 Depth=4
	s_or_b64 exec, exec, s[68:69]
	v_max_f32_e32 v19, v19, v19
	v_max_f32_e32 v17, v17, v17
	;; [unrolled: 1-line block ×3, first 2 shown]
	s_branch .LBB4_1816
.LBB4_1798:                             ;   in Loop: Header=BB4_772 Depth=4
                                        ; implicit-def: $vgpr17
	s_cbranch_execz .LBB4_1816
; %bb.1799:                             ;   in Loop: Header=BB4_772 Depth=4
	v_mov_b32_e32 v19, 0
	v_mov_b32_e32 v21, 0
	s_and_saveexec_b64 s[68:69], s[30:31]
	s_cbranch_execz .LBB4_1807
; %bb.1800:                             ;   in Loop: Header=BB4_772 Depth=4
	v_cmp_ne_u16_e32 vcc, s97, v20
	v_bfrev_b32_e32 v21, 1
	s_and_saveexec_b64 s[30:31], vcc
	s_cbranch_execz .LBB4_1806
; %bb.1801:                             ;   in Loop: Header=BB4_772 Depth=4
	v_and_b32_e32 v21, 0x7c, v20
	v_and_b32_e32 v17, 3, v20
	v_cmp_ne_u32_e32 vcc, s95, v21
                                        ; implicit-def: $vgpr21
	s_and_saveexec_b64 s[70:71], vcc
	s_xor_b64 s[70:71], exec, s[70:71]
	s_cbranch_execz .LBB4_1803
; %bb.1802:                             ;   in Loop: Header=BB4_772 Depth=4
	v_ffbh_u32_e32 v33, v17
	v_min_u32_e32 v33, 32, v33
	v_mov_b32_e32 v21, v43
	v_subrev_u32_e32 v36, 29, v33
	v_bfe_u32 v32, v20, 2, 5
	v_lshlrev_b64 v[20:21], v36, v[20:21]
	v_sub_u32_e32 v21, 30, v33
	v_cmp_eq_u32_e32 vcc, 0, v32
	v_and_b32_e32 v20, 3, v20
	v_cndmask_b32_e32 v21, v32, v21, vcc
	v_bfrev_b32_e32 v32, 28
	v_cndmask_b32_e32 v17, v17, v20, vcc
	v_lshlrev_b32_e32 v20, 16, v42
	v_lshl_add_u32 v21, v21, 23, v32
	v_and_or_b32 v20, v20, s96, v21
	v_lshl_or_b32 v21, v17, 21, v20
                                        ; implicit-def: $vgpr17
.LBB4_1803:                             ;   in Loop: Header=BB4_772 Depth=4
	s_andn2_saveexec_b64 s[70:71], s[70:71]
; %bb.1804:                             ;   in Loop: Header=BB4_772 Depth=4
	v_cmp_lt_i16_e32 vcc, -1, v42
	v_cndmask_b32_e32 v20, v6, v1, vcc
	v_cmp_eq_u32_e32 vcc, 0, v17
	v_mov_b32_e32 v17, 0x7f800001
	v_cndmask_b32_e32 v21, v17, v20, vcc
; %bb.1805:                             ;   in Loop: Header=BB4_772 Depth=4
	s_or_b64 exec, exec, s[70:71]
.LBB4_1806:                             ;   in Loop: Header=BB4_772 Depth=4
	s_or_b64 exec, exec, s[30:31]
.LBB4_1807:                             ;   in Loop: Header=BB4_772 Depth=4
	s_or_b64 exec, exec, s[68:69]
	v_cmp_ne_u16_e32 vcc, 0, v18
	s_and_saveexec_b64 s[30:31], vcc
	s_cbranch_execz .LBB4_1815
; %bb.1808:                             ;   in Loop: Header=BB4_772 Depth=4
	v_cmp_ne_u16_e32 vcc, s97, v18
	v_bfrev_b32_e32 v19, 1
	s_and_saveexec_b64 s[68:69], vcc
	s_cbranch_execz .LBB4_1814
; %bb.1809:                             ;   in Loop: Header=BB4_772 Depth=4
	v_and_b32_e32 v17, 0x7c, v18
	v_and_b32_e32 v20, 3, v18
	v_cmp_ne_u32_e32 vcc, s95, v17
                                        ; implicit-def: $vgpr19
	s_and_saveexec_b64 s[70:71], vcc
	s_xor_b64 s[70:71], exec, s[70:71]
	s_cbranch_execz .LBB4_1811
; %bb.1810:                             ;   in Loop: Header=BB4_772 Depth=4
	v_ffbh_u32_e32 v32, v20
	v_min_u32_e32 v32, 32, v32
	v_mov_b32_e32 v19, v43
	v_subrev_u32_e32 v33, 29, v32
	v_bfe_u32 v17, v18, 2, 5
	v_lshlrev_b64 v[18:19], v33, v[18:19]
	v_sub_u32_e32 v19, 30, v32
	v_cmp_eq_u32_e32 vcc, 0, v17
	v_cndmask_b32_e32 v17, v17, v19, vcc
	v_bfrev_b32_e32 v19, 28
	v_and_b32_e32 v18, 3, v18
	v_lshlrev_b32_e32 v16, 16, v16
	v_lshl_add_u32 v17, v17, 23, v19
	v_cndmask_b32_e32 v18, v20, v18, vcc
	v_and_or_b32 v16, v16, s96, v17
	v_lshl_or_b32 v19, v18, 21, v16
                                        ; implicit-def: $vgpr20
                                        ; implicit-def: $vgpr16_vgpr17
.LBB4_1811:                             ;   in Loop: Header=BB4_772 Depth=4
	s_andn2_saveexec_b64 s[70:71], s[70:71]
; %bb.1812:                             ;   in Loop: Header=BB4_772 Depth=4
	v_cmp_lt_i16_e32 vcc, -1, v16
	v_cndmask_b32_e32 v16, v6, v1, vcc
	v_cmp_eq_u32_e32 vcc, 0, v20
	v_mov_b32_e32 v17, 0x7f800001
	v_cndmask_b32_e32 v19, v17, v16, vcc
; %bb.1813:                             ;   in Loop: Header=BB4_772 Depth=4
	s_or_b64 exec, exec, s[70:71]
.LBB4_1814:                             ;   in Loop: Header=BB4_772 Depth=4
	s_or_b64 exec, exec, s[68:69]
.LBB4_1815:                             ;   in Loop: Header=BB4_772 Depth=4
	s_or_b64 exec, exec, s[30:31]
	v_max_f32_e32 v16, v19, v19
	v_max_f32_e32 v17, v21, v21
	v_min_f32_e32 v17, v17, v16
.LBB4_1816:                             ;   in Loop: Header=BB4_772 Depth=4
	v_and_b32_sdwa v18, v17, s97 dst_sel:DWORD dst_unused:UNUSED_PAD src0_sel:BYTE_3 src1_sel:DWORD
	v_and_b32_e32 v20, 0x7f800000, v17
	v_mov_b32_e32 v21, v43
	v_and_b32_e32 v42, 0x7fffff, v17
	v_or_b32_e32 v19, 0x7b, v18
	v_cmp_ne_u64_e32 vcc, s[52:53], v[20:21]
	s_and_saveexec_b64 s[30:31], vcc
	s_xor_b64 s[68:69], exec, s[30:31]
	s_cbranch_execz .LBB4_1826
; %bb.1817:                             ;   in Loop: Header=BB4_772 Depth=4
	v_and_b32_e32 v20, 0x7fffffff, v17
	v_mov_b32_e32 v21, v43
	v_cmp_gt_u64_e32 vcc, s[54:55], v[20:21]
	s_and_saveexec_b64 s[70:71], vcc
	s_cbranch_execz .LBB4_1825
; %bb.1818:                             ;   in Loop: Header=BB4_772 Depth=4
	v_cmp_ne_u32_e32 vcc, 0, v17
	v_mov_b32_e32 v19, 0
	s_and_saveexec_b64 s[72:73], vcc
	s_cbranch_execz .LBB4_1824
; %bb.1819:                             ;   in Loop: Header=BB4_772 Depth=4
	v_bfe_u32 v16, v17, 23, 8
	v_cmp_eq_u32_e32 vcc, 0, v16
	v_add_u32_e32 v17, 0xffffff81, v16
	v_cmp_gt_u32_e64 s[30:31], s38, v16
	v_sub_u32_e32 v16, 0x71, v16
	v_mov_b32_e32 v20, 0xffffff82
	v_cndmask_b32_e64 v16, 0, v16, s[30:31]
	v_cndmask_b32_e32 v32, v17, v20, vcc
	v_mov_b32_e32 v17, 0x70
	v_cndmask_b32_e32 v33, v16, v17, vcc
	v_add_u32_e32 v16, 21, v33
	v_or_b32_e32 v19, 0x800000, v42
	v_lshlrev_b64 v[16:17], v16, -1
	v_cndmask_b32_e32 v42, v19, v42, vcc
	v_not_b32_e32 v17, v17
	v_not_b32_e32 v16, v16
	v_add_u32_e32 v19, 20, v33
	v_and_b32_e32 v17, 0, v17
	v_and_b32_e32 v16, v42, v16
	v_lshlrev_b64 v[20:21], v19, 1
	v_cmp_eq_u64_e32 vcc, v[16:17], v[20:21]
	v_lshrrev_b64 v[16:17], v33, v[42:43]
	v_lshrrev_b32_e32 v19, 23, v16
	v_add3_u32 v21, v33, v32, v19
	v_bfe_u32 v19, v16, 21, 1
	v_add_u32_e32 v19, -1, v19
	v_cndmask_b32_e32 v19, 0, v19, vcc
	v_add_u32_e32 v19, v19, v16
	v_and_b32_e32 v19, 0x1fffff, v19
	v_add_co_u32_e32 v16, vcc, v19, v16
	v_add_u32_e32 v20, 14, v21
	v_addc_co_u32_e32 v17, vcc, 0, v17, vcc
	v_cmp_ne_u32_e32 vcc, 0, v20
                                        ; implicit-def: $vgpr19
	s_and_saveexec_b64 s[30:31], vcc
	s_xor_b64 s[30:31], exec, s[30:31]
; %bb.1820:                             ;   in Loop: Header=BB4_772 Depth=4
	v_add_u32_e32 v19, 15, v21
	v_cmp_lt_u64_e32 vcc, s[56:57], v[16:17]
	v_cndmask_b32_e32 v19, v20, v19, vcc
	v_cndmask_b32_e64 v20, 0, 1, vcc
	v_lshrrev_b64 v[16:17], v20, v[16:17]
; %bb.1821:                             ;   in Loop: Header=BB4_772 Depth=4
	s_andn2_saveexec_b64 vcc, s[30:31]
; %bb.1822:                             ;   in Loop: Header=BB4_772 Depth=4
	v_bfe_u32 v19, v16, 23, 1
; %bb.1823:                             ;   in Loop: Header=BB4_772 Depth=4
	s_or_b64 exec, exec, vcc
	v_lshrrev_b64 v[16:17], 21, v[16:17]
	v_cmp_gt_i32_e32 vcc, 32, v19
	v_cndmask_b32_e32 v17, 0, v17, vcc
	v_cndmask_b32_e32 v16, 3, v16, vcc
	v_cmp_eq_u64_e64 s[30:31], 0, v[16:17]
	v_min_i32_e32 v17, 31, v19
	v_cmp_eq_u32_e32 vcc, 0, v19
	v_lshlrev_b32_e32 v17, 2, v17
	v_and_or_b32 v16, v16, 3, v17
	s_and_b64 vcc, vcc, s[30:31]
	v_cndmask_b32_e64 v16, v16, 0, vcc
	v_or_b32_e32 v19, v16, v18
.LBB4_1824:                             ;   in Loop: Header=BB4_772 Depth=4
	s_or_b64 exec, exec, s[72:73]
.LBB4_1825:                             ;   in Loop: Header=BB4_772 Depth=4
	s_or_b64 exec, exec, s[70:71]
                                        ; implicit-def: $vgpr17
.LBB4_1826:                             ;   in Loop: Header=BB4_772 Depth=4
	s_andn2_saveexec_b64 s[30:31], s[68:69]
; %bb.1827:                             ;   in Loop: Header=BB4_772 Depth=4
	v_or_b32_sdwa v16, v17, s39 dst_sel:DWORD dst_unused:UNUSED_PAD src0_sel:BYTE_3 src1_sel:DWORD
	v_cmp_eq_u64_e32 vcc, 0, v[42:43]
	v_cndmask_b32_e32 v19, v16, v19, vcc
; %bb.1828:                             ;   in Loop: Header=BB4_772 Depth=4
	s_or_b64 exec, exec, s[30:31]
	v_lshrrev_b32_e32 v18, 16, v13
	v_lshrrev_b32_e32 v16, 16, v9
	s_and_b64 vcc, exec, s[28:29]
	v_cmp_ne_u16_sdwa s[30:31], v18, v43 src0_sel:BYTE_0 src1_sel:DWORD
	s_cbranch_vccnz .LBB4_1846
; %bb.1829:                             ;   in Loop: Header=BB4_772 Depth=4
	v_mov_b32_e32 v20, 0
	v_mov_b32_e32 v17, 0
	s_and_saveexec_b64 s[68:69], s[30:31]
	s_cbranch_execz .LBB4_1837
; %bb.1830:                             ;   in Loop: Header=BB4_772 Depth=4
	v_cmp_ne_u16_sdwa vcc, v18, s97 src0_sel:BYTE_0 src1_sel:DWORD
	v_bfrev_b32_e32 v17, 1
	s_and_saveexec_b64 s[70:71], vcc
	s_cbranch_execz .LBB4_1836
; %bb.1831:                             ;   in Loop: Header=BB4_772 Depth=4
	v_and_b32_e32 v17, 0x7c0000, v13
	v_bfe_u32 v21, v13, 16, 2
	v_cmp_ne_u32_e32 vcc, s36, v17
                                        ; implicit-def: $vgpr17
	s_and_saveexec_b64 s[72:73], vcc
	s_xor_b64 s[72:73], exec, s[72:73]
	s_cbranch_execz .LBB4_1833
; %bb.1832:                             ;   in Loop: Header=BB4_772 Depth=4
	v_ffbh_u32_e32 v32, v21
	v_min_u32_e32 v32, 32, v32
	v_subrev_u32_e32 v33, 29, v32
	v_bfe_u32 v17, v13, 18, 5
	v_lshlrev_b64 v[36:37], v33, v[18:19]
	v_sub_u32_e32 v32, 30, v32
	v_and_b32_e32 v33, 3, v36
	v_cmp_eq_u32_e32 vcc, 0, v17
	v_cndmask_b32_e32 v17, v17, v32, vcc
	v_cndmask_b32_e32 v21, v21, v33, vcc
	v_bfrev_b32_e32 v33, 28
	v_lshlrev_b32_e32 v32, 24, v18
	v_lshl_add_u32 v17, v17, 23, v33
	v_and_or_b32 v17, v32, s96, v17
	v_lshl_or_b32 v17, v21, 21, v17
                                        ; implicit-def: $vgpr21
.LBB4_1833:                             ;   in Loop: Header=BB4_772 Depth=4
	s_andn2_saveexec_b64 s[72:73], s[72:73]
; %bb.1834:                             ;   in Loop: Header=BB4_772 Depth=4
	v_mov_b32_e32 v17, -1
	v_cmp_gt_i16_sdwa vcc, sext(v18), v17 src0_sel:BYTE_0 src1_sel:DWORD
	v_cndmask_b32_e32 v17, v6, v1, vcc
	v_cmp_eq_u32_e32 vcc, 0, v21
	v_mov_b32_e32 v21, 0x7f800001
	v_cndmask_b32_e32 v17, v21, v17, vcc
; %bb.1835:                             ;   in Loop: Header=BB4_772 Depth=4
	s_or_b64 exec, exec, s[72:73]
.LBB4_1836:                             ;   in Loop: Header=BB4_772 Depth=4
	s_or_b64 exec, exec, s[70:71]
.LBB4_1837:                             ;   in Loop: Header=BB4_772 Depth=4
	s_or_b64 exec, exec, s[68:69]
	v_cmp_ne_u16_sdwa vcc, v16, v43 src0_sel:BYTE_0 src1_sel:DWORD
	s_and_saveexec_b64 s[68:69], vcc
	s_cbranch_execz .LBB4_1845
; %bb.1838:                             ;   in Loop: Header=BB4_772 Depth=4
	v_cmp_ne_u16_sdwa vcc, v16, s97 src0_sel:BYTE_0 src1_sel:DWORD
	v_bfrev_b32_e32 v20, 1
	s_and_saveexec_b64 s[70:71], vcc
	s_cbranch_execz .LBB4_1844
; %bb.1839:                             ;   in Loop: Header=BB4_772 Depth=4
	v_and_b32_e32 v20, 0x7c0000, v9
	v_bfe_u32 v21, v9, 16, 2
	v_cmp_ne_u32_e32 vcc, s36, v20
                                        ; implicit-def: $vgpr20
	s_and_saveexec_b64 s[72:73], vcc
	s_xor_b64 s[72:73], exec, s[72:73]
	s_cbranch_execz .LBB4_1841
; %bb.1840:                             ;   in Loop: Header=BB4_772 Depth=4
	v_ffbh_u32_e32 v32, v21
	v_min_u32_e32 v32, 32, v32
	v_subrev_u32_e32 v33, 29, v32
	v_bfe_u32 v20, v9, 18, 5
	v_lshlrev_b64 v[36:37], v33, v[16:17]
	v_sub_u32_e32 v32, 30, v32
	v_and_b32_e32 v33, 3, v36
	v_cmp_eq_u32_e32 vcc, 0, v20
	v_cndmask_b32_e32 v20, v20, v32, vcc
	v_cndmask_b32_e32 v21, v21, v33, vcc
	v_bfrev_b32_e32 v33, 28
	v_lshlrev_b32_e32 v32, 24, v16
	v_lshl_add_u32 v20, v20, 23, v33
	v_and_or_b32 v20, v32, s96, v20
	v_lshl_or_b32 v20, v21, 21, v20
                                        ; implicit-def: $vgpr21
.LBB4_1841:                             ;   in Loop: Header=BB4_772 Depth=4
	s_andn2_saveexec_b64 s[72:73], s[72:73]
; %bb.1842:                             ;   in Loop: Header=BB4_772 Depth=4
	v_mov_b32_e32 v20, -1
	v_cmp_gt_i16_sdwa vcc, sext(v16), v20 src0_sel:BYTE_0 src1_sel:DWORD
	v_cndmask_b32_e32 v20, v6, v1, vcc
	v_cmp_eq_u32_e32 vcc, 0, v21
	v_mov_b32_e32 v21, 0x7f800001
	v_cndmask_b32_e32 v20, v21, v20, vcc
; %bb.1843:                             ;   in Loop: Header=BB4_772 Depth=4
	s_or_b64 exec, exec, s[72:73]
.LBB4_1844:                             ;   in Loop: Header=BB4_772 Depth=4
	s_or_b64 exec, exec, s[70:71]
.LBB4_1845:                             ;   in Loop: Header=BB4_772 Depth=4
	s_or_b64 exec, exec, s[68:69]
	v_max_f32_e32 v20, v20, v20
	v_max_f32_e32 v17, v17, v17
	;; [unrolled: 1-line block ×3, first 2 shown]
	s_branch .LBB4_1864
.LBB4_1846:                             ;   in Loop: Header=BB4_772 Depth=4
                                        ; implicit-def: $vgpr17
	s_cbranch_execz .LBB4_1864
; %bb.1847:                             ;   in Loop: Header=BB4_772 Depth=4
	v_mov_b32_e32 v20, 0
	v_mov_b32_e32 v17, 0
	s_and_saveexec_b64 s[68:69], s[30:31]
	s_cbranch_execz .LBB4_1855
; %bb.1848:                             ;   in Loop: Header=BB4_772 Depth=4
	v_cmp_ne_u16_sdwa vcc, v18, s97 src0_sel:BYTE_0 src1_sel:DWORD
	v_bfrev_b32_e32 v17, 1
	s_and_saveexec_b64 s[30:31], vcc
	s_cbranch_execz .LBB4_1854
; %bb.1849:                             ;   in Loop: Header=BB4_772 Depth=4
	v_and_b32_e32 v17, 0x7c0000, v13
	v_bfe_u32 v21, v13, 16, 2
	v_cmp_ne_u32_e32 vcc, s36, v17
                                        ; implicit-def: $vgpr17
	s_and_saveexec_b64 s[70:71], vcc
	s_xor_b64 s[70:71], exec, s[70:71]
	s_cbranch_execz .LBB4_1851
; %bb.1850:                             ;   in Loop: Header=BB4_772 Depth=4
	v_ffbh_u32_e32 v32, v21
	v_bfe_u32 v17, v13, 18, 5
	v_min_u32_e32 v32, 32, v32
	v_subrev_u32_e32 v33, 29, v32
	v_sub_u32_e32 v32, 30, v32
	v_cmp_eq_u32_e32 vcc, 0, v17
	v_lshlrev_b64 v[36:37], v33, v[18:19]
	v_cndmask_b32_e32 v17, v17, v32, vcc
	v_bfrev_b32_e32 v32, 28
	v_and_b32_e32 v33, 3, v36
	v_lshlrev_b32_e32 v18, 24, v18
	v_lshl_add_u32 v17, v17, 23, v32
	v_cndmask_b32_e32 v21, v21, v33, vcc
	v_and_or_b32 v17, v18, s96, v17
	v_lshl_or_b32 v17, v21, 21, v17
                                        ; implicit-def: $vgpr21
                                        ; implicit-def: $vgpr18
.LBB4_1851:                             ;   in Loop: Header=BB4_772 Depth=4
	s_andn2_saveexec_b64 s[70:71], s[70:71]
; %bb.1852:                             ;   in Loop: Header=BB4_772 Depth=4
	v_mov_b32_e32 v17, -1
	v_cmp_gt_i16_sdwa vcc, sext(v18), v17 src0_sel:BYTE_0 src1_sel:DWORD
	v_cndmask_b32_e32 v17, v6, v1, vcc
	v_cmp_eq_u32_e32 vcc, 0, v21
	v_mov_b32_e32 v18, 0x7f800001
	v_cndmask_b32_e32 v17, v18, v17, vcc
; %bb.1853:                             ;   in Loop: Header=BB4_772 Depth=4
	s_or_b64 exec, exec, s[70:71]
.LBB4_1854:                             ;   in Loop: Header=BB4_772 Depth=4
	s_or_b64 exec, exec, s[30:31]
.LBB4_1855:                             ;   in Loop: Header=BB4_772 Depth=4
	s_or_b64 exec, exec, s[68:69]
	v_cmp_ne_u16_sdwa vcc, v16, v43 src0_sel:BYTE_0 src1_sel:DWORD
	s_and_saveexec_b64 s[30:31], vcc
	s_cbranch_execz .LBB4_1863
; %bb.1856:                             ;   in Loop: Header=BB4_772 Depth=4
	v_cmp_ne_u16_sdwa vcc, v16, s97 src0_sel:BYTE_0 src1_sel:DWORD
	v_bfrev_b32_e32 v20, 1
	s_and_saveexec_b64 s[68:69], vcc
	s_cbranch_execz .LBB4_1862
; %bb.1857:                             ;   in Loop: Header=BB4_772 Depth=4
	v_and_b32_e32 v20, 0x7c0000, v9
	v_bfe_u32 v18, v9, 16, 2
	v_cmp_ne_u32_e32 vcc, s36, v20
                                        ; implicit-def: $vgpr20
	s_and_saveexec_b64 s[70:71], vcc
	s_xor_b64 s[70:71], exec, s[70:71]
	s_cbranch_execz .LBB4_1859
; %bb.1858:                             ;   in Loop: Header=BB4_772 Depth=4
	v_ffbh_u32_e32 v20, v18
	v_min_u32_e32 v33, 32, v20
	v_subrev_u32_e32 v20, 29, v33
	v_bfe_u32 v32, v9, 18, 5
	v_lshlrev_b64 v[20:21], v20, v[16:17]
	v_sub_u32_e32 v21, 30, v33
	v_and_b32_e32 v20, 3, v20
	v_cmp_eq_u32_e32 vcc, 0, v32
	v_cndmask_b32_e32 v21, v32, v21, vcc
	v_cndmask_b32_e32 v18, v18, v20, vcc
	v_bfrev_b32_e32 v20, 28
	v_lshlrev_b32_e32 v16, 24, v16
	v_lshl_add_u32 v20, v21, 23, v20
	v_and_or_b32 v16, v16, s96, v20
	v_lshl_or_b32 v20, v18, 21, v16
                                        ; implicit-def: $vgpr18
                                        ; implicit-def: $vgpr16
.LBB4_1859:                             ;   in Loop: Header=BB4_772 Depth=4
	s_andn2_saveexec_b64 s[70:71], s[70:71]
; %bb.1860:                             ;   in Loop: Header=BB4_772 Depth=4
	v_mov_b32_e32 v20, -1
	v_cmp_gt_i16_sdwa vcc, sext(v16), v20 src0_sel:BYTE_0 src1_sel:DWORD
	v_cndmask_b32_e32 v16, v6, v1, vcc
	v_cmp_eq_u32_e32 vcc, 0, v18
	v_mov_b32_e32 v18, 0x7f800001
	v_cndmask_b32_e32 v20, v18, v16, vcc
; %bb.1861:                             ;   in Loop: Header=BB4_772 Depth=4
	s_or_b64 exec, exec, s[70:71]
.LBB4_1862:                             ;   in Loop: Header=BB4_772 Depth=4
	s_or_b64 exec, exec, s[68:69]
.LBB4_1863:                             ;   in Loop: Header=BB4_772 Depth=4
	s_or_b64 exec, exec, s[30:31]
	v_max_f32_e32 v16, v20, v20
	v_max_f32_e32 v17, v17, v17
	v_min_f32_e32 v17, v17, v16
.LBB4_1864:                             ;   in Loop: Header=BB4_772 Depth=4
	v_and_b32_sdwa v18, v17, s97 dst_sel:DWORD dst_unused:UNUSED_PAD src0_sel:BYTE_3 src1_sel:DWORD
	v_and_b32_e32 v36, 0x7f800000, v17
	v_mov_b32_e32 v37, v43
	v_and_b32_e32 v42, 0x7fffff, v17
	v_or_b32_e32 v20, 0x7b, v18
	v_cmp_ne_u64_e32 vcc, s[52:53], v[36:37]
	s_and_saveexec_b64 s[30:31], vcc
	s_xor_b64 s[68:69], exec, s[30:31]
	s_cbranch_execz .LBB4_1874
; %bb.1865:                             ;   in Loop: Header=BB4_772 Depth=4
	v_and_b32_e32 v36, 0x7fffffff, v17
	v_mov_b32_e32 v37, v43
	v_cmp_gt_u64_e32 vcc, s[54:55], v[36:37]
	s_and_saveexec_b64 s[70:71], vcc
	s_cbranch_execz .LBB4_1873
; %bb.1866:                             ;   in Loop: Header=BB4_772 Depth=4
	v_cmp_ne_u32_e32 vcc, 0, v17
	v_mov_b32_e32 v20, 0
	s_and_saveexec_b64 s[72:73], vcc
	s_cbranch_execz .LBB4_1872
; %bb.1867:                             ;   in Loop: Header=BB4_772 Depth=4
	v_bfe_u32 v16, v17, 23, 8
	v_cmp_eq_u32_e32 vcc, 0, v16
	v_add_u32_e32 v17, 0xffffff81, v16
	v_cmp_gt_u32_e64 s[30:31], s38, v16
	v_sub_u32_e32 v16, 0x71, v16
	v_mov_b32_e32 v21, 0xffffff82
	v_cndmask_b32_e64 v16, 0, v16, s[30:31]
	v_cndmask_b32_e32 v32, v17, v21, vcc
	v_mov_b32_e32 v17, 0x70
	v_cndmask_b32_e32 v33, v16, v17, vcc
	v_add_u32_e32 v16, 21, v33
	v_or_b32_e32 v20, 0x800000, v42
	v_lshlrev_b64 v[16:17], v16, -1
	v_cndmask_b32_e32 v42, v20, v42, vcc
	v_not_b32_e32 v17, v17
	v_not_b32_e32 v16, v16
	v_add_u32_e32 v20, 20, v33
	v_and_b32_e32 v17, 0, v17
	v_and_b32_e32 v16, v42, v16
	v_lshlrev_b64 v[20:21], v20, 1
	v_cmp_eq_u64_e32 vcc, v[16:17], v[20:21]
	v_lshrrev_b64 v[16:17], v33, v[42:43]
	v_lshrrev_b32_e32 v20, 23, v16
	v_add3_u32 v36, v33, v32, v20
	v_bfe_u32 v20, v16, 21, 1
	v_add_u32_e32 v20, -1, v20
	v_cndmask_b32_e32 v20, 0, v20, vcc
	v_add_u32_e32 v20, v20, v16
	v_and_b32_e32 v20, 0x1fffff, v20
	v_add_co_u32_e32 v16, vcc, v20, v16
	v_add_u32_e32 v21, 14, v36
	v_addc_co_u32_e32 v17, vcc, 0, v17, vcc
	v_cmp_ne_u32_e32 vcc, 0, v21
                                        ; implicit-def: $vgpr20
	s_and_saveexec_b64 s[30:31], vcc
	s_xor_b64 s[30:31], exec, s[30:31]
; %bb.1868:                             ;   in Loop: Header=BB4_772 Depth=4
	v_add_u32_e32 v20, 15, v36
	v_cmp_lt_u64_e32 vcc, s[56:57], v[16:17]
	v_cndmask_b32_e32 v20, v21, v20, vcc
	v_cndmask_b32_e64 v21, 0, 1, vcc
	v_lshrrev_b64 v[16:17], v21, v[16:17]
; %bb.1869:                             ;   in Loop: Header=BB4_772 Depth=4
	s_andn2_saveexec_b64 vcc, s[30:31]
; %bb.1870:                             ;   in Loop: Header=BB4_772 Depth=4
	v_bfe_u32 v20, v16, 23, 1
; %bb.1871:                             ;   in Loop: Header=BB4_772 Depth=4
	s_or_b64 exec, exec, vcc
	v_lshrrev_b64 v[16:17], 21, v[16:17]
	v_cmp_gt_i32_e32 vcc, 32, v20
	v_cndmask_b32_e32 v17, 0, v17, vcc
	v_cndmask_b32_e32 v16, 3, v16, vcc
	v_cmp_eq_u64_e64 s[30:31], 0, v[16:17]
	v_min_i32_e32 v17, 31, v20
	v_cmp_eq_u32_e32 vcc, 0, v20
	v_lshlrev_b32_e32 v17, 2, v17
	v_and_or_b32 v16, v16, 3, v17
	s_and_b64 vcc, vcc, s[30:31]
	v_cndmask_b32_e64 v16, v16, 0, vcc
	v_or_b32_e32 v20, v16, v18
.LBB4_1872:                             ;   in Loop: Header=BB4_772 Depth=4
	s_or_b64 exec, exec, s[72:73]
.LBB4_1873:                             ;   in Loop: Header=BB4_772 Depth=4
	s_or_b64 exec, exec, s[70:71]
                                        ; implicit-def: $vgpr17
.LBB4_1874:                             ;   in Loop: Header=BB4_772 Depth=4
	s_andn2_saveexec_b64 s[30:31], s[68:69]
; %bb.1875:                             ;   in Loop: Header=BB4_772 Depth=4
	v_or_b32_sdwa v16, v17, s39 dst_sel:DWORD dst_unused:UNUSED_PAD src0_sel:BYTE_3 src1_sel:DWORD
	v_cmp_eq_u64_e32 vcc, 0, v[42:43]
	v_cndmask_b32_e32 v20, v16, v20, vcc
; %bb.1876:                             ;   in Loop: Header=BB4_772 Depth=4
	s_or_b64 exec, exec, s[30:31]
	v_lshrrev_b32_e32 v18, 24, v13
	v_lshrrev_b32_e32 v16, 24, v9
	s_and_b64 vcc, exec, s[28:29]
	v_cmp_lt_u64_e64 s[30:31], s[42:43], v[12:13]
	s_cbranch_vccnz .LBB4_1894
; %bb.1877:                             ;   in Loop: Header=BB4_772 Depth=4
	v_mov_b32_e32 v21, 0
	v_mov_b32_e32 v17, 0
	s_and_saveexec_b64 s[68:69], s[30:31]
	s_cbranch_execz .LBB4_1885
; %bb.1878:                             ;   in Loop: Header=BB4_772 Depth=4
	v_cmp_ne_u32_e32 vcc, s97, v18
	v_bfrev_b32_e32 v17, 1
	s_and_saveexec_b64 s[70:71], vcc
	s_cbranch_execz .LBB4_1884
; %bb.1879:                             ;   in Loop: Header=BB4_772 Depth=4
	v_and_b32_e32 v17, 0x7c000000, v13
	v_bfe_u32 v36, v13, 24, 2
	v_cmp_ne_u32_e32 vcc, s37, v17
                                        ; implicit-def: $vgpr17
	s_and_saveexec_b64 s[72:73], vcc
	s_xor_b64 s[72:73], exec, s[72:73]
	s_cbranch_execz .LBB4_1881
; %bb.1880:                             ;   in Loop: Header=BB4_772 Depth=4
	v_ffbh_u32_e32 v32, v36
	v_min_u32_e32 v32, 32, v32
	v_subrev_u32_e32 v33, 29, v32
	v_bfe_u32 v17, v13, 26, 5
	v_lshlrev_b64 v[50:51], v33, v[18:19]
	v_sub_u32_e32 v32, 30, v32
	v_and_b32_e32 v33, 3, v50
	v_cmp_eq_u32_e32 vcc, 0, v17
	v_cndmask_b32_e32 v17, v17, v32, vcc
	v_cndmask_b32_e32 v32, v36, v33, vcc
	v_bfrev_b32_e32 v33, 28
	v_lshl_add_u32 v17, v17, 23, v33
	v_and_or_b32 v17, v13, s96, v17
	v_lshl_or_b32 v17, v32, 21, v17
                                        ; implicit-def: $vgpr36
.LBB4_1881:                             ;   in Loop: Header=BB4_772 Depth=4
	s_andn2_saveexec_b64 s[72:73], s[72:73]
; %bb.1882:                             ;   in Loop: Header=BB4_772 Depth=4
	v_cmp_lt_i64_e32 vcc, -1, v[12:13]
	v_cndmask_b32_e32 v17, v6, v1, vcc
	v_cmp_eq_u32_e32 vcc, 0, v36
	v_mov_b32_e32 v32, 0x7f800001
	v_cndmask_b32_e32 v17, v32, v17, vcc
; %bb.1883:                             ;   in Loop: Header=BB4_772 Depth=4
	s_or_b64 exec, exec, s[72:73]
.LBB4_1884:                             ;   in Loop: Header=BB4_772 Depth=4
	s_or_b64 exec, exec, s[70:71]
.LBB4_1885:                             ;   in Loop: Header=BB4_772 Depth=4
	s_or_b64 exec, exec, s[68:69]
	v_cmp_lt_u64_e32 vcc, s[42:43], v[8:9]
	s_and_saveexec_b64 s[68:69], vcc
	s_cbranch_execz .LBB4_1893
; %bb.1886:                             ;   in Loop: Header=BB4_772 Depth=4
	v_cmp_ne_u32_e32 vcc, s97, v16
	v_bfrev_b32_e32 v21, 1
	s_and_saveexec_b64 s[70:71], vcc
	s_cbranch_execz .LBB4_1892
; %bb.1887:                             ;   in Loop: Header=BB4_772 Depth=4
	v_and_b32_e32 v21, 0x7c000000, v9
	v_bfe_u32 v36, v9, 24, 2
	v_cmp_ne_u32_e32 vcc, s37, v21
                                        ; implicit-def: $vgpr21
	s_and_saveexec_b64 s[72:73], vcc
	s_xor_b64 s[72:73], exec, s[72:73]
	s_cbranch_execz .LBB4_1889
; %bb.1888:                             ;   in Loop: Header=BB4_772 Depth=4
	v_ffbh_u32_e32 v32, v36
	v_min_u32_e32 v32, 32, v32
	v_subrev_u32_e32 v33, 29, v32
	v_bfe_u32 v21, v9, 26, 5
	v_lshlrev_b64 v[50:51], v33, v[16:17]
	v_sub_u32_e32 v32, 30, v32
	v_and_b32_e32 v33, 3, v50
	v_cmp_eq_u32_e32 vcc, 0, v21
	v_cndmask_b32_e32 v21, v21, v32, vcc
	v_cndmask_b32_e32 v32, v36, v33, vcc
	v_bfrev_b32_e32 v33, 28
	v_lshl_add_u32 v21, v21, 23, v33
	v_and_or_b32 v21, v9, s96, v21
	v_lshl_or_b32 v21, v32, 21, v21
                                        ; implicit-def: $vgpr36
.LBB4_1889:                             ;   in Loop: Header=BB4_772 Depth=4
	s_andn2_saveexec_b64 s[72:73], s[72:73]
; %bb.1890:                             ;   in Loop: Header=BB4_772 Depth=4
	v_cmp_lt_i64_e32 vcc, -1, v[8:9]
	v_cndmask_b32_e32 v21, v6, v1, vcc
	v_cmp_eq_u32_e32 vcc, 0, v36
	v_mov_b32_e32 v32, 0x7f800001
	v_cndmask_b32_e32 v21, v32, v21, vcc
; %bb.1891:                             ;   in Loop: Header=BB4_772 Depth=4
	s_or_b64 exec, exec, s[72:73]
.LBB4_1892:                             ;   in Loop: Header=BB4_772 Depth=4
	s_or_b64 exec, exec, s[70:71]
.LBB4_1893:                             ;   in Loop: Header=BB4_772 Depth=4
	s_or_b64 exec, exec, s[68:69]
	v_max_f32_e32 v21, v21, v21
	v_max_f32_e32 v17, v17, v17
	;; [unrolled: 1-line block ×3, first 2 shown]
	s_branch .LBB4_1912
.LBB4_1894:                             ;   in Loop: Header=BB4_772 Depth=4
                                        ; implicit-def: $vgpr17
	s_cbranch_execz .LBB4_1912
; %bb.1895:                             ;   in Loop: Header=BB4_772 Depth=4
	v_mov_b32_e32 v21, 0
	v_mov_b32_e32 v17, 0
	s_and_saveexec_b64 s[68:69], s[30:31]
	s_cbranch_execz .LBB4_1903
; %bb.1896:                             ;   in Loop: Header=BB4_772 Depth=4
	v_cmp_ne_u32_e32 vcc, s97, v18
	v_bfrev_b32_e32 v17, 1
	s_and_saveexec_b64 s[30:31], vcc
	s_cbranch_execz .LBB4_1902
; %bb.1897:                             ;   in Loop: Header=BB4_772 Depth=4
	v_and_b32_e32 v17, 0x7c000000, v13
	v_bfe_u32 v36, v13, 24, 2
	v_cmp_ne_u32_e32 vcc, s37, v17
                                        ; implicit-def: $vgpr17
	s_and_saveexec_b64 s[70:71], vcc
	s_xor_b64 s[70:71], exec, s[70:71]
	s_cbranch_execz .LBB4_1899
; %bb.1898:                             ;   in Loop: Header=BB4_772 Depth=4
	v_ffbh_u32_e32 v17, v36
	v_min_u32_e32 v17, 32, v17
	v_subrev_u32_e32 v32, 29, v17
	v_bfe_u32 v12, v13, 26, 5
	v_lshlrev_b64 v[50:51], v32, v[18:19]
	v_sub_u32_e32 v17, 30, v17
	v_and_b32_e32 v18, 3, v50
	v_cmp_eq_u32_e32 vcc, 0, v12
	v_cndmask_b32_e32 v12, v12, v17, vcc
	v_cndmask_b32_e32 v17, v36, v18, vcc
	v_bfrev_b32_e32 v18, 28
	v_lshl_add_u32 v12, v12, 23, v18
	v_and_or_b32 v12, v13, s96, v12
	v_lshl_or_b32 v17, v17, 21, v12
                                        ; implicit-def: $vgpr36
.LBB4_1899:                             ;   in Loop: Header=BB4_772 Depth=4
	s_andn2_saveexec_b64 s[70:71], s[70:71]
; %bb.1900:                             ;   in Loop: Header=BB4_772 Depth=4
	v_cmp_lt_i64_e32 vcc, -1, v[12:13]
	v_cndmask_b32_e32 v12, v6, v1, vcc
	v_cmp_eq_u32_e32 vcc, 0, v36
	v_mov_b32_e32 v13, 0x7f800001
	v_cndmask_b32_e32 v17, v13, v12, vcc
; %bb.1901:                             ;   in Loop: Header=BB4_772 Depth=4
	s_or_b64 exec, exec, s[70:71]
.LBB4_1902:                             ;   in Loop: Header=BB4_772 Depth=4
	s_or_b64 exec, exec, s[30:31]
.LBB4_1903:                             ;   in Loop: Header=BB4_772 Depth=4
	s_or_b64 exec, exec, s[68:69]
	v_cmp_lt_u64_e32 vcc, s[42:43], v[8:9]
	s_and_saveexec_b64 s[30:31], vcc
	s_cbranch_execz .LBB4_1911
; %bb.1904:                             ;   in Loop: Header=BB4_772 Depth=4
	v_cmp_ne_u32_e32 vcc, s97, v16
	v_bfrev_b32_e32 v21, 1
	s_and_saveexec_b64 s[68:69], vcc
	s_cbranch_execz .LBB4_1910
; %bb.1905:                             ;   in Loop: Header=BB4_772 Depth=4
	v_and_b32_e32 v13, 0x7c000000, v9
	v_bfe_u32 v12, v9, 24, 2
	v_cmp_ne_u32_e32 vcc, s37, v13
                                        ; implicit-def: $vgpr21
	s_and_saveexec_b64 s[70:71], vcc
	s_xor_b64 s[70:71], exec, s[70:71]
	s_cbranch_execz .LBB4_1907
; %bb.1906:                             ;   in Loop: Header=BB4_772 Depth=4
	v_ffbh_u32_e32 v13, v12
	v_bfe_u32 v8, v9, 26, 5
	v_min_u32_e32 v13, 32, v13
	v_subrev_u32_e32 v18, 29, v13
	v_sub_u32_e32 v13, 30, v13
	v_cmp_eq_u32_e32 vcc, 0, v8
	v_lshlrev_b64 v[36:37], v18, v[16:17]
	v_cndmask_b32_e32 v8, v8, v13, vcc
	v_bfrev_b32_e32 v13, 28
	v_and_b32_e32 v16, 3, v36
	v_lshl_add_u32 v8, v8, 23, v13
	v_cndmask_b32_e32 v12, v12, v16, vcc
	v_and_or_b32 v8, v9, s96, v8
	v_lshl_or_b32 v21, v12, 21, v8
                                        ; implicit-def: $vgpr12
.LBB4_1907:                             ;   in Loop: Header=BB4_772 Depth=4
	s_andn2_saveexec_b64 s[70:71], s[70:71]
; %bb.1908:                             ;   in Loop: Header=BB4_772 Depth=4
	v_cmp_lt_i64_e32 vcc, -1, v[8:9]
	v_cndmask_b32_e32 v8, v6, v1, vcc
	v_cmp_eq_u32_e32 vcc, 0, v12
	v_mov_b32_e32 v9, 0x7f800001
	v_cndmask_b32_e32 v21, v9, v8, vcc
; %bb.1909:                             ;   in Loop: Header=BB4_772 Depth=4
	s_or_b64 exec, exec, s[70:71]
.LBB4_1910:                             ;   in Loop: Header=BB4_772 Depth=4
	s_or_b64 exec, exec, s[68:69]
.LBB4_1911:                             ;   in Loop: Header=BB4_772 Depth=4
	s_or_b64 exec, exec, s[30:31]
	v_max_f32_e32 v8, v21, v21
	v_max_f32_e32 v9, v17, v17
	v_min_f32_e32 v17, v9, v8
.LBB4_1912:                             ;   in Loop: Header=BB4_772 Depth=4
	v_and_b32_sdwa v12, v17, s97 dst_sel:DWORD dst_unused:UNUSED_PAD src0_sel:BYTE_3 src1_sel:DWORD
	v_and_b32_e32 v8, 0x7f800000, v17
	v_mov_b32_e32 v9, v43
	v_and_b32_e32 v42, 0x7fffff, v17
	v_or_b32_e32 v18, 0x7b, v12
	v_cmp_ne_u64_e32 vcc, s[52:53], v[8:9]
	s_and_saveexec_b64 s[30:31], vcc
	s_xor_b64 s[68:69], exec, s[30:31]
	s_cbranch_execz .LBB4_1940
; %bb.1913:                             ;   in Loop: Header=BB4_772 Depth=4
	v_and_b32_e32 v8, 0x7fffffff, v17
	v_mov_b32_e32 v9, v43
	v_cmp_gt_u64_e32 vcc, s[54:55], v[8:9]
	s_and_saveexec_b64 s[70:71], vcc
	s_cbranch_execz .LBB4_1921
; %bb.1914:                             ;   in Loop: Header=BB4_772 Depth=4
	v_cmp_ne_u32_e32 vcc, 0, v17
	v_mov_b32_e32 v18, 0
	s_and_saveexec_b64 s[72:73], vcc
	s_cbranch_execz .LBB4_1920
; %bb.1915:                             ;   in Loop: Header=BB4_772 Depth=4
	v_bfe_u32 v8, v17, 23, 8
	v_cmp_eq_u32_e32 vcc, 0, v8
	v_add_u32_e32 v9, 0xffffff81, v8
	v_cmp_gt_u32_e64 s[30:31], s38, v8
	v_sub_u32_e32 v8, 0x71, v8
	v_mov_b32_e32 v16, 0xffffff82
	v_cndmask_b32_e64 v8, 0, v8, s[30:31]
	v_cndmask_b32_e32 v18, v9, v16, vcc
	v_mov_b32_e32 v9, 0x70
	v_cndmask_b32_e32 v21, v8, v9, vcc
	v_add_u32_e32 v8, 21, v21
	v_or_b32_e32 v13, 0x800000, v42
	v_lshlrev_b64 v[8:9], v8, -1
	v_cndmask_b32_e32 v42, v13, v42, vcc
	v_not_b32_e32 v9, v9
	v_not_b32_e32 v8, v8
	v_add_u32_e32 v13, 20, v21
	v_and_b32_e32 v9, 0, v9
	v_and_b32_e32 v8, v42, v8
	v_lshlrev_b64 v[16:17], v13, 1
	v_cmp_eq_u64_e32 vcc, v[8:9], v[16:17]
	v_lshrrev_b64 v[8:9], v21, v[42:43]
	v_lshrrev_b32_e32 v13, 23, v8
	v_add3_u32 v17, v21, v18, v13
	v_bfe_u32 v13, v8, 21, 1
	v_add_u32_e32 v13, -1, v13
	v_cndmask_b32_e32 v13, 0, v13, vcc
	v_add_u32_e32 v13, v13, v8
	v_and_b32_e32 v13, 0x1fffff, v13
	v_add_co_u32_e32 v8, vcc, v13, v8
	v_add_u32_e32 v16, 14, v17
	v_addc_co_u32_e32 v9, vcc, 0, v9, vcc
	v_cmp_ne_u32_e32 vcc, 0, v16
                                        ; implicit-def: $vgpr13
	s_and_saveexec_b64 s[30:31], vcc
	s_xor_b64 s[30:31], exec, s[30:31]
; %bb.1916:                             ;   in Loop: Header=BB4_772 Depth=4
	v_add_u32_e32 v13, 15, v17
	v_cmp_lt_u64_e32 vcc, s[56:57], v[8:9]
	v_cndmask_b32_e32 v13, v16, v13, vcc
	v_cndmask_b32_e64 v16, 0, 1, vcc
	v_lshrrev_b64 v[8:9], v16, v[8:9]
; %bb.1917:                             ;   in Loop: Header=BB4_772 Depth=4
	s_andn2_saveexec_b64 vcc, s[30:31]
; %bb.1918:                             ;   in Loop: Header=BB4_772 Depth=4
	v_bfe_u32 v13, v8, 23, 1
; %bb.1919:                             ;   in Loop: Header=BB4_772 Depth=4
	s_or_b64 exec, exec, vcc
	v_lshrrev_b64 v[8:9], 21, v[8:9]
	v_cmp_gt_i32_e32 vcc, 32, v13
	v_cndmask_b32_e32 v9, 0, v9, vcc
	v_cndmask_b32_e32 v8, 3, v8, vcc
	v_cmp_eq_u64_e64 s[30:31], 0, v[8:9]
	v_min_i32_e32 v9, 31, v13
	v_lshlrev_b32_e32 v9, 2, v9
	v_cmp_eq_u32_e32 vcc, 0, v13
	v_and_b32_e32 v9, 0xfc, v9
	v_and_or_b32 v8, v8, 3, v9
	s_and_b64 vcc, vcc, s[30:31]
	v_cndmask_b32_e64 v8, v8, 0, vcc
	v_or_b32_e32 v18, v8, v12
.LBB4_1920:                             ;   in Loop: Header=BB4_772 Depth=4
	s_or_b64 exec, exec, s[72:73]
.LBB4_1921:                             ;   in Loop: Header=BB4_772 Depth=4
	s_or_b64 exec, exec, s[70:71]
                                        ; implicit-def: $vgpr17
	s_andn2_saveexec_b64 s[30:31], s[68:69]
	s_cbranch_execnz .LBB4_1941
.LBB4_1922:                             ;   in Loop: Header=BB4_772 Depth=4
	s_or_b64 exec, exec, s[30:31]
	s_and_b64 vcc, exec, s[28:29]
	v_cmp_ne_u16_sdwa s[30:31], v14, v43 src0_sel:BYTE_0 src1_sel:DWORD
	s_cbranch_vccnz .LBB4_1942
.LBB4_1923:                             ;   in Loop: Header=BB4_772 Depth=4
	v_mov_b32_e32 v9, 0
	v_mov_b32_e32 v8, 0
	s_and_saveexec_b64 s[68:69], s[30:31]
	s_cbranch_execz .LBB4_1931
; %bb.1924:                             ;   in Loop: Header=BB4_772 Depth=4
	v_cmp_ne_u16_sdwa vcc, sext(v14), s94 src0_sel:BYTE_0 src1_sel:DWORD
	v_bfrev_b32_e32 v8, 1
	s_and_saveexec_b64 s[70:71], vcc
	s_cbranch_execz .LBB4_1930
; %bb.1925:                             ;   in Loop: Header=BB4_772 Depth=4
	v_and_b32_e32 v8, 0x7c, v14
	v_and_b32_e32 v12, 3, v14
	v_cmp_ne_u32_e32 vcc, s95, v8
                                        ; implicit-def: $vgpr8
	s_and_saveexec_b64 s[72:73], vcc
	s_xor_b64 s[72:73], exec, s[72:73]
	s_cbranch_execz .LBB4_1927
; %bb.1926:                             ;   in Loop: Header=BB4_772 Depth=4
	v_ffbh_u32_e32 v13, v12
	v_min_u32_e32 v13, 32, v13
	v_subrev_u32_e32 v16, 29, v13
	v_bfe_u32 v8, v14, 2, 5
	v_lshlrev_b64 v[16:17], v16, v[14:15]
	v_sub_u32_e32 v13, 30, v13
	v_and_b32_e32 v16, 3, v16
	v_cmp_eq_u32_e32 vcc, 0, v8
	v_cndmask_b32_e32 v8, v8, v13, vcc
	v_cndmask_b32_e32 v12, v12, v16, vcc
	v_bfrev_b32_e32 v16, 28
	v_lshlrev_b32_e32 v13, 24, v14
	v_lshl_add_u32 v8, v8, 23, v16
	v_and_or_b32 v8, v13, s96, v8
	v_lshl_or_b32 v8, v12, 21, v8
                                        ; implicit-def: $vgpr12
.LBB4_1927:                             ;   in Loop: Header=BB4_772 Depth=4
	s_andn2_saveexec_b64 s[72:73], s[72:73]
; %bb.1928:                             ;   in Loop: Header=BB4_772 Depth=4
	v_mov_b32_e32 v8, -1
	v_cmp_gt_i16_sdwa vcc, sext(v14), v8 src0_sel:BYTE_0 src1_sel:DWORD
	v_cndmask_b32_e32 v8, v6, v1, vcc
	v_cmp_eq_u32_e32 vcc, 0, v12
	v_mov_b32_e32 v12, 0x7f800001
	v_cndmask_b32_e32 v8, v12, v8, vcc
; %bb.1929:                             ;   in Loop: Header=BB4_772 Depth=4
	s_or_b64 exec, exec, s[72:73]
.LBB4_1930:                             ;   in Loop: Header=BB4_772 Depth=4
	s_or_b64 exec, exec, s[70:71]
.LBB4_1931:                             ;   in Loop: Header=BB4_772 Depth=4
	s_or_b64 exec, exec, s[68:69]
	v_cmp_ne_u16_sdwa vcc, sext(v10), v43 src0_sel:BYTE_0 src1_sel:DWORD
	s_and_saveexec_b64 s[68:69], vcc
	s_cbranch_execz .LBB4_1939
; %bb.1932:                             ;   in Loop: Header=BB4_772 Depth=4
	v_cmp_ne_u16_sdwa vcc, sext(v10), s94 src0_sel:BYTE_0 src1_sel:DWORD
	v_bfrev_b32_e32 v9, 1
	s_and_saveexec_b64 s[70:71], vcc
	s_cbranch_execz .LBB4_1938
; %bb.1933:                             ;   in Loop: Header=BB4_772 Depth=4
	v_and_b32_e32 v9, 0x7c, v10
	v_and_b32_e32 v12, 3, v10
	v_cmp_ne_u32_e32 vcc, s95, v9
                                        ; implicit-def: $vgpr9
	s_and_saveexec_b64 s[72:73], vcc
	s_xor_b64 s[72:73], exec, s[72:73]
	s_cbranch_execz .LBB4_1935
; %bb.1934:                             ;   in Loop: Header=BB4_772 Depth=4
	v_ffbh_u32_e32 v13, v12
	v_min_u32_e32 v13, 32, v13
	v_subrev_u32_e32 v16, 29, v13
	v_bfe_u32 v9, v10, 2, 5
	v_lshlrev_b64 v[16:17], v16, v[10:11]
	v_sub_u32_e32 v13, 30, v13
	v_and_b32_e32 v16, 3, v16
	v_cmp_eq_u32_e32 vcc, 0, v9
	v_cndmask_b32_e32 v9, v9, v13, vcc
	v_cndmask_b32_e32 v12, v12, v16, vcc
	v_bfrev_b32_e32 v16, 28
	v_lshlrev_b32_e32 v13, 24, v10
	v_lshl_add_u32 v9, v9, 23, v16
	v_and_or_b32 v9, v13, s96, v9
	v_lshl_or_b32 v9, v12, 21, v9
                                        ; implicit-def: $vgpr12
.LBB4_1935:                             ;   in Loop: Header=BB4_772 Depth=4
	s_andn2_saveexec_b64 s[72:73], s[72:73]
; %bb.1936:                             ;   in Loop: Header=BB4_772 Depth=4
	v_mov_b32_e32 v9, -1
	v_cmp_gt_i16_sdwa vcc, sext(v10), v9 src0_sel:BYTE_0 src1_sel:DWORD
	v_cndmask_b32_e32 v9, v6, v1, vcc
	v_cmp_eq_u32_e32 vcc, 0, v12
	v_mov_b32_e32 v12, 0x7f800001
	v_cndmask_b32_e32 v9, v12, v9, vcc
; %bb.1937:                             ;   in Loop: Header=BB4_772 Depth=4
	s_or_b64 exec, exec, s[72:73]
.LBB4_1938:                             ;   in Loop: Header=BB4_772 Depth=4
	s_or_b64 exec, exec, s[70:71]
.LBB4_1939:                             ;   in Loop: Header=BB4_772 Depth=4
	s_or_b64 exec, exec, s[68:69]
	v_max_f32_e32 v9, v9, v9
	v_max_f32_e32 v8, v8, v8
	;; [unrolled: 1-line block ×3, first 2 shown]
	s_branch .LBB4_1960
.LBB4_1940:                             ;   in Loop: Header=BB4_772 Depth=4
	s_andn2_saveexec_b64 s[30:31], s[68:69]
	s_cbranch_execz .LBB4_1922
.LBB4_1941:                             ;   in Loop: Header=BB4_772 Depth=4
	v_or_b32_sdwa v8, v17, s39 dst_sel:DWORD dst_unused:UNUSED_PAD src0_sel:BYTE_3 src1_sel:DWORD
	v_cmp_eq_u64_e32 vcc, 0, v[42:43]
	v_cndmask_b32_e32 v18, v8, v18, vcc
	s_or_b64 exec, exec, s[30:31]
	s_and_b64 vcc, exec, s[28:29]
	v_cmp_ne_u16_sdwa s[30:31], v14, v43 src0_sel:BYTE_0 src1_sel:DWORD
	s_cbranch_vccz .LBB4_1923
.LBB4_1942:                             ;   in Loop: Header=BB4_772 Depth=4
                                        ; implicit-def: $vgpr8
	s_cbranch_execz .LBB4_1960
; %bb.1943:                             ;   in Loop: Header=BB4_772 Depth=4
	v_mov_b32_e32 v9, 0
	v_mov_b32_e32 v8, 0
	s_and_saveexec_b64 s[68:69], s[30:31]
	s_cbranch_execz .LBB4_1951
; %bb.1944:                             ;   in Loop: Header=BB4_772 Depth=4
	v_cmp_ne_u16_sdwa vcc, sext(v14), s94 src0_sel:BYTE_0 src1_sel:DWORD
	v_bfrev_b32_e32 v8, 1
	s_and_saveexec_b64 s[30:31], vcc
	s_cbranch_execz .LBB4_1950
; %bb.1945:                             ;   in Loop: Header=BB4_772 Depth=4
	v_and_b32_e32 v8, 0x7c, v14
	v_and_b32_e32 v12, 3, v14
	v_cmp_ne_u32_e32 vcc, s95, v8
                                        ; implicit-def: $vgpr8
	s_and_saveexec_b64 s[70:71], vcc
	s_xor_b64 s[70:71], exec, s[70:71]
	s_cbranch_execz .LBB4_1947
; %bb.1946:                             ;   in Loop: Header=BB4_772 Depth=4
	v_ffbh_u32_e32 v13, v12
	v_min_u32_e32 v13, 32, v13
	v_subrev_u32_e32 v16, 29, v13
	v_bfe_u32 v8, v14, 2, 5
	v_lshlrev_b64 v[16:17], v16, v[14:15]
	v_sub_u32_e32 v13, 30, v13
	v_and_b32_e32 v16, 3, v16
	v_cmp_eq_u32_e32 vcc, 0, v8
	v_cndmask_b32_e32 v8, v8, v13, vcc
	v_cndmask_b32_e32 v12, v12, v16, vcc
	v_bfrev_b32_e32 v16, 28
	v_lshlrev_b32_e32 v13, 24, v14
	v_lshl_add_u32 v8, v8, 23, v16
	v_and_or_b32 v8, v13, s96, v8
	v_lshl_or_b32 v8, v12, 21, v8
                                        ; implicit-def: $vgpr12
.LBB4_1947:                             ;   in Loop: Header=BB4_772 Depth=4
	s_andn2_saveexec_b64 s[70:71], s[70:71]
; %bb.1948:                             ;   in Loop: Header=BB4_772 Depth=4
	v_mov_b32_e32 v8, -1
	v_cmp_gt_i16_sdwa vcc, sext(v14), v8 src0_sel:BYTE_0 src1_sel:DWORD
	v_cndmask_b32_e32 v8, v6, v1, vcc
	v_cmp_eq_u32_e32 vcc, 0, v12
	v_mov_b32_e32 v12, 0x7f800001
	v_cndmask_b32_e32 v8, v12, v8, vcc
; %bb.1949:                             ;   in Loop: Header=BB4_772 Depth=4
	s_or_b64 exec, exec, s[70:71]
.LBB4_1950:                             ;   in Loop: Header=BB4_772 Depth=4
	s_or_b64 exec, exec, s[30:31]
.LBB4_1951:                             ;   in Loop: Header=BB4_772 Depth=4
	s_or_b64 exec, exec, s[68:69]
	v_cmp_ne_u16_sdwa vcc, sext(v10), v43 src0_sel:BYTE_0 src1_sel:DWORD
	s_and_saveexec_b64 s[30:31], vcc
	s_cbranch_execz .LBB4_1959
; %bb.1952:                             ;   in Loop: Header=BB4_772 Depth=4
	v_cmp_ne_u16_sdwa vcc, sext(v10), s94 src0_sel:BYTE_0 src1_sel:DWORD
	v_bfrev_b32_e32 v9, 1
	s_and_saveexec_b64 s[68:69], vcc
	s_cbranch_execz .LBB4_1958
; %bb.1953:                             ;   in Loop: Header=BB4_772 Depth=4
	v_and_b32_e32 v9, 0x7c, v10
	v_and_b32_e32 v12, 3, v10
	v_cmp_ne_u32_e32 vcc, s95, v9
                                        ; implicit-def: $vgpr9
	s_and_saveexec_b64 s[70:71], vcc
	s_xor_b64 s[70:71], exec, s[70:71]
	s_cbranch_execz .LBB4_1955
; %bb.1954:                             ;   in Loop: Header=BB4_772 Depth=4
	v_ffbh_u32_e32 v13, v12
	v_min_u32_e32 v13, 32, v13
	v_subrev_u32_e32 v16, 29, v13
	v_bfe_u32 v9, v10, 2, 5
	v_lshlrev_b64 v[16:17], v16, v[10:11]
	v_sub_u32_e32 v13, 30, v13
	v_and_b32_e32 v16, 3, v16
	v_cmp_eq_u32_e32 vcc, 0, v9
	v_cndmask_b32_e32 v9, v9, v13, vcc
	v_cndmask_b32_e32 v12, v12, v16, vcc
	v_bfrev_b32_e32 v16, 28
	v_lshlrev_b32_e32 v13, 24, v10
	v_lshl_add_u32 v9, v9, 23, v16
	v_and_or_b32 v9, v13, s96, v9
	v_lshl_or_b32 v9, v12, 21, v9
                                        ; implicit-def: $vgpr12
.LBB4_1955:                             ;   in Loop: Header=BB4_772 Depth=4
	s_andn2_saveexec_b64 s[70:71], s[70:71]
; %bb.1956:                             ;   in Loop: Header=BB4_772 Depth=4
	v_mov_b32_e32 v9, -1
	v_cmp_gt_i16_sdwa vcc, sext(v10), v9 src0_sel:BYTE_0 src1_sel:DWORD
	v_cndmask_b32_e32 v9, v6, v1, vcc
	v_cmp_eq_u32_e32 vcc, 0, v12
	v_mov_b32_e32 v12, 0x7f800001
	v_cndmask_b32_e32 v9, v12, v9, vcc
; %bb.1957:                             ;   in Loop: Header=BB4_772 Depth=4
	s_or_b64 exec, exec, s[70:71]
.LBB4_1958:                             ;   in Loop: Header=BB4_772 Depth=4
	s_or_b64 exec, exec, s[68:69]
.LBB4_1959:                             ;   in Loop: Header=BB4_772 Depth=4
	s_or_b64 exec, exec, s[30:31]
	v_max_f32_e32 v9, v9, v9
	v_max_f32_e32 v8, v8, v8
	v_min_f32_e32 v8, v8, v9
.LBB4_1960:                             ;   in Loop: Header=BB4_772 Depth=4
	v_and_b32_sdwa v12, v8, s97 dst_sel:DWORD dst_unused:UNUSED_PAD src0_sel:BYTE_3 src1_sel:DWORD
	v_and_b32_e32 v16, 0x7f800000, v8
	v_mov_b32_e32 v17, v43
	v_and_b32_e32 v42, 0x7fffff, v8
	v_or_b32_e32 v21, 0x7b, v12
	v_cmp_ne_u64_e32 vcc, s[52:53], v[16:17]
	s_and_saveexec_b64 s[30:31], vcc
	s_xor_b64 s[68:69], exec, s[30:31]
	s_cbranch_execz .LBB4_1970
; %bb.1961:                             ;   in Loop: Header=BB4_772 Depth=4
	v_and_b32_e32 v16, 0x7fffffff, v8
	v_mov_b32_e32 v17, v43
	v_cmp_gt_u64_e32 vcc, s[54:55], v[16:17]
	s_and_saveexec_b64 s[70:71], vcc
	s_cbranch_execz .LBB4_1969
; %bb.1962:                             ;   in Loop: Header=BB4_772 Depth=4
	v_cmp_ne_u32_e32 vcc, 0, v8
	v_mov_b32_e32 v21, 0
	s_and_saveexec_b64 s[72:73], vcc
	s_cbranch_execz .LBB4_1968
; %bb.1963:                             ;   in Loop: Header=BB4_772 Depth=4
	v_bfe_u32 v8, v8, 23, 8
	v_cmp_eq_u32_e32 vcc, 0, v8
	v_add_u32_e32 v9, 0xffffff81, v8
	v_cmp_gt_u32_e64 s[30:31], s38, v8
	v_sub_u32_e32 v8, 0x71, v8
	v_mov_b32_e32 v16, 0xffffff82
	v_cndmask_b32_e64 v8, 0, v8, s[30:31]
	v_cndmask_b32_e32 v21, v9, v16, vcc
	v_mov_b32_e32 v9, 0x70
	v_cndmask_b32_e32 v32, v8, v9, vcc
	v_add_u32_e32 v8, 21, v32
	v_or_b32_e32 v13, 0x800000, v42
	v_lshlrev_b64 v[8:9], v8, -1
	v_cndmask_b32_e32 v42, v13, v42, vcc
	v_not_b32_e32 v9, v9
	v_not_b32_e32 v8, v8
	v_add_u32_e32 v13, 20, v32
	v_and_b32_e32 v9, 0, v9
	v_and_b32_e32 v8, v42, v8
	v_lshlrev_b64 v[16:17], v13, 1
	v_cmp_eq_u64_e32 vcc, v[8:9], v[16:17]
	v_lshrrev_b64 v[8:9], v32, v[42:43]
	v_lshrrev_b32_e32 v13, 23, v8
	v_add3_u32 v17, v32, v21, v13
	v_bfe_u32 v13, v8, 21, 1
	v_add_u32_e32 v13, -1, v13
	v_cndmask_b32_e32 v13, 0, v13, vcc
	v_add_u32_e32 v13, v13, v8
	v_and_b32_e32 v13, 0x1fffff, v13
	v_add_co_u32_e32 v8, vcc, v13, v8
	v_add_u32_e32 v16, 14, v17
	v_addc_co_u32_e32 v9, vcc, 0, v9, vcc
	v_cmp_ne_u32_e32 vcc, 0, v16
                                        ; implicit-def: $vgpr13
	s_and_saveexec_b64 s[30:31], vcc
	s_xor_b64 s[30:31], exec, s[30:31]
; %bb.1964:                             ;   in Loop: Header=BB4_772 Depth=4
	v_add_u32_e32 v13, 15, v17
	v_cmp_lt_u64_e32 vcc, s[56:57], v[8:9]
	v_cndmask_b32_e32 v13, v16, v13, vcc
	v_cndmask_b32_e64 v16, 0, 1, vcc
	v_lshrrev_b64 v[8:9], v16, v[8:9]
; %bb.1965:                             ;   in Loop: Header=BB4_772 Depth=4
	s_andn2_saveexec_b64 vcc, s[30:31]
; %bb.1966:                             ;   in Loop: Header=BB4_772 Depth=4
	v_bfe_u32 v13, v8, 23, 1
; %bb.1967:                             ;   in Loop: Header=BB4_772 Depth=4
	s_or_b64 exec, exec, vcc
	v_lshrrev_b64 v[8:9], 21, v[8:9]
	v_cmp_gt_i32_e32 vcc, 32, v13
	v_cndmask_b32_e32 v9, 0, v9, vcc
	v_cndmask_b32_e32 v8, 3, v8, vcc
	v_cmp_eq_u64_e64 s[30:31], 0, v[8:9]
	v_min_i32_e32 v9, 31, v13
	v_cmp_eq_u32_e32 vcc, 0, v13
	v_lshlrev_b32_e32 v9, 2, v9
	v_and_or_b32 v8, v8, 3, v9
	s_and_b64 vcc, vcc, s[30:31]
	v_cndmask_b32_e64 v8, v8, 0, vcc
	v_or_b32_e32 v21, v8, v12
.LBB4_1968:                             ;   in Loop: Header=BB4_772 Depth=4
	s_or_b64 exec, exec, s[72:73]
.LBB4_1969:                             ;   in Loop: Header=BB4_772 Depth=4
	s_or_b64 exec, exec, s[70:71]
                                        ; implicit-def: $vgpr8
.LBB4_1970:                             ;   in Loop: Header=BB4_772 Depth=4
	s_andn2_saveexec_b64 s[30:31], s[68:69]
; %bb.1971:                             ;   in Loop: Header=BB4_772 Depth=4
	v_or_b32_sdwa v8, v8, s39 dst_sel:DWORD dst_unused:UNUSED_PAD src0_sel:BYTE_3 src1_sel:DWORD
	v_cmp_eq_u64_e32 vcc, 0, v[42:43]
	v_cndmask_b32_e32 v21, v8, v21, vcc
; %bb.1972:                             ;   in Loop: Header=BB4_772 Depth=4
	s_or_b64 exec, exec, s[30:31]
	v_lshrrev_b16_e32 v42, 8, v14
	v_lshrrev_b16_e32 v8, 8, v10
	s_and_b64 vcc, exec, s[28:29]
	v_cmp_ne_u16_e64 s[30:31], 0, v42
	s_cbranch_vccnz .LBB4_1990
; %bb.1973:                             ;   in Loop: Header=BB4_772 Depth=4
	v_mov_b32_e32 v9, 0
	v_mov_b32_e32 v12, 0
	s_and_saveexec_b64 s[68:69], s[30:31]
	s_cbranch_execz .LBB4_1981
; %bb.1974:                             ;   in Loop: Header=BB4_772 Depth=4
	v_cmp_ne_u16_e32 vcc, s97, v42
	v_bfrev_b32_e32 v12, 1
	s_and_saveexec_b64 s[70:71], vcc
	s_cbranch_execz .LBB4_1980
; %bb.1975:                             ;   in Loop: Header=BB4_772 Depth=4
	v_and_b32_e32 v12, 0x7c, v42
	v_and_b32_e32 v13, 3, v42
	v_cmp_ne_u32_e32 vcc, s95, v12
                                        ; implicit-def: $vgpr12
	s_and_saveexec_b64 s[72:73], vcc
	s_xor_b64 s[72:73], exec, s[72:73]
	s_cbranch_execz .LBB4_1977
; %bb.1976:                             ;   in Loop: Header=BB4_772 Depth=4
	v_ffbh_u32_e32 v16, v13
	v_min_u32_e32 v32, 32, v16
	v_subrev_u32_e32 v16, 29, v32
	v_bfe_u32 v12, v42, 2, 5
	v_lshlrev_b64 v[16:17], v16, v[42:43]
	v_sub_u32_e32 v17, 30, v32
	v_cmp_eq_u32_e32 vcc, 0, v12
	v_and_b32_e32 v16, 3, v16
	v_cndmask_b32_e32 v12, v12, v17, vcc
	v_bfrev_b32_e32 v17, 28
	v_cndmask_b32_e32 v13, v13, v16, vcc
	v_lshlrev_b32_e32 v16, 16, v14
	v_lshl_add_u32 v12, v12, 23, v17
	v_and_or_b32 v12, v16, s96, v12
	v_lshl_or_b32 v12, v13, 21, v12
                                        ; implicit-def: $vgpr13
.LBB4_1977:                             ;   in Loop: Header=BB4_772 Depth=4
	s_andn2_saveexec_b64 s[72:73], s[72:73]
; %bb.1978:                             ;   in Loop: Header=BB4_772 Depth=4
	v_cmp_lt_i16_e32 vcc, -1, v14
	v_cndmask_b32_e32 v12, v6, v1, vcc
	v_cmp_eq_u32_e32 vcc, 0, v13
	v_mov_b32_e32 v13, 0x7f800001
	v_cndmask_b32_e32 v12, v13, v12, vcc
; %bb.1979:                             ;   in Loop: Header=BB4_772 Depth=4
	s_or_b64 exec, exec, s[72:73]
.LBB4_1980:                             ;   in Loop: Header=BB4_772 Depth=4
	s_or_b64 exec, exec, s[70:71]
.LBB4_1981:                             ;   in Loop: Header=BB4_772 Depth=4
	s_or_b64 exec, exec, s[68:69]
	v_cmp_ne_u16_e32 vcc, 0, v8
	s_and_saveexec_b64 s[68:69], vcc
	s_cbranch_execz .LBB4_1989
; %bb.1982:                             ;   in Loop: Header=BB4_772 Depth=4
	v_cmp_ne_u16_e32 vcc, s97, v8
	v_bfrev_b32_e32 v9, 1
	s_and_saveexec_b64 s[70:71], vcc
	s_cbranch_execz .LBB4_1988
; %bb.1983:                             ;   in Loop: Header=BB4_772 Depth=4
	v_and_b32_e32 v9, 0x7c, v8
	v_and_b32_e32 v13, 3, v8
	v_cmp_ne_u32_e32 vcc, s95, v9
                                        ; implicit-def: $vgpr9
	s_and_saveexec_b64 s[72:73], vcc
	s_xor_b64 s[72:73], exec, s[72:73]
	s_cbranch_execz .LBB4_1985
; %bb.1984:                             ;   in Loop: Header=BB4_772 Depth=4
	v_ffbh_u32_e32 v16, v13
	v_min_u32_e32 v33, 32, v16
	v_mov_b32_e32 v9, v43
	v_bfe_u32 v32, v8, 2, 5
	v_subrev_u32_e32 v16, 29, v33
	v_lshlrev_b64 v[16:17], v16, v[8:9]
	v_sub_u32_e32 v9, 30, v33
	v_cmp_eq_u32_e32 vcc, 0, v32
	v_and_b32_e32 v16, 3, v16
	v_cndmask_b32_e32 v9, v32, v9, vcc
	v_bfrev_b32_e32 v17, 28
	v_cndmask_b32_e32 v13, v13, v16, vcc
	v_lshlrev_b32_e32 v16, 16, v10
	v_lshl_add_u32 v9, v9, 23, v17
	v_and_or_b32 v9, v16, s96, v9
	v_lshl_or_b32 v9, v13, 21, v9
                                        ; implicit-def: $vgpr13
.LBB4_1985:                             ;   in Loop: Header=BB4_772 Depth=4
	s_andn2_saveexec_b64 s[72:73], s[72:73]
; %bb.1986:                             ;   in Loop: Header=BB4_772 Depth=4
	v_cmp_lt_i16_e32 vcc, -1, v10
	v_cndmask_b32_e32 v9, v6, v1, vcc
	v_cmp_eq_u32_e32 vcc, 0, v13
	v_mov_b32_e32 v13, 0x7f800001
	v_cndmask_b32_e32 v9, v13, v9, vcc
; %bb.1987:                             ;   in Loop: Header=BB4_772 Depth=4
	s_or_b64 exec, exec, s[72:73]
.LBB4_1988:                             ;   in Loop: Header=BB4_772 Depth=4
	s_or_b64 exec, exec, s[70:71]
.LBB4_1989:                             ;   in Loop: Header=BB4_772 Depth=4
	s_or_b64 exec, exec, s[68:69]
	v_max_f32_e32 v9, v9, v9
	v_max_f32_e32 v12, v12, v12
	;; [unrolled: 1-line block ×3, first 2 shown]
	s_branch .LBB4_2008
.LBB4_1990:                             ;   in Loop: Header=BB4_772 Depth=4
                                        ; implicit-def: $vgpr9
	s_cbranch_execz .LBB4_2008
; %bb.1991:                             ;   in Loop: Header=BB4_772 Depth=4
	v_mov_b32_e32 v9, 0
	v_mov_b32_e32 v12, 0
	s_and_saveexec_b64 s[68:69], s[30:31]
	s_cbranch_execz .LBB4_1999
; %bb.1992:                             ;   in Loop: Header=BB4_772 Depth=4
	v_cmp_ne_u16_e32 vcc, s97, v42
	v_bfrev_b32_e32 v12, 1
	s_and_saveexec_b64 s[30:31], vcc
	s_cbranch_execz .LBB4_1998
; %bb.1993:                             ;   in Loop: Header=BB4_772 Depth=4
	v_and_b32_e32 v12, 0x7c, v42
	v_and_b32_e32 v13, 3, v42
	v_cmp_ne_u32_e32 vcc, s95, v12
                                        ; implicit-def: $vgpr12
	s_and_saveexec_b64 s[70:71], vcc
	s_xor_b64 s[70:71], exec, s[70:71]
	s_cbranch_execz .LBB4_1995
; %bb.1994:                             ;   in Loop: Header=BB4_772 Depth=4
	v_ffbh_u32_e32 v16, v13
	v_min_u32_e32 v32, 32, v16
	v_subrev_u32_e32 v16, 29, v32
	v_bfe_u32 v12, v42, 2, 5
	v_lshlrev_b64 v[16:17], v16, v[42:43]
	v_sub_u32_e32 v17, 30, v32
	v_cmp_eq_u32_e32 vcc, 0, v12
	v_and_b32_e32 v16, 3, v16
	v_cndmask_b32_e32 v12, v12, v17, vcc
	v_bfrev_b32_e32 v17, 28
	v_cndmask_b32_e32 v13, v13, v16, vcc
	v_lshlrev_b32_e32 v16, 16, v14
	v_lshl_add_u32 v12, v12, 23, v17
	v_and_or_b32 v12, v16, s96, v12
	v_lshl_or_b32 v12, v13, 21, v12
                                        ; implicit-def: $vgpr13
.LBB4_1995:                             ;   in Loop: Header=BB4_772 Depth=4
	s_andn2_saveexec_b64 s[70:71], s[70:71]
; %bb.1996:                             ;   in Loop: Header=BB4_772 Depth=4
	v_cmp_lt_i16_e32 vcc, -1, v14
	v_cndmask_b32_e32 v12, v6, v1, vcc
	v_cmp_eq_u32_e32 vcc, 0, v13
	v_mov_b32_e32 v13, 0x7f800001
	v_cndmask_b32_e32 v12, v13, v12, vcc
; %bb.1997:                             ;   in Loop: Header=BB4_772 Depth=4
	s_or_b64 exec, exec, s[70:71]
.LBB4_1998:                             ;   in Loop: Header=BB4_772 Depth=4
	s_or_b64 exec, exec, s[30:31]
.LBB4_1999:                             ;   in Loop: Header=BB4_772 Depth=4
	s_or_b64 exec, exec, s[68:69]
	v_cmp_ne_u16_e32 vcc, 0, v8
	s_and_saveexec_b64 s[30:31], vcc
	s_cbranch_execz .LBB4_2007
; %bb.2000:                             ;   in Loop: Header=BB4_772 Depth=4
	v_cmp_ne_u16_e32 vcc, s97, v8
	v_bfrev_b32_e32 v9, 1
	s_and_saveexec_b64 s[68:69], vcc
	s_cbranch_execz .LBB4_2006
; %bb.2001:                             ;   in Loop: Header=BB4_772 Depth=4
	v_and_b32_e32 v9, 0x7c, v8
	v_and_b32_e32 v13, 3, v8
	v_cmp_ne_u32_e32 vcc, s95, v9
                                        ; implicit-def: $vgpr9
	s_and_saveexec_b64 s[70:71], vcc
	s_xor_b64 s[70:71], exec, s[70:71]
	s_cbranch_execz .LBB4_2003
; %bb.2002:                             ;   in Loop: Header=BB4_772 Depth=4
	v_ffbh_u32_e32 v17, v13
	v_min_u32_e32 v17, 32, v17
	v_mov_b32_e32 v9, v43
	v_subrev_u32_e32 v32, 29, v17
	v_bfe_u32 v16, v8, 2, 5
	v_lshlrev_b64 v[8:9], v32, v[8:9]
	v_sub_u32_e32 v9, 30, v17
	v_cmp_eq_u32_e32 vcc, 0, v16
	v_and_b32_e32 v8, 3, v8
	v_cndmask_b32_e32 v9, v16, v9, vcc
	v_bfrev_b32_e32 v16, 28
	v_cndmask_b32_e32 v8, v13, v8, vcc
	v_lshlrev_b32_e32 v13, 16, v10
	v_lshl_add_u32 v9, v9, 23, v16
	v_and_or_b32 v9, v13, s96, v9
	v_lshl_or_b32 v9, v8, 21, v9
                                        ; implicit-def: $vgpr13
.LBB4_2003:                             ;   in Loop: Header=BB4_772 Depth=4
	s_andn2_saveexec_b64 s[70:71], s[70:71]
; %bb.2004:                             ;   in Loop: Header=BB4_772 Depth=4
	v_cmp_lt_i16_e32 vcc, -1, v10
	v_cndmask_b32_e32 v8, v6, v1, vcc
	v_cmp_eq_u32_e32 vcc, 0, v13
	v_mov_b32_e32 v9, 0x7f800001
	v_cndmask_b32_e32 v9, v9, v8, vcc
; %bb.2005:                             ;   in Loop: Header=BB4_772 Depth=4
	s_or_b64 exec, exec, s[70:71]
.LBB4_2006:                             ;   in Loop: Header=BB4_772 Depth=4
	s_or_b64 exec, exec, s[68:69]
.LBB4_2007:                             ;   in Loop: Header=BB4_772 Depth=4
	s_or_b64 exec, exec, s[30:31]
	v_max_f32_e32 v8, v9, v9
	v_max_f32_e32 v9, v12, v12
	v_min_f32_e32 v9, v9, v8
.LBB4_2008:                             ;   in Loop: Header=BB4_772 Depth=4
	v_and_b32_sdwa v12, v9, s97 dst_sel:DWORD dst_unused:UNUSED_PAD src0_sel:BYTE_3 src1_sel:DWORD
	v_and_b32_e32 v16, 0x7f800000, v9
	v_mov_b32_e32 v17, v43
	v_and_b32_e32 v42, 0x7fffff, v9
	v_or_b32_e32 v55, 0x7b, v12
	v_cmp_ne_u64_e32 vcc, s[52:53], v[16:17]
	s_and_saveexec_b64 s[30:31], vcc
	s_xor_b64 s[68:69], exec, s[30:31]
	s_cbranch_execz .LBB4_2018
; %bb.2009:                             ;   in Loop: Header=BB4_772 Depth=4
	v_and_b32_e32 v16, 0x7fffffff, v9
	v_mov_b32_e32 v17, v43
	v_cmp_gt_u64_e32 vcc, s[54:55], v[16:17]
	s_and_saveexec_b64 s[70:71], vcc
	s_cbranch_execz .LBB4_2017
; %bb.2010:                             ;   in Loop: Header=BB4_772 Depth=4
	v_cmp_ne_u32_e32 vcc, 0, v9
	v_mov_b32_e32 v55, 0
	s_and_saveexec_b64 s[72:73], vcc
	s_cbranch_execz .LBB4_2016
; %bb.2011:                             ;   in Loop: Header=BB4_772 Depth=4
	v_bfe_u32 v8, v9, 23, 8
	v_cmp_eq_u32_e32 vcc, 0, v8
	v_add_u32_e32 v9, 0xffffff81, v8
	v_cmp_gt_u32_e64 s[30:31], s38, v8
	v_sub_u32_e32 v8, 0x71, v8
	v_mov_b32_e32 v16, 0xffffff82
	v_cndmask_b32_e64 v8, 0, v8, s[30:31]
	v_cndmask_b32_e32 v32, v9, v16, vcc
	v_mov_b32_e32 v9, 0x70
	v_cndmask_b32_e32 v33, v8, v9, vcc
	v_add_u32_e32 v8, 21, v33
	v_or_b32_e32 v13, 0x800000, v42
	v_lshlrev_b64 v[8:9], v8, -1
	v_cndmask_b32_e32 v42, v13, v42, vcc
	v_not_b32_e32 v9, v9
	v_not_b32_e32 v8, v8
	v_add_u32_e32 v13, 20, v33
	v_and_b32_e32 v9, 0, v9
	v_and_b32_e32 v8, v42, v8
	v_lshlrev_b64 v[16:17], v13, 1
	v_cmp_eq_u64_e32 vcc, v[8:9], v[16:17]
	v_lshrrev_b64 v[8:9], v33, v[42:43]
	v_lshrrev_b32_e32 v13, 23, v8
	v_add3_u32 v17, v33, v32, v13
	v_bfe_u32 v13, v8, 21, 1
	v_add_u32_e32 v13, -1, v13
	v_cndmask_b32_e32 v13, 0, v13, vcc
	v_add_u32_e32 v13, v13, v8
	v_and_b32_e32 v13, 0x1fffff, v13
	v_add_co_u32_e32 v8, vcc, v13, v8
	v_add_u32_e32 v16, 14, v17
	v_addc_co_u32_e32 v9, vcc, 0, v9, vcc
	v_cmp_ne_u32_e32 vcc, 0, v16
                                        ; implicit-def: $vgpr13
	s_and_saveexec_b64 s[30:31], vcc
	s_xor_b64 s[30:31], exec, s[30:31]
; %bb.2012:                             ;   in Loop: Header=BB4_772 Depth=4
	v_add_u32_e32 v13, 15, v17
	v_cmp_lt_u64_e32 vcc, s[56:57], v[8:9]
	v_cndmask_b32_e32 v13, v16, v13, vcc
	v_cndmask_b32_e64 v16, 0, 1, vcc
	v_lshrrev_b64 v[8:9], v16, v[8:9]
; %bb.2013:                             ;   in Loop: Header=BB4_772 Depth=4
	s_andn2_saveexec_b64 vcc, s[30:31]
; %bb.2014:                             ;   in Loop: Header=BB4_772 Depth=4
	v_bfe_u32 v13, v8, 23, 1
; %bb.2015:                             ;   in Loop: Header=BB4_772 Depth=4
	s_or_b64 exec, exec, vcc
	v_lshrrev_b64 v[8:9], 21, v[8:9]
	v_cmp_gt_i32_e32 vcc, 32, v13
	v_cndmask_b32_e32 v9, 0, v9, vcc
	v_cndmask_b32_e32 v8, 3, v8, vcc
	v_cmp_eq_u64_e64 s[30:31], 0, v[8:9]
	v_min_i32_e32 v9, 31, v13
	v_cmp_eq_u32_e32 vcc, 0, v13
	v_lshlrev_b32_e32 v9, 2, v9
	v_and_or_b32 v8, v8, 3, v9
	s_and_b64 vcc, vcc, s[30:31]
	v_cndmask_b32_e64 v8, v8, 0, vcc
	v_or_b32_e32 v55, v8, v12
.LBB4_2016:                             ;   in Loop: Header=BB4_772 Depth=4
	s_or_b64 exec, exec, s[72:73]
.LBB4_2017:                             ;   in Loop: Header=BB4_772 Depth=4
	s_or_b64 exec, exec, s[70:71]
                                        ; implicit-def: $vgpr9
.LBB4_2018:                             ;   in Loop: Header=BB4_772 Depth=4
	s_andn2_saveexec_b64 s[30:31], s[68:69]
; %bb.2019:                             ;   in Loop: Header=BB4_772 Depth=4
	v_or_b32_sdwa v8, v9, s39 dst_sel:DWORD dst_unused:UNUSED_PAD src0_sel:BYTE_3 src1_sel:DWORD
	v_cmp_eq_u64_e32 vcc, 0, v[42:43]
	v_cndmask_b32_e32 v55, v8, v55, vcc
; %bb.2020:                             ;   in Loop: Header=BB4_772 Depth=4
	s_or_b64 exec, exec, s[30:31]
	v_lshrrev_b32_e32 v12, 16, v14
	v_lshrrev_b32_e32 v8, 16, v10
	s_and_b64 vcc, exec, s[28:29]
	v_cmp_ne_u16_sdwa s[30:31], v12, v43 src0_sel:BYTE_0 src1_sel:DWORD
	s_cbranch_vccnz .LBB4_2038
; %bb.2021:                             ;   in Loop: Header=BB4_772 Depth=4
	v_mov_b32_e32 v13, 0
	v_mov_b32_e32 v9, 0
	s_and_saveexec_b64 s[68:69], s[30:31]
	s_cbranch_execz .LBB4_2029
; %bb.2022:                             ;   in Loop: Header=BB4_772 Depth=4
	v_cmp_ne_u16_sdwa vcc, v12, s97 src0_sel:BYTE_0 src1_sel:DWORD
	v_bfrev_b32_e32 v9, 1
	s_and_saveexec_b64 s[70:71], vcc
	s_cbranch_execz .LBB4_2028
; %bb.2023:                             ;   in Loop: Header=BB4_772 Depth=4
	v_and_b32_e32 v9, 0x7c0000, v14
	v_bfe_u32 v16, v14, 16, 2
	v_cmp_ne_u32_e32 vcc, s36, v9
                                        ; implicit-def: $vgpr9
	s_and_saveexec_b64 s[72:73], vcc
	s_xor_b64 s[72:73], exec, s[72:73]
	s_cbranch_execz .LBB4_2025
; %bb.2024:                             ;   in Loop: Header=BB4_772 Depth=4
	v_ffbh_u32_e32 v17, v16
	v_min_u32_e32 v17, 32, v17
	v_subrev_u32_e32 v32, 29, v17
	v_bfe_u32 v9, v14, 18, 5
	v_lshlrev_b64 v[36:37], v32, v[12:13]
	v_sub_u32_e32 v17, 30, v17
	v_and_b32_e32 v32, 3, v36
	v_cmp_eq_u32_e32 vcc, 0, v9
	v_cndmask_b32_e32 v9, v9, v17, vcc
	v_cndmask_b32_e32 v16, v16, v32, vcc
	v_bfrev_b32_e32 v32, 28
	v_lshlrev_b32_e32 v17, 24, v12
	v_lshl_add_u32 v9, v9, 23, v32
	v_and_or_b32 v9, v17, s96, v9
	v_lshl_or_b32 v9, v16, 21, v9
                                        ; implicit-def: $vgpr16
.LBB4_2025:                             ;   in Loop: Header=BB4_772 Depth=4
	s_andn2_saveexec_b64 s[72:73], s[72:73]
; %bb.2026:                             ;   in Loop: Header=BB4_772 Depth=4
	v_mov_b32_e32 v9, -1
	v_cmp_gt_i16_sdwa vcc, sext(v12), v9 src0_sel:BYTE_0 src1_sel:DWORD
	v_cndmask_b32_e32 v9, v6, v1, vcc
	v_cmp_eq_u32_e32 vcc, 0, v16
	v_mov_b32_e32 v16, 0x7f800001
	v_cndmask_b32_e32 v9, v16, v9, vcc
; %bb.2027:                             ;   in Loop: Header=BB4_772 Depth=4
	s_or_b64 exec, exec, s[72:73]
.LBB4_2028:                             ;   in Loop: Header=BB4_772 Depth=4
	s_or_b64 exec, exec, s[70:71]
.LBB4_2029:                             ;   in Loop: Header=BB4_772 Depth=4
	s_or_b64 exec, exec, s[68:69]
	v_cmp_ne_u16_sdwa vcc, v8, v43 src0_sel:BYTE_0 src1_sel:DWORD
	s_and_saveexec_b64 s[68:69], vcc
	s_cbranch_execz .LBB4_2037
; %bb.2030:                             ;   in Loop: Header=BB4_772 Depth=4
	v_cmp_ne_u16_sdwa vcc, v8, s97 src0_sel:BYTE_0 src1_sel:DWORD
	v_bfrev_b32_e32 v13, 1
	s_and_saveexec_b64 s[70:71], vcc
	s_cbranch_execz .LBB4_2036
; %bb.2031:                             ;   in Loop: Header=BB4_772 Depth=4
	v_and_b32_e32 v13, 0x7c0000, v10
	v_bfe_u32 v16, v10, 16, 2
	v_cmp_ne_u32_e32 vcc, s36, v13
                                        ; implicit-def: $vgpr13
	s_and_saveexec_b64 s[72:73], vcc
	s_xor_b64 s[72:73], exec, s[72:73]
	s_cbranch_execz .LBB4_2033
; %bb.2032:                             ;   in Loop: Header=BB4_772 Depth=4
	v_ffbh_u32_e32 v17, v16
	v_min_u32_e32 v17, 32, v17
	v_subrev_u32_e32 v32, 29, v17
	v_bfe_u32 v13, v10, 18, 5
	v_lshlrev_b64 v[36:37], v32, v[8:9]
	v_sub_u32_e32 v17, 30, v17
	v_and_b32_e32 v32, 3, v36
	v_cmp_eq_u32_e32 vcc, 0, v13
	v_cndmask_b32_e32 v13, v13, v17, vcc
	v_cndmask_b32_e32 v16, v16, v32, vcc
	v_bfrev_b32_e32 v32, 28
	v_lshlrev_b32_e32 v17, 24, v8
	v_lshl_add_u32 v13, v13, 23, v32
	v_and_or_b32 v13, v17, s96, v13
	v_lshl_or_b32 v13, v16, 21, v13
                                        ; implicit-def: $vgpr16
.LBB4_2033:                             ;   in Loop: Header=BB4_772 Depth=4
	s_andn2_saveexec_b64 s[72:73], s[72:73]
; %bb.2034:                             ;   in Loop: Header=BB4_772 Depth=4
	v_mov_b32_e32 v13, -1
	v_cmp_gt_i16_sdwa vcc, sext(v8), v13 src0_sel:BYTE_0 src1_sel:DWORD
	v_cndmask_b32_e32 v13, v6, v1, vcc
	v_cmp_eq_u32_e32 vcc, 0, v16
	v_mov_b32_e32 v16, 0x7f800001
	v_cndmask_b32_e32 v13, v16, v13, vcc
; %bb.2035:                             ;   in Loop: Header=BB4_772 Depth=4
	s_or_b64 exec, exec, s[72:73]
.LBB4_2036:                             ;   in Loop: Header=BB4_772 Depth=4
	s_or_b64 exec, exec, s[70:71]
.LBB4_2037:                             ;   in Loop: Header=BB4_772 Depth=4
	s_or_b64 exec, exec, s[68:69]
	v_max_f32_e32 v13, v13, v13
	v_max_f32_e32 v9, v9, v9
	;; [unrolled: 1-line block ×3, first 2 shown]
	s_branch .LBB4_2056
.LBB4_2038:                             ;   in Loop: Header=BB4_772 Depth=4
                                        ; implicit-def: $vgpr9
	s_cbranch_execz .LBB4_2056
; %bb.2039:                             ;   in Loop: Header=BB4_772 Depth=4
	v_mov_b32_e32 v13, 0
	v_mov_b32_e32 v9, 0
	s_and_saveexec_b64 s[68:69], s[30:31]
	s_cbranch_execz .LBB4_2047
; %bb.2040:                             ;   in Loop: Header=BB4_772 Depth=4
	v_cmp_ne_u16_sdwa vcc, v12, s97 src0_sel:BYTE_0 src1_sel:DWORD
	v_bfrev_b32_e32 v9, 1
	s_and_saveexec_b64 s[30:31], vcc
	s_cbranch_execz .LBB4_2046
; %bb.2041:                             ;   in Loop: Header=BB4_772 Depth=4
	v_and_b32_e32 v9, 0x7c0000, v14
	v_bfe_u32 v16, v14, 16, 2
	v_cmp_ne_u32_e32 vcc, s36, v9
                                        ; implicit-def: $vgpr9
	s_and_saveexec_b64 s[70:71], vcc
	s_xor_b64 s[70:71], exec, s[70:71]
	s_cbranch_execz .LBB4_2043
; %bb.2042:                             ;   in Loop: Header=BB4_772 Depth=4
	v_ffbh_u32_e32 v17, v16
	v_bfe_u32 v9, v14, 18, 5
	v_min_u32_e32 v17, 32, v17
	v_subrev_u32_e32 v32, 29, v17
	v_sub_u32_e32 v17, 30, v17
	v_cmp_eq_u32_e32 vcc, 0, v9
	v_lshlrev_b64 v[36:37], v32, v[12:13]
	v_cndmask_b32_e32 v9, v9, v17, vcc
	v_bfrev_b32_e32 v17, 28
	v_and_b32_e32 v32, 3, v36
	v_lshlrev_b32_e32 v12, 24, v12
	v_lshl_add_u32 v9, v9, 23, v17
	v_cndmask_b32_e32 v16, v16, v32, vcc
	v_and_or_b32 v9, v12, s96, v9
	v_lshl_or_b32 v9, v16, 21, v9
                                        ; implicit-def: $vgpr16
                                        ; implicit-def: $vgpr12
.LBB4_2043:                             ;   in Loop: Header=BB4_772 Depth=4
	s_andn2_saveexec_b64 s[70:71], s[70:71]
; %bb.2044:                             ;   in Loop: Header=BB4_772 Depth=4
	v_mov_b32_e32 v9, -1
	v_cmp_gt_i16_sdwa vcc, sext(v12), v9 src0_sel:BYTE_0 src1_sel:DWORD
	v_cndmask_b32_e32 v9, v6, v1, vcc
	v_cmp_eq_u32_e32 vcc, 0, v16
	v_mov_b32_e32 v12, 0x7f800001
	v_cndmask_b32_e32 v9, v12, v9, vcc
; %bb.2045:                             ;   in Loop: Header=BB4_772 Depth=4
	s_or_b64 exec, exec, s[70:71]
.LBB4_2046:                             ;   in Loop: Header=BB4_772 Depth=4
	s_or_b64 exec, exec, s[30:31]
.LBB4_2047:                             ;   in Loop: Header=BB4_772 Depth=4
	s_or_b64 exec, exec, s[68:69]
	v_cmp_ne_u16_sdwa vcc, v8, v43 src0_sel:BYTE_0 src1_sel:DWORD
	s_and_saveexec_b64 s[30:31], vcc
	s_cbranch_execz .LBB4_2055
; %bb.2048:                             ;   in Loop: Header=BB4_772 Depth=4
	v_cmp_ne_u16_sdwa vcc, v8, s97 src0_sel:BYTE_0 src1_sel:DWORD
	v_bfrev_b32_e32 v13, 1
	s_and_saveexec_b64 s[68:69], vcc
	s_cbranch_execz .LBB4_2054
; %bb.2049:                             ;   in Loop: Header=BB4_772 Depth=4
	v_and_b32_e32 v13, 0x7c0000, v10
	v_bfe_u32 v12, v10, 16, 2
	v_cmp_ne_u32_e32 vcc, s36, v13
                                        ; implicit-def: $vgpr13
	s_and_saveexec_b64 s[70:71], vcc
	s_xor_b64 s[70:71], exec, s[70:71]
	s_cbranch_execz .LBB4_2051
; %bb.2050:                             ;   in Loop: Header=BB4_772 Depth=4
	v_ffbh_u32_e32 v16, v12
	v_min_u32_e32 v32, 32, v16
	v_subrev_u32_e32 v16, 29, v32
	v_bfe_u32 v13, v10, 18, 5
	v_lshlrev_b64 v[16:17], v16, v[8:9]
	v_sub_u32_e32 v17, 30, v32
	v_and_b32_e32 v16, 3, v16
	v_cmp_eq_u32_e32 vcc, 0, v13
	v_cndmask_b32_e32 v13, v13, v17, vcc
	v_cndmask_b32_e32 v12, v12, v16, vcc
	v_bfrev_b32_e32 v16, 28
	v_lshlrev_b32_e32 v8, 24, v8
	v_lshl_add_u32 v13, v13, 23, v16
	v_and_or_b32 v8, v8, s96, v13
	v_lshl_or_b32 v13, v12, 21, v8
                                        ; implicit-def: $vgpr12
                                        ; implicit-def: $vgpr8
.LBB4_2051:                             ;   in Loop: Header=BB4_772 Depth=4
	s_andn2_saveexec_b64 s[70:71], s[70:71]
; %bb.2052:                             ;   in Loop: Header=BB4_772 Depth=4
	v_mov_b32_e32 v13, -1
	v_cmp_gt_i16_sdwa vcc, sext(v8), v13 src0_sel:BYTE_0 src1_sel:DWORD
	v_cndmask_b32_e32 v8, v6, v1, vcc
	v_cmp_eq_u32_e32 vcc, 0, v12
	v_mov_b32_e32 v12, 0x7f800001
	v_cndmask_b32_e32 v13, v12, v8, vcc
; %bb.2053:                             ;   in Loop: Header=BB4_772 Depth=4
	s_or_b64 exec, exec, s[70:71]
.LBB4_2054:                             ;   in Loop: Header=BB4_772 Depth=4
	s_or_b64 exec, exec, s[68:69]
.LBB4_2055:                             ;   in Loop: Header=BB4_772 Depth=4
	s_or_b64 exec, exec, s[30:31]
	v_max_f32_e32 v8, v13, v13
	v_max_f32_e32 v9, v9, v9
	v_min_f32_e32 v9, v9, v8
.LBB4_2056:                             ;   in Loop: Header=BB4_772 Depth=4
	v_and_b32_sdwa v12, v9, s97 dst_sel:DWORD dst_unused:UNUSED_PAD src0_sel:BYTE_3 src1_sel:DWORD
	v_and_b32_e32 v16, 0x7f800000, v9
	v_mov_b32_e32 v17, v43
	v_and_b32_e32 v42, 0x7fffff, v9
	v_or_b32_e32 v36, 0x7b, v12
	v_cmp_ne_u64_e32 vcc, s[52:53], v[16:17]
	s_and_saveexec_b64 s[30:31], vcc
	s_xor_b64 s[68:69], exec, s[30:31]
	s_cbranch_execz .LBB4_2066
; %bb.2057:                             ;   in Loop: Header=BB4_772 Depth=4
	v_and_b32_e32 v16, 0x7fffffff, v9
	v_mov_b32_e32 v17, v43
	v_cmp_gt_u64_e32 vcc, s[54:55], v[16:17]
	s_and_saveexec_b64 s[70:71], vcc
	s_cbranch_execz .LBB4_2065
; %bb.2058:                             ;   in Loop: Header=BB4_772 Depth=4
	v_cmp_ne_u32_e32 vcc, 0, v9
	v_mov_b32_e32 v36, 0
	s_and_saveexec_b64 s[72:73], vcc
	s_cbranch_execz .LBB4_2064
; %bb.2059:                             ;   in Loop: Header=BB4_772 Depth=4
	v_bfe_u32 v8, v9, 23, 8
	v_cmp_eq_u32_e32 vcc, 0, v8
	v_add_u32_e32 v9, 0xffffff81, v8
	v_cmp_gt_u32_e64 s[30:31], s38, v8
	v_sub_u32_e32 v8, 0x71, v8
	v_mov_b32_e32 v16, 0xffffff82
	v_cndmask_b32_e64 v8, 0, v8, s[30:31]
	v_cndmask_b32_e32 v32, v9, v16, vcc
	v_mov_b32_e32 v9, 0x70
	v_cndmask_b32_e32 v33, v8, v9, vcc
	v_add_u32_e32 v8, 21, v33
	v_or_b32_e32 v13, 0x800000, v42
	v_lshlrev_b64 v[8:9], v8, -1
	v_cndmask_b32_e32 v42, v13, v42, vcc
	v_not_b32_e32 v9, v9
	v_not_b32_e32 v8, v8
	v_add_u32_e32 v13, 20, v33
	v_and_b32_e32 v9, 0, v9
	v_and_b32_e32 v8, v42, v8
	v_lshlrev_b64 v[16:17], v13, 1
	v_cmp_eq_u64_e32 vcc, v[8:9], v[16:17]
	v_lshrrev_b64 v[8:9], v33, v[42:43]
	v_lshrrev_b32_e32 v13, 23, v8
	v_add3_u32 v17, v33, v32, v13
	v_bfe_u32 v13, v8, 21, 1
	v_add_u32_e32 v13, -1, v13
	v_cndmask_b32_e32 v13, 0, v13, vcc
	v_add_u32_e32 v13, v13, v8
	v_and_b32_e32 v13, 0x1fffff, v13
	v_add_co_u32_e32 v8, vcc, v13, v8
	v_add_u32_e32 v16, 14, v17
	v_addc_co_u32_e32 v9, vcc, 0, v9, vcc
	v_cmp_ne_u32_e32 vcc, 0, v16
                                        ; implicit-def: $vgpr13
	s_and_saveexec_b64 s[30:31], vcc
	s_xor_b64 s[30:31], exec, s[30:31]
; %bb.2060:                             ;   in Loop: Header=BB4_772 Depth=4
	v_add_u32_e32 v13, 15, v17
	v_cmp_lt_u64_e32 vcc, s[56:57], v[8:9]
	v_cndmask_b32_e32 v13, v16, v13, vcc
	v_cndmask_b32_e64 v16, 0, 1, vcc
	v_lshrrev_b64 v[8:9], v16, v[8:9]
; %bb.2061:                             ;   in Loop: Header=BB4_772 Depth=4
	s_andn2_saveexec_b64 vcc, s[30:31]
; %bb.2062:                             ;   in Loop: Header=BB4_772 Depth=4
	v_bfe_u32 v13, v8, 23, 1
; %bb.2063:                             ;   in Loop: Header=BB4_772 Depth=4
	s_or_b64 exec, exec, vcc
	v_lshrrev_b64 v[8:9], 21, v[8:9]
	v_cmp_gt_i32_e32 vcc, 32, v13
	v_cndmask_b32_e32 v9, 0, v9, vcc
	v_cndmask_b32_e32 v8, 3, v8, vcc
	v_cmp_eq_u64_e64 s[30:31], 0, v[8:9]
	v_min_i32_e32 v9, 31, v13
	v_cmp_eq_u32_e32 vcc, 0, v13
	v_lshlrev_b32_e32 v9, 2, v9
	v_and_or_b32 v8, v8, 3, v9
	s_and_b64 vcc, vcc, s[30:31]
	v_cndmask_b32_e64 v8, v8, 0, vcc
	v_or_b32_e32 v36, v8, v12
.LBB4_2064:                             ;   in Loop: Header=BB4_772 Depth=4
	s_or_b64 exec, exec, s[72:73]
.LBB4_2065:                             ;   in Loop: Header=BB4_772 Depth=4
	s_or_b64 exec, exec, s[70:71]
                                        ; implicit-def: $vgpr9
.LBB4_2066:                             ;   in Loop: Header=BB4_772 Depth=4
	s_andn2_saveexec_b64 s[30:31], s[68:69]
; %bb.2067:                             ;   in Loop: Header=BB4_772 Depth=4
	v_or_b32_sdwa v8, v9, s39 dst_sel:DWORD dst_unused:UNUSED_PAD src0_sel:BYTE_3 src1_sel:DWORD
	v_cmp_eq_u64_e32 vcc, 0, v[42:43]
	v_cndmask_b32_e32 v36, v8, v36, vcc
; %bb.2068:                             ;   in Loop: Header=BB4_772 Depth=4
	s_or_b64 exec, exec, s[30:31]
	v_lshrrev_b32_e32 v12, 24, v14
	v_lshrrev_b32_e32 v8, 24, v10
	s_and_b64 vcc, exec, s[28:29]
	v_cmp_lt_u32_e64 s[30:31], s43, v14
	s_cbranch_vccnz .LBB4_2086
; %bb.2069:                             ;   in Loop: Header=BB4_772 Depth=4
	v_mov_b32_e32 v13, 0
	v_mov_b32_e32 v9, 0
	s_and_saveexec_b64 s[68:69], s[30:31]
	s_cbranch_execz .LBB4_2077
; %bb.2070:                             ;   in Loop: Header=BB4_772 Depth=4
	v_cmp_ne_u32_e32 vcc, s97, v12
	v_bfrev_b32_e32 v9, 1
	s_and_saveexec_b64 s[70:71], vcc
	s_cbranch_execz .LBB4_2076
; %bb.2071:                             ;   in Loop: Header=BB4_772 Depth=4
	v_and_b32_e32 v9, 0x7c000000, v14
	v_bfe_u32 v16, v14, 24, 2
	v_cmp_ne_u32_e32 vcc, s37, v9
                                        ; implicit-def: $vgpr9
	s_and_saveexec_b64 s[72:73], vcc
	s_xor_b64 s[72:73], exec, s[72:73]
	s_cbranch_execz .LBB4_2073
; %bb.2072:                             ;   in Loop: Header=BB4_772 Depth=4
	v_ffbh_u32_e32 v17, v16
	v_bfe_u32 v9, v14, 26, 5
	v_min_u32_e32 v17, 32, v17
	v_subrev_u32_e32 v32, 29, v17
	v_sub_u32_e32 v17, 30, v17
	v_cmp_eq_u32_e32 vcc, 0, v9
	v_lshlrev_b64 v[50:51], v32, v[12:13]
	v_cndmask_b32_e32 v9, v9, v17, vcc
	v_bfrev_b32_e32 v17, 28
	v_and_b32_e32 v32, 3, v50
	v_lshl_add_u32 v9, v9, 23, v17
	v_cndmask_b32_e32 v16, v16, v32, vcc
	v_and_or_b32 v9, v14, s96, v9
	v_lshl_or_b32 v9, v16, 21, v9
                                        ; implicit-def: $vgpr16
.LBB4_2073:                             ;   in Loop: Header=BB4_772 Depth=4
	s_andn2_saveexec_b64 s[72:73], s[72:73]
; %bb.2074:                             ;   in Loop: Header=BB4_772 Depth=4
	v_cmp_lt_i32_e32 vcc, -1, v14
	v_cndmask_b32_e32 v9, v6, v1, vcc
	v_cmp_eq_u32_e32 vcc, 0, v16
	v_mov_b32_e32 v16, 0x7f800001
	v_cndmask_b32_e32 v9, v16, v9, vcc
; %bb.2075:                             ;   in Loop: Header=BB4_772 Depth=4
	s_or_b64 exec, exec, s[72:73]
.LBB4_2076:                             ;   in Loop: Header=BB4_772 Depth=4
	s_or_b64 exec, exec, s[70:71]
.LBB4_2077:                             ;   in Loop: Header=BB4_772 Depth=4
	s_or_b64 exec, exec, s[68:69]
	v_cmp_lt_u32_e32 vcc, s43, v10
	s_and_saveexec_b64 s[68:69], vcc
	s_cbranch_execz .LBB4_2085
; %bb.2078:                             ;   in Loop: Header=BB4_772 Depth=4
	v_cmp_ne_u32_e32 vcc, s97, v8
	v_bfrev_b32_e32 v13, 1
	s_and_saveexec_b64 s[70:71], vcc
	s_cbranch_execz .LBB4_2084
; %bb.2079:                             ;   in Loop: Header=BB4_772 Depth=4
	v_and_b32_e32 v13, 0x7c000000, v10
	v_bfe_u32 v16, v10, 24, 2
	v_cmp_ne_u32_e32 vcc, s37, v13
                                        ; implicit-def: $vgpr13
	s_and_saveexec_b64 s[72:73], vcc
	s_xor_b64 s[72:73], exec, s[72:73]
	s_cbranch_execz .LBB4_2081
; %bb.2080:                             ;   in Loop: Header=BB4_772 Depth=4
	v_ffbh_u32_e32 v17, v16
	v_bfe_u32 v13, v10, 26, 5
	v_min_u32_e32 v17, 32, v17
	v_subrev_u32_e32 v32, 29, v17
	v_sub_u32_e32 v17, 30, v17
	v_cmp_eq_u32_e32 vcc, 0, v13
	v_lshlrev_b64 v[50:51], v32, v[8:9]
	v_cndmask_b32_e32 v13, v13, v17, vcc
	v_bfrev_b32_e32 v17, 28
	v_and_b32_e32 v32, 3, v50
	v_lshl_add_u32 v13, v13, 23, v17
	v_cndmask_b32_e32 v16, v16, v32, vcc
	v_and_or_b32 v13, v10, s96, v13
	v_lshl_or_b32 v13, v16, 21, v13
                                        ; implicit-def: $vgpr16
.LBB4_2081:                             ;   in Loop: Header=BB4_772 Depth=4
	s_andn2_saveexec_b64 s[72:73], s[72:73]
; %bb.2082:                             ;   in Loop: Header=BB4_772 Depth=4
	v_cmp_lt_i32_e32 vcc, -1, v10
	v_cndmask_b32_e32 v13, v6, v1, vcc
	v_cmp_eq_u32_e32 vcc, 0, v16
	v_mov_b32_e32 v16, 0x7f800001
	v_cndmask_b32_e32 v13, v16, v13, vcc
; %bb.2083:                             ;   in Loop: Header=BB4_772 Depth=4
	s_or_b64 exec, exec, s[72:73]
.LBB4_2084:                             ;   in Loop: Header=BB4_772 Depth=4
	s_or_b64 exec, exec, s[70:71]
.LBB4_2085:                             ;   in Loop: Header=BB4_772 Depth=4
	s_or_b64 exec, exec, s[68:69]
	v_max_f32_e32 v13, v13, v13
	v_max_f32_e32 v9, v9, v9
	;; [unrolled: 1-line block ×3, first 2 shown]
	s_branch .LBB4_2104
.LBB4_2086:                             ;   in Loop: Header=BB4_772 Depth=4
                                        ; implicit-def: $vgpr9
	s_cbranch_execz .LBB4_2104
; %bb.2087:                             ;   in Loop: Header=BB4_772 Depth=4
	v_mov_b32_e32 v13, 0
	v_mov_b32_e32 v9, 0
	s_and_saveexec_b64 s[68:69], s[30:31]
	s_cbranch_execz .LBB4_2095
; %bb.2088:                             ;   in Loop: Header=BB4_772 Depth=4
	v_cmp_ne_u32_e32 vcc, s97, v12
	v_bfrev_b32_e32 v9, 1
	s_and_saveexec_b64 s[30:31], vcc
	s_cbranch_execz .LBB4_2094
; %bb.2089:                             ;   in Loop: Header=BB4_772 Depth=4
	v_and_b32_e32 v9, 0x7c000000, v14
	v_bfe_u32 v16, v14, 24, 2
	v_cmp_ne_u32_e32 vcc, s37, v9
                                        ; implicit-def: $vgpr9
	s_and_saveexec_b64 s[70:71], vcc
	s_xor_b64 s[70:71], exec, s[70:71]
	s_cbranch_execz .LBB4_2091
; %bb.2090:                             ;   in Loop: Header=BB4_772 Depth=4
	v_ffbh_u32_e32 v17, v16
	v_min_u32_e32 v17, 32, v17
	v_subrev_u32_e32 v32, 29, v17
	v_bfe_u32 v9, v14, 26, 5
	v_lshlrev_b64 v[50:51], v32, v[12:13]
	v_sub_u32_e32 v12, 30, v17
	v_and_b32_e32 v17, 3, v50
	v_cmp_eq_u32_e32 vcc, 0, v9
	v_cndmask_b32_e32 v9, v9, v12, vcc
	v_cndmask_b32_e32 v12, v16, v17, vcc
	v_bfrev_b32_e32 v16, 28
	v_lshl_add_u32 v9, v9, 23, v16
	v_and_or_b32 v9, v14, s96, v9
	v_lshl_or_b32 v9, v12, 21, v9
                                        ; implicit-def: $vgpr16
.LBB4_2091:                             ;   in Loop: Header=BB4_772 Depth=4
	s_andn2_saveexec_b64 s[70:71], s[70:71]
; %bb.2092:                             ;   in Loop: Header=BB4_772 Depth=4
	v_cmp_lt_i32_e32 vcc, -1, v14
	v_cndmask_b32_e32 v9, v6, v1, vcc
	v_cmp_eq_u32_e32 vcc, 0, v16
	v_mov_b32_e32 v12, 0x7f800001
	v_cndmask_b32_e32 v9, v12, v9, vcc
; %bb.2093:                             ;   in Loop: Header=BB4_772 Depth=4
	s_or_b64 exec, exec, s[70:71]
.LBB4_2094:                             ;   in Loop: Header=BB4_772 Depth=4
	s_or_b64 exec, exec, s[30:31]
.LBB4_2095:                             ;   in Loop: Header=BB4_772 Depth=4
	s_or_b64 exec, exec, s[68:69]
	v_cmp_lt_u32_e32 vcc, s43, v10
	s_and_saveexec_b64 s[30:31], vcc
	s_cbranch_execz .LBB4_2103
; %bb.2096:                             ;   in Loop: Header=BB4_772 Depth=4
	v_cmp_ne_u32_e32 vcc, s97, v8
	v_bfrev_b32_e32 v13, 1
	s_and_saveexec_b64 s[68:69], vcc
	s_cbranch_execz .LBB4_2102
; %bb.2097:                             ;   in Loop: Header=BB4_772 Depth=4
	v_and_b32_e32 v13, 0x7c000000, v10
	v_bfe_u32 v12, v10, 24, 2
	v_cmp_ne_u32_e32 vcc, s37, v13
                                        ; implicit-def: $vgpr13
	s_and_saveexec_b64 s[70:71], vcc
	s_xor_b64 s[70:71], exec, s[70:71]
	s_cbranch_execz .LBB4_2099
; %bb.2098:                             ;   in Loop: Header=BB4_772 Depth=4
	v_ffbh_u32_e32 v16, v12
	v_min_u32_e32 v32, 32, v16
	v_bfe_u32 v13, v10, 26, 5
	v_subrev_u32_e32 v16, 29, v32
	v_lshlrev_b64 v[16:17], v16, v[8:9]
	v_sub_u32_e32 v8, 30, v32
	v_cmp_eq_u32_e32 vcc, 0, v13
	v_cndmask_b32_e32 v8, v13, v8, vcc
	v_bfrev_b32_e32 v13, 28
	v_and_b32_e32 v16, 3, v16
	v_lshl_add_u32 v8, v8, 23, v13
	v_cndmask_b32_e32 v12, v12, v16, vcc
	v_and_or_b32 v8, v10, s96, v8
	v_lshl_or_b32 v13, v12, 21, v8
                                        ; implicit-def: $vgpr12
.LBB4_2099:                             ;   in Loop: Header=BB4_772 Depth=4
	s_andn2_saveexec_b64 s[70:71], s[70:71]
; %bb.2100:                             ;   in Loop: Header=BB4_772 Depth=4
	v_cmp_lt_i32_e32 vcc, -1, v10
	v_cndmask_b32_e32 v8, v6, v1, vcc
	v_cmp_eq_u32_e32 vcc, 0, v12
	v_mov_b32_e32 v12, 0x7f800001
	v_cndmask_b32_e32 v13, v12, v8, vcc
; %bb.2101:                             ;   in Loop: Header=BB4_772 Depth=4
	s_or_b64 exec, exec, s[70:71]
.LBB4_2102:                             ;   in Loop: Header=BB4_772 Depth=4
	s_or_b64 exec, exec, s[68:69]
.LBB4_2103:                             ;   in Loop: Header=BB4_772 Depth=4
	s_or_b64 exec, exec, s[30:31]
	v_max_f32_e32 v8, v13, v13
	v_max_f32_e32 v9, v9, v9
	v_min_f32_e32 v9, v9, v8
.LBB4_2104:                             ;   in Loop: Header=BB4_772 Depth=4
	v_and_b32_sdwa v12, v9, s97 dst_sel:DWORD dst_unused:UNUSED_PAD src0_sel:BYTE_3 src1_sel:DWORD
	v_and_b32_e32 v16, 0x7f800000, v9
	v_mov_b32_e32 v17, v43
	v_and_b32_e32 v42, 0x7fffff, v9
	v_or_b32_e32 v37, 0x7b, v12
	v_cmp_ne_u64_e32 vcc, s[52:53], v[16:17]
	s_and_saveexec_b64 s[30:31], vcc
	s_xor_b64 s[68:69], exec, s[30:31]
	s_cbranch_execz .LBB4_2114
; %bb.2105:                             ;   in Loop: Header=BB4_772 Depth=4
	v_and_b32_e32 v16, 0x7fffffff, v9
	v_mov_b32_e32 v17, v43
	v_cmp_gt_u64_e32 vcc, s[54:55], v[16:17]
	s_and_saveexec_b64 s[70:71], vcc
	s_cbranch_execz .LBB4_2113
; %bb.2106:                             ;   in Loop: Header=BB4_772 Depth=4
	v_cmp_ne_u32_e32 vcc, 0, v9
	v_mov_b32_e32 v37, 0
	s_and_saveexec_b64 s[72:73], vcc
	s_cbranch_execz .LBB4_2112
; %bb.2107:                             ;   in Loop: Header=BB4_772 Depth=4
	v_bfe_u32 v8, v9, 23, 8
	v_cmp_eq_u32_e32 vcc, 0, v8
	v_add_u32_e32 v9, 0xffffff81, v8
	v_cmp_gt_u32_e64 s[30:31], s38, v8
	v_sub_u32_e32 v8, 0x71, v8
	v_mov_b32_e32 v16, 0xffffff82
	v_cndmask_b32_e64 v8, 0, v8, s[30:31]
	v_cndmask_b32_e32 v32, v9, v16, vcc
	v_mov_b32_e32 v9, 0x70
	v_cndmask_b32_e32 v33, v8, v9, vcc
	v_add_u32_e32 v8, 21, v33
	v_or_b32_e32 v13, 0x800000, v42
	v_lshlrev_b64 v[8:9], v8, -1
	v_cndmask_b32_e32 v42, v13, v42, vcc
	v_not_b32_e32 v9, v9
	v_not_b32_e32 v8, v8
	v_add_u32_e32 v13, 20, v33
	v_and_b32_e32 v9, 0, v9
	v_and_b32_e32 v8, v42, v8
	v_lshlrev_b64 v[16:17], v13, 1
	v_cmp_eq_u64_e32 vcc, v[8:9], v[16:17]
	v_lshrrev_b64 v[8:9], v33, v[42:43]
	v_lshrrev_b32_e32 v13, 23, v8
	v_add3_u32 v17, v33, v32, v13
	v_bfe_u32 v13, v8, 21, 1
	v_add_u32_e32 v13, -1, v13
	v_cndmask_b32_e32 v13, 0, v13, vcc
	v_add_u32_e32 v13, v13, v8
	v_and_b32_e32 v13, 0x1fffff, v13
	v_add_co_u32_e32 v8, vcc, v13, v8
	v_add_u32_e32 v16, 14, v17
	v_addc_co_u32_e32 v9, vcc, 0, v9, vcc
	v_cmp_ne_u32_e32 vcc, 0, v16
                                        ; implicit-def: $vgpr13
	s_and_saveexec_b64 s[30:31], vcc
	s_xor_b64 s[30:31], exec, s[30:31]
; %bb.2108:                             ;   in Loop: Header=BB4_772 Depth=4
	v_add_u32_e32 v13, 15, v17
	v_cmp_lt_u64_e32 vcc, s[56:57], v[8:9]
	v_cndmask_b32_e32 v13, v16, v13, vcc
	v_cndmask_b32_e64 v16, 0, 1, vcc
	v_lshrrev_b64 v[8:9], v16, v[8:9]
; %bb.2109:                             ;   in Loop: Header=BB4_772 Depth=4
	s_andn2_saveexec_b64 vcc, s[30:31]
; %bb.2110:                             ;   in Loop: Header=BB4_772 Depth=4
	v_bfe_u32 v13, v8, 23, 1
; %bb.2111:                             ;   in Loop: Header=BB4_772 Depth=4
	s_or_b64 exec, exec, vcc
	v_lshrrev_b64 v[8:9], 21, v[8:9]
	v_cmp_gt_i32_e32 vcc, 32, v13
	v_cndmask_b32_e32 v9, 0, v9, vcc
	v_cndmask_b32_e32 v8, 3, v8, vcc
	v_cmp_eq_u64_e64 s[30:31], 0, v[8:9]
	v_min_i32_e32 v9, 31, v13
	v_cmp_eq_u32_e32 vcc, 0, v13
	v_lshlrev_b32_e32 v9, 2, v9
	v_and_or_b32 v8, v8, 3, v9
	s_and_b64 vcc, vcc, s[30:31]
	v_cndmask_b32_e64 v8, v8, 0, vcc
	v_or_b32_e32 v37, v8, v12
.LBB4_2112:                             ;   in Loop: Header=BB4_772 Depth=4
	s_or_b64 exec, exec, s[72:73]
.LBB4_2113:                             ;   in Loop: Header=BB4_772 Depth=4
	s_or_b64 exec, exec, s[70:71]
                                        ; implicit-def: $vgpr9
.LBB4_2114:                             ;   in Loop: Header=BB4_772 Depth=4
	s_andn2_saveexec_b64 s[30:31], s[68:69]
; %bb.2115:                             ;   in Loop: Header=BB4_772 Depth=4
	v_or_b32_sdwa v8, v9, s39 dst_sel:DWORD dst_unused:UNUSED_PAD src0_sel:BYTE_3 src1_sel:DWORD
	v_cmp_eq_u64_e32 vcc, 0, v[42:43]
	v_cndmask_b32_e32 v37, v8, v37, vcc
; %bb.2116:                             ;   in Loop: Header=BB4_772 Depth=4
	s_or_b64 exec, exec, s[30:31]
	v_mov_b32_e32 v42, v15
	v_mov_b32_e32 v8, v11
	;; [unrolled: 1-line block ×3, first 2 shown]
	s_and_b64 vcc, exec, s[28:29]
	v_cmp_ne_u16_sdwa s[30:31], v15, v43 src0_sel:BYTE_0 src1_sel:DWORD
	s_cbranch_vccnz .LBB4_2134
; %bb.2117:                             ;   in Loop: Header=BB4_772 Depth=4
	v_mov_b32_e32 v13, 0
	v_mov_b32_e32 v12, 0
	s_and_saveexec_b64 s[68:69], s[30:31]
	s_cbranch_execz .LBB4_2125
; %bb.2118:                             ;   in Loop: Header=BB4_772 Depth=4
	v_cmp_ne_u16_sdwa vcc, v15, s97 src0_sel:BYTE_0 src1_sel:DWORD
	v_bfrev_b32_e32 v12, 1
	s_and_saveexec_b64 s[70:71], vcc
	s_cbranch_execz .LBB4_2124
; %bb.2119:                             ;   in Loop: Header=BB4_772 Depth=4
	v_and_b32_e32 v12, 0x7c, v15
	v_and_b32_e32 v16, 3, v15
	v_cmp_ne_u32_e32 vcc, s95, v12
                                        ; implicit-def: $vgpr12
	s_and_saveexec_b64 s[72:73], vcc
	s_xor_b64 s[72:73], exec, s[72:73]
	s_cbranch_execz .LBB4_2121
; %bb.2120:                             ;   in Loop: Header=BB4_772 Depth=4
	v_ffbh_u32_e32 v17, v16
	v_min_u32_e32 v17, 32, v17
	v_subrev_u32_e32 v32, 29, v17
	v_bfe_u32 v12, v15, 2, 5
	v_lshlrev_b64 v[50:51], v32, v[42:43]
	v_sub_u32_e32 v17, 30, v17
	v_and_b32_e32 v32, 3, v50
	v_cmp_eq_u32_e32 vcc, 0, v12
	v_cndmask_b32_e32 v12, v12, v17, vcc
	v_cndmask_b32_e32 v16, v16, v32, vcc
	v_bfrev_b32_e32 v32, 28
	v_lshlrev_b32_e32 v17, 24, v15
	v_lshl_add_u32 v12, v12, 23, v32
	v_and_or_b32 v12, v17, s96, v12
	v_lshl_or_b32 v12, v16, 21, v12
                                        ; implicit-def: $vgpr16
.LBB4_2121:                             ;   in Loop: Header=BB4_772 Depth=4
	s_andn2_saveexec_b64 s[72:73], s[72:73]
; %bb.2122:                             ;   in Loop: Header=BB4_772 Depth=4
	v_mov_b32_e32 v12, -1
	v_cmp_gt_i16_sdwa vcc, sext(v15), v12 src0_sel:BYTE_0 src1_sel:DWORD
	v_cndmask_b32_e32 v12, v6, v1, vcc
	v_cmp_eq_u32_e32 vcc, 0, v16
	v_mov_b32_e32 v16, 0x7f800001
	v_cndmask_b32_e32 v12, v16, v12, vcc
; %bb.2123:                             ;   in Loop: Header=BB4_772 Depth=4
	s_or_b64 exec, exec, s[72:73]
.LBB4_2124:                             ;   in Loop: Header=BB4_772 Depth=4
	s_or_b64 exec, exec, s[70:71]
.LBB4_2125:                             ;   in Loop: Header=BB4_772 Depth=4
	s_or_b64 exec, exec, s[68:69]
	v_cmp_ne_u16_sdwa vcc, v11, v43 src0_sel:BYTE_0 src1_sel:DWORD
	s_and_saveexec_b64 s[68:69], vcc
	s_cbranch_execz .LBB4_2133
; %bb.2126:                             ;   in Loop: Header=BB4_772 Depth=4
	v_cmp_ne_u16_sdwa vcc, v11, s97 src0_sel:BYTE_0 src1_sel:DWORD
	v_bfrev_b32_e32 v13, 1
	s_and_saveexec_b64 s[70:71], vcc
	s_cbranch_execz .LBB4_2132
; %bb.2127:                             ;   in Loop: Header=BB4_772 Depth=4
	v_and_b32_e32 v13, 0x7c, v11
	v_and_b32_e32 v16, 3, v11
	v_cmp_ne_u32_e32 vcc, s95, v13
                                        ; implicit-def: $vgpr13
	s_and_saveexec_b64 s[72:73], vcc
	s_xor_b64 s[72:73], exec, s[72:73]
	s_cbranch_execz .LBB4_2129
; %bb.2128:                             ;   in Loop: Header=BB4_772 Depth=4
	v_ffbh_u32_e32 v17, v16
	v_min_u32_e32 v17, 32, v17
	v_subrev_u32_e32 v32, 29, v17
	v_bfe_u32 v13, v11, 2, 5
	v_lshlrev_b64 v[50:51], v32, v[8:9]
	v_sub_u32_e32 v17, 30, v17
	v_and_b32_e32 v32, 3, v50
	v_cmp_eq_u32_e32 vcc, 0, v13
	v_cndmask_b32_e32 v13, v13, v17, vcc
	v_cndmask_b32_e32 v16, v16, v32, vcc
	v_bfrev_b32_e32 v32, 28
	v_lshlrev_b32_e32 v17, 24, v11
	v_lshl_add_u32 v13, v13, 23, v32
	v_and_or_b32 v13, v17, s96, v13
	v_lshl_or_b32 v13, v16, 21, v13
                                        ; implicit-def: $vgpr16
.LBB4_2129:                             ;   in Loop: Header=BB4_772 Depth=4
	s_andn2_saveexec_b64 s[72:73], s[72:73]
; %bb.2130:                             ;   in Loop: Header=BB4_772 Depth=4
	v_mov_b32_e32 v13, -1
	v_cmp_gt_i16_sdwa vcc, sext(v11), v13 src0_sel:BYTE_0 src1_sel:DWORD
	v_cndmask_b32_e32 v13, v6, v1, vcc
	v_cmp_eq_u32_e32 vcc, 0, v16
	v_mov_b32_e32 v16, 0x7f800001
	v_cndmask_b32_e32 v13, v16, v13, vcc
; %bb.2131:                             ;   in Loop: Header=BB4_772 Depth=4
	s_or_b64 exec, exec, s[72:73]
.LBB4_2132:                             ;   in Loop: Header=BB4_772 Depth=4
	s_or_b64 exec, exec, s[70:71]
.LBB4_2133:                             ;   in Loop: Header=BB4_772 Depth=4
	s_or_b64 exec, exec, s[68:69]
	v_max_f32_e32 v13, v13, v13
	v_max_f32_e32 v12, v12, v12
	v_max_f32_e32 v16, v12, v13
	s_branch .LBB4_2152
.LBB4_2134:                             ;   in Loop: Header=BB4_772 Depth=4
                                        ; implicit-def: $vgpr16
	s_cbranch_execz .LBB4_2152
; %bb.2135:                             ;   in Loop: Header=BB4_772 Depth=4
	v_mov_b32_e32 v13, 0
	v_mov_b32_e32 v12, 0
	s_and_saveexec_b64 s[68:69], s[30:31]
	s_cbranch_execz .LBB4_2143
; %bb.2136:                             ;   in Loop: Header=BB4_772 Depth=4
	v_cmp_ne_u16_sdwa vcc, v15, s97 src0_sel:BYTE_0 src1_sel:DWORD
	v_bfrev_b32_e32 v12, 1
	s_and_saveexec_b64 s[30:31], vcc
	s_cbranch_execz .LBB4_2142
; %bb.2137:                             ;   in Loop: Header=BB4_772 Depth=4
	v_and_b32_e32 v12, 0x7c, v15
	v_and_b32_e32 v16, 3, v15
	v_cmp_ne_u32_e32 vcc, s95, v12
                                        ; implicit-def: $vgpr12
	s_and_saveexec_b64 s[70:71], vcc
	s_xor_b64 s[70:71], exec, s[70:71]
	s_cbranch_execz .LBB4_2139
; %bb.2138:                             ;   in Loop: Header=BB4_772 Depth=4
	v_ffbh_u32_e32 v17, v16
	v_min_u32_e32 v17, 32, v17
	v_subrev_u32_e32 v32, 29, v17
	v_bfe_u32 v12, v15, 2, 5
	v_lshlrev_b64 v[50:51], v32, v[42:43]
	v_sub_u32_e32 v17, 30, v17
	v_and_b32_e32 v32, 3, v50
	v_cmp_eq_u32_e32 vcc, 0, v12
	v_cndmask_b32_e32 v12, v12, v17, vcc
	v_cndmask_b32_e32 v16, v16, v32, vcc
	v_bfrev_b32_e32 v32, 28
	v_lshlrev_b32_e32 v17, 24, v15
	v_lshl_add_u32 v12, v12, 23, v32
	v_and_or_b32 v12, v17, s96, v12
	v_lshl_or_b32 v12, v16, 21, v12
                                        ; implicit-def: $vgpr16
.LBB4_2139:                             ;   in Loop: Header=BB4_772 Depth=4
	s_andn2_saveexec_b64 s[70:71], s[70:71]
; %bb.2140:                             ;   in Loop: Header=BB4_772 Depth=4
	v_mov_b32_e32 v12, -1
	v_cmp_gt_i16_sdwa vcc, sext(v15), v12 src0_sel:BYTE_0 src1_sel:DWORD
	v_cndmask_b32_e32 v12, v6, v1, vcc
	v_cmp_eq_u32_e32 vcc, 0, v16
	v_mov_b32_e32 v16, 0x7f800001
	v_cndmask_b32_e32 v12, v16, v12, vcc
; %bb.2141:                             ;   in Loop: Header=BB4_772 Depth=4
	s_or_b64 exec, exec, s[70:71]
.LBB4_2142:                             ;   in Loop: Header=BB4_772 Depth=4
	s_or_b64 exec, exec, s[30:31]
.LBB4_2143:                             ;   in Loop: Header=BB4_772 Depth=4
	s_or_b64 exec, exec, s[68:69]
	v_cmp_ne_u16_sdwa vcc, v11, v43 src0_sel:BYTE_0 src1_sel:DWORD
	s_and_saveexec_b64 s[30:31], vcc
	s_cbranch_execz .LBB4_2151
; %bb.2144:                             ;   in Loop: Header=BB4_772 Depth=4
	v_cmp_ne_u16_sdwa vcc, v11, s97 src0_sel:BYTE_0 src1_sel:DWORD
	v_bfrev_b32_e32 v13, 1
	s_and_saveexec_b64 s[68:69], vcc
	s_cbranch_execz .LBB4_2150
; %bb.2145:                             ;   in Loop: Header=BB4_772 Depth=4
	v_and_b32_e32 v13, 0x7c, v11
	v_and_b32_e32 v16, 3, v11
	v_cmp_ne_u32_e32 vcc, s95, v13
                                        ; implicit-def: $vgpr13
	s_and_saveexec_b64 s[70:71], vcc
	s_xor_b64 s[70:71], exec, s[70:71]
	s_cbranch_execz .LBB4_2147
; %bb.2146:                             ;   in Loop: Header=BB4_772 Depth=4
	v_ffbh_u32_e32 v17, v16
	v_min_u32_e32 v17, 32, v17
	v_subrev_u32_e32 v32, 29, v17
	v_bfe_u32 v13, v11, 2, 5
	v_lshlrev_b64 v[50:51], v32, v[8:9]
	v_sub_u32_e32 v9, 30, v17
	v_and_b32_e32 v17, 3, v50
	v_cmp_eq_u32_e32 vcc, 0, v13
	v_cndmask_b32_e32 v9, v13, v9, vcc
	v_cndmask_b32_e32 v13, v16, v17, vcc
	v_bfrev_b32_e32 v17, 28
	v_lshlrev_b32_e32 v16, 24, v11
	v_lshl_add_u32 v9, v9, 23, v17
	v_and_or_b32 v9, v16, s96, v9
	v_lshl_or_b32 v13, v13, 21, v9
                                        ; implicit-def: $vgpr16
.LBB4_2147:                             ;   in Loop: Header=BB4_772 Depth=4
	s_andn2_saveexec_b64 s[70:71], s[70:71]
; %bb.2148:                             ;   in Loop: Header=BB4_772 Depth=4
	v_mov_b32_e32 v9, -1
	v_cmp_gt_i16_sdwa vcc, sext(v11), v9 src0_sel:BYTE_0 src1_sel:DWORD
	v_cndmask_b32_e32 v9, v6, v1, vcc
	v_cmp_eq_u32_e32 vcc, 0, v16
	v_mov_b32_e32 v13, 0x7f800001
	v_cndmask_b32_e32 v13, v13, v9, vcc
; %bb.2149:                             ;   in Loop: Header=BB4_772 Depth=4
	s_or_b64 exec, exec, s[70:71]
.LBB4_2150:                             ;   in Loop: Header=BB4_772 Depth=4
	s_or_b64 exec, exec, s[68:69]
.LBB4_2151:                             ;   in Loop: Header=BB4_772 Depth=4
	s_or_b64 exec, exec, s[30:31]
	v_max_f32_e32 v9, v13, v13
	v_max_f32_e32 v12, v12, v12
	v_min_f32_e32 v16, v12, v9
.LBB4_2152:                             ;   in Loop: Header=BB4_772 Depth=4
	v_and_b32_sdwa v9, v16, s97 dst_sel:DWORD dst_unused:UNUSED_PAD src0_sel:BYTE_3 src1_sel:DWORD
	v_and_b32_e32 v50, 0x7f800000, v16
	v_mov_b32_e32 v51, v43
	v_and_b32_e32 v12, 0x7fffff, v16
	v_mov_b32_e32 v13, v43
	v_or_b32_e32 v54, 0x7b, v9
	v_cmp_ne_u64_e32 vcc, s[52:53], v[50:51]
	s_and_saveexec_b64 s[30:31], vcc
	s_xor_b64 s[68:69], exec, s[30:31]
	s_cbranch_execz .LBB4_2162
; %bb.2153:                             ;   in Loop: Header=BB4_772 Depth=4
	v_and_b32_e32 v50, 0x7fffffff, v16
	v_mov_b32_e32 v51, v43
	v_cmp_gt_u64_e32 vcc, s[54:55], v[50:51]
	s_and_saveexec_b64 s[70:71], vcc
	s_cbranch_execz .LBB4_2161
; %bb.2154:                             ;   in Loop: Header=BB4_772 Depth=4
	v_cmp_ne_u32_e32 vcc, 0, v16
	v_mov_b32_e32 v54, 0
	s_and_saveexec_b64 s[72:73], vcc
	s_cbranch_execz .LBB4_2160
; %bb.2155:                             ;   in Loop: Header=BB4_772 Depth=4
	v_bfe_u32 v16, v16, 23, 8
	v_cmp_eq_u32_e32 vcc, 0, v16
	v_add_u32_e32 v17, 0xffffff81, v16
	v_cmp_gt_u32_e64 s[30:31], s38, v16
	v_sub_u32_e32 v16, 0x71, v16
	v_mov_b32_e32 v33, 0xffffff82
	v_cndmask_b32_e64 v16, 0, v16, s[30:31]
	v_cndmask_b32_e32 v33, v17, v33, vcc
	v_mov_b32_e32 v17, 0x70
	v_cndmask_b32_e32 v54, v16, v17, vcc
	v_add_u32_e32 v16, 21, v54
	v_or_b32_e32 v32, 0x800000, v12
	v_lshlrev_b64 v[16:17], v16, -1
	v_cndmask_b32_e32 v12, v32, v12, vcc
	v_not_b32_e32 v17, v17
	v_not_b32_e32 v16, v16
	v_add_u32_e32 v32, 20, v54
	v_and_b32_e32 v17, 0, v17
	v_and_b32_e32 v16, v12, v16
	v_lshlrev_b64 v[50:51], v32, 1
	v_lshrrev_b64 v[12:13], v54, v[12:13]
	v_cmp_eq_u64_e32 vcc, v[16:17], v[50:51]
	v_lshrrev_b32_e32 v16, 23, v12
	v_add3_u32 v50, v54, v33, v16
	v_bfe_u32 v16, v12, 21, 1
	v_add_u32_e32 v16, -1, v16
	v_cndmask_b32_e32 v16, 0, v16, vcc
	v_add_u32_e32 v16, v16, v12
	v_and_b32_e32 v16, 0x1fffff, v16
	v_add_co_u32_e32 v12, vcc, v16, v12
	v_add_u32_e32 v17, 14, v50
	v_addc_co_u32_e32 v13, vcc, 0, v13, vcc
	v_cmp_ne_u32_e32 vcc, 0, v17
                                        ; implicit-def: $vgpr16
	s_and_saveexec_b64 s[30:31], vcc
	s_xor_b64 s[30:31], exec, s[30:31]
; %bb.2156:                             ;   in Loop: Header=BB4_772 Depth=4
	v_add_u32_e32 v16, 15, v50
	v_cmp_lt_u64_e32 vcc, s[56:57], v[12:13]
	v_cndmask_b32_e32 v16, v17, v16, vcc
	v_cndmask_b32_e64 v17, 0, 1, vcc
	v_lshrrev_b64 v[12:13], v17, v[12:13]
; %bb.2157:                             ;   in Loop: Header=BB4_772 Depth=4
	s_andn2_saveexec_b64 vcc, s[30:31]
; %bb.2158:                             ;   in Loop: Header=BB4_772 Depth=4
	v_bfe_u32 v16, v12, 23, 1
; %bb.2159:                             ;   in Loop: Header=BB4_772 Depth=4
	s_or_b64 exec, exec, vcc
	v_lshrrev_b64 v[12:13], 21, v[12:13]
	v_cmp_gt_i32_e32 vcc, 32, v16
	v_cndmask_b32_e32 v13, 0, v13, vcc
	v_cndmask_b32_e32 v12, 3, v12, vcc
	v_cmp_eq_u64_e64 s[30:31], 0, v[12:13]
	v_min_i32_e32 v13, 31, v16
	v_cmp_eq_u32_e32 vcc, 0, v16
	v_lshlrev_b32_e32 v13, 2, v13
	v_and_or_b32 v12, v12, 3, v13
	s_and_b64 vcc, vcc, s[30:31]
	v_cndmask_b32_e64 v12, v12, 0, vcc
	v_or_b32_e32 v54, v12, v9
.LBB4_2160:                             ;   in Loop: Header=BB4_772 Depth=4
	s_or_b64 exec, exec, s[72:73]
.LBB4_2161:                             ;   in Loop: Header=BB4_772 Depth=4
	s_or_b64 exec, exec, s[70:71]
                                        ; implicit-def: $vgpr16
                                        ; implicit-def: $vgpr12_vgpr13
.LBB4_2162:                             ;   in Loop: Header=BB4_772 Depth=4
	s_andn2_saveexec_b64 s[30:31], s[68:69]
; %bb.2163:                             ;   in Loop: Header=BB4_772 Depth=4
	v_or_b32_sdwa v9, v16, s39 dst_sel:DWORD dst_unused:UNUSED_PAD src0_sel:BYTE_3 src1_sel:DWORD
	v_cmp_eq_u64_e32 vcc, 0, v[12:13]
	v_cndmask_b32_e32 v54, v9, v54, vcc
; %bb.2164:                             ;   in Loop: Header=BB4_772 Depth=4
	s_or_b64 exec, exec, s[30:31]
	v_lshrrev_b16_e32 v16, 8, v42
	v_lshrrev_b16_e32 v12, 8, v8
	s_and_b64 vcc, exec, s[28:29]
	v_cmp_ne_u16_e64 s[30:31], 0, v16
	s_cbranch_vccnz .LBB4_2182
; %bb.2165:                             ;   in Loop: Header=BB4_772 Depth=4
	v_mov_b32_e32 v13, 0
	v_mov_b32_e32 v9, 0
	s_and_saveexec_b64 s[68:69], s[30:31]
	s_cbranch_execz .LBB4_2173
; %bb.2166:                             ;   in Loop: Header=BB4_772 Depth=4
	v_cmp_ne_u16_e32 vcc, s97, v16
	v_bfrev_b32_e32 v9, 1
	s_and_saveexec_b64 s[70:71], vcc
	s_cbranch_execz .LBB4_2172
; %bb.2167:                             ;   in Loop: Header=BB4_772 Depth=4
	v_and_b32_e32 v9, 0x7c, v16
	v_and_b32_e32 v50, 3, v16
	v_cmp_ne_u32_e32 vcc, s95, v9
                                        ; implicit-def: $vgpr9
	s_and_saveexec_b64 s[72:73], vcc
	s_xor_b64 s[72:73], exec, s[72:73]
	s_cbranch_execz .LBB4_2169
; %bb.2168:                             ;   in Loop: Header=BB4_772 Depth=4
	v_ffbh_u32_e32 v32, v50
	v_min_u32_e32 v51, 32, v32
	v_mov_b32_e32 v17, v43
	v_bfe_u32 v9, v16, 2, 5
	v_subrev_u32_e32 v32, 29, v51
	v_lshlrev_b64 v[32:33], v32, v[16:17]
	v_sub_u32_e32 v17, 30, v51
	v_cmp_eq_u32_e32 vcc, 0, v9
	v_and_b32_e32 v32, 3, v32
	v_cndmask_b32_e32 v9, v9, v17, vcc
	v_bfrev_b32_e32 v33, 28
	v_cndmask_b32_e32 v17, v50, v32, vcc
	v_lshlrev_b32_e32 v32, 16, v42
	v_lshl_add_u32 v9, v9, 23, v33
	v_and_or_b32 v9, v32, s96, v9
	v_lshl_or_b32 v9, v17, 21, v9
                                        ; implicit-def: $vgpr50
.LBB4_2169:                             ;   in Loop: Header=BB4_772 Depth=4
	s_andn2_saveexec_b64 s[72:73], s[72:73]
; %bb.2170:                             ;   in Loop: Header=BB4_772 Depth=4
	v_cmp_lt_i16_e32 vcc, -1, v42
	v_cndmask_b32_e32 v9, v6, v1, vcc
	v_cmp_eq_u32_e32 vcc, 0, v50
	v_mov_b32_e32 v17, 0x7f800001
	v_cndmask_b32_e32 v9, v17, v9, vcc
; %bb.2171:                             ;   in Loop: Header=BB4_772 Depth=4
	s_or_b64 exec, exec, s[72:73]
.LBB4_2172:                             ;   in Loop: Header=BB4_772 Depth=4
	s_or_b64 exec, exec, s[70:71]
.LBB4_2173:                             ;   in Loop: Header=BB4_772 Depth=4
	s_or_b64 exec, exec, s[68:69]
	v_cmp_ne_u16_e32 vcc, 0, v12
	s_and_saveexec_b64 s[68:69], vcc
	s_cbranch_execz .LBB4_2181
; %bb.2174:                             ;   in Loop: Header=BB4_772 Depth=4
	v_cmp_ne_u16_e32 vcc, s97, v12
	v_bfrev_b32_e32 v13, 1
	s_and_saveexec_b64 s[70:71], vcc
	s_cbranch_execz .LBB4_2180
; %bb.2175:                             ;   in Loop: Header=BB4_772 Depth=4
	v_and_b32_e32 v13, 0x7c, v12
	v_and_b32_e32 v17, 3, v12
	v_cmp_ne_u32_e32 vcc, s95, v13
                                        ; implicit-def: $vgpr13
	s_and_saveexec_b64 s[72:73], vcc
	s_xor_b64 s[72:73], exec, s[72:73]
	s_cbranch_execz .LBB4_2177
; %bb.2176:                             ;   in Loop: Header=BB4_772 Depth=4
	v_ffbh_u32_e32 v32, v17
	v_min_u32_e32 v51, 32, v32
	v_mov_b32_e32 v13, v43
	v_bfe_u32 v50, v12, 2, 5
	v_subrev_u32_e32 v32, 29, v51
	v_lshlrev_b64 v[32:33], v32, v[12:13]
	v_sub_u32_e32 v13, 30, v51
	v_cmp_eq_u32_e32 vcc, 0, v50
	v_and_b32_e32 v32, 3, v32
	v_cndmask_b32_e32 v13, v50, v13, vcc
	v_bfrev_b32_e32 v33, 28
	v_cndmask_b32_e32 v17, v17, v32, vcc
	v_lshlrev_b32_e32 v32, 16, v8
	v_lshl_add_u32 v13, v13, 23, v33
	v_and_or_b32 v13, v32, s96, v13
	v_lshl_or_b32 v13, v17, 21, v13
                                        ; implicit-def: $vgpr17
.LBB4_2177:                             ;   in Loop: Header=BB4_772 Depth=4
	s_andn2_saveexec_b64 s[72:73], s[72:73]
; %bb.2178:                             ;   in Loop: Header=BB4_772 Depth=4
	v_cmp_lt_i16_e32 vcc, -1, v8
	v_cndmask_b32_e32 v13, v6, v1, vcc
	v_cmp_eq_u32_e32 vcc, 0, v17
	v_mov_b32_e32 v17, 0x7f800001
	v_cndmask_b32_e32 v13, v17, v13, vcc
; %bb.2179:                             ;   in Loop: Header=BB4_772 Depth=4
	s_or_b64 exec, exec, s[72:73]
.LBB4_2180:                             ;   in Loop: Header=BB4_772 Depth=4
	s_or_b64 exec, exec, s[70:71]
.LBB4_2181:                             ;   in Loop: Header=BB4_772 Depth=4
	s_or_b64 exec, exec, s[68:69]
	v_max_f32_e32 v13, v13, v13
	v_max_f32_e32 v9, v9, v9
	;; [unrolled: 1-line block ×3, first 2 shown]
	s_branch .LBB4_2200
.LBB4_2182:                             ;   in Loop: Header=BB4_772 Depth=4
                                        ; implicit-def: $vgpr9
	s_cbranch_execz .LBB4_2200
; %bb.2183:                             ;   in Loop: Header=BB4_772 Depth=4
	v_mov_b32_e32 v13, 0
	v_mov_b32_e32 v17, 0
	s_and_saveexec_b64 s[68:69], s[30:31]
	s_cbranch_execz .LBB4_2191
; %bb.2184:                             ;   in Loop: Header=BB4_772 Depth=4
	v_cmp_ne_u16_e32 vcc, s97, v16
	v_bfrev_b32_e32 v17, 1
	s_and_saveexec_b64 s[30:31], vcc
	s_cbranch_execz .LBB4_2190
; %bb.2185:                             ;   in Loop: Header=BB4_772 Depth=4
	v_and_b32_e32 v17, 0x7c, v16
	v_and_b32_e32 v9, 3, v16
	v_cmp_ne_u32_e32 vcc, s95, v17
                                        ; implicit-def: $vgpr17
	s_and_saveexec_b64 s[70:71], vcc
	s_xor_b64 s[70:71], exec, s[70:71]
	s_cbranch_execz .LBB4_2187
; %bb.2186:                             ;   in Loop: Header=BB4_772 Depth=4
	v_ffbh_u32_e32 v33, v9
	v_min_u32_e32 v33, 32, v33
	v_mov_b32_e32 v17, v43
	v_subrev_u32_e32 v50, 29, v33
	v_bfe_u32 v32, v16, 2, 5
	v_lshlrev_b64 v[16:17], v50, v[16:17]
	v_sub_u32_e32 v17, 30, v33
	v_cmp_eq_u32_e32 vcc, 0, v32
	v_and_b32_e32 v16, 3, v16
	v_cndmask_b32_e32 v17, v32, v17, vcc
	v_bfrev_b32_e32 v32, 28
	v_cndmask_b32_e32 v9, v9, v16, vcc
	v_lshlrev_b32_e32 v16, 16, v42
	v_lshl_add_u32 v17, v17, 23, v32
	v_and_or_b32 v16, v16, s96, v17
	v_lshl_or_b32 v17, v9, 21, v16
                                        ; implicit-def: $vgpr9
.LBB4_2187:                             ;   in Loop: Header=BB4_772 Depth=4
	s_andn2_saveexec_b64 s[70:71], s[70:71]
; %bb.2188:                             ;   in Loop: Header=BB4_772 Depth=4
	v_cmp_lt_i16_e32 vcc, -1, v42
	v_cndmask_b32_e32 v16, v6, v1, vcc
	v_cmp_eq_u32_e32 vcc, 0, v9
	v_mov_b32_e32 v9, 0x7f800001
	v_cndmask_b32_e32 v17, v9, v16, vcc
; %bb.2189:                             ;   in Loop: Header=BB4_772 Depth=4
	s_or_b64 exec, exec, s[70:71]
.LBB4_2190:                             ;   in Loop: Header=BB4_772 Depth=4
	s_or_b64 exec, exec, s[30:31]
.LBB4_2191:                             ;   in Loop: Header=BB4_772 Depth=4
	s_or_b64 exec, exec, s[68:69]
	v_cmp_ne_u16_e32 vcc, 0, v12
	s_and_saveexec_b64 s[30:31], vcc
	s_cbranch_execz .LBB4_2199
; %bb.2192:                             ;   in Loop: Header=BB4_772 Depth=4
	v_cmp_ne_u16_e32 vcc, s97, v12
	v_bfrev_b32_e32 v13, 1
	s_and_saveexec_b64 s[68:69], vcc
	s_cbranch_execz .LBB4_2198
; %bb.2193:                             ;   in Loop: Header=BB4_772 Depth=4
	v_and_b32_e32 v9, 0x7c, v12
	v_and_b32_e32 v16, 3, v12
	v_cmp_ne_u32_e32 vcc, s95, v9
                                        ; implicit-def: $vgpr13
	s_and_saveexec_b64 s[70:71], vcc
	s_xor_b64 s[70:71], exec, s[70:71]
	s_cbranch_execz .LBB4_2195
; %bb.2194:                             ;   in Loop: Header=BB4_772 Depth=4
	v_ffbh_u32_e32 v32, v16
	v_min_u32_e32 v32, 32, v32
	v_mov_b32_e32 v13, v43
	v_subrev_u32_e32 v33, 29, v32
	v_bfe_u32 v9, v12, 2, 5
	v_lshlrev_b64 v[12:13], v33, v[12:13]
	v_sub_u32_e32 v13, 30, v32
	v_cmp_eq_u32_e32 vcc, 0, v9
	v_cndmask_b32_e32 v9, v9, v13, vcc
	v_bfrev_b32_e32 v13, 28
	v_and_b32_e32 v12, 3, v12
	v_lshlrev_b32_e32 v8, 16, v8
	v_lshl_add_u32 v9, v9, 23, v13
	v_cndmask_b32_e32 v12, v16, v12, vcc
	v_and_or_b32 v8, v8, s96, v9
	v_lshl_or_b32 v13, v12, 21, v8
                                        ; implicit-def: $vgpr16
                                        ; implicit-def: $vgpr8_vgpr9
.LBB4_2195:                             ;   in Loop: Header=BB4_772 Depth=4
	s_andn2_saveexec_b64 s[70:71], s[70:71]
; %bb.2196:                             ;   in Loop: Header=BB4_772 Depth=4
	v_cmp_lt_i16_e32 vcc, -1, v8
	v_cndmask_b32_e32 v8, v6, v1, vcc
	v_cmp_eq_u32_e32 vcc, 0, v16
	v_mov_b32_e32 v9, 0x7f800001
	v_cndmask_b32_e32 v13, v9, v8, vcc
; %bb.2197:                             ;   in Loop: Header=BB4_772 Depth=4
	s_or_b64 exec, exec, s[70:71]
.LBB4_2198:                             ;   in Loop: Header=BB4_772 Depth=4
	s_or_b64 exec, exec, s[68:69]
.LBB4_2199:                             ;   in Loop: Header=BB4_772 Depth=4
	s_or_b64 exec, exec, s[30:31]
	v_max_f32_e32 v8, v13, v13
	v_max_f32_e32 v9, v17, v17
	v_min_f32_e32 v9, v9, v8
.LBB4_2200:                             ;   in Loop: Header=BB4_772 Depth=4
	v_and_b32_sdwa v12, v9, s97 dst_sel:DWORD dst_unused:UNUSED_PAD src0_sel:BYTE_3 src1_sel:DWORD
	v_and_b32_e32 v16, 0x7f800000, v9
	v_mov_b32_e32 v17, v43
	v_and_b32_e32 v42, 0x7fffff, v9
	v_or_b32_e32 v13, 0x7b, v12
	v_cmp_ne_u64_e32 vcc, s[52:53], v[16:17]
	s_and_saveexec_b64 s[30:31], vcc
	s_xor_b64 s[68:69], exec, s[30:31]
	s_cbranch_execz .LBB4_2210
; %bb.2201:                             ;   in Loop: Header=BB4_772 Depth=4
	v_and_b32_e32 v16, 0x7fffffff, v9
	v_mov_b32_e32 v17, v43
	v_cmp_gt_u64_e32 vcc, s[54:55], v[16:17]
	s_and_saveexec_b64 s[70:71], vcc
	s_cbranch_execz .LBB4_2209
; %bb.2202:                             ;   in Loop: Header=BB4_772 Depth=4
	v_cmp_ne_u32_e32 vcc, 0, v9
	v_mov_b32_e32 v13, 0
	s_and_saveexec_b64 s[72:73], vcc
	s_cbranch_execz .LBB4_2208
; %bb.2203:                             ;   in Loop: Header=BB4_772 Depth=4
	v_bfe_u32 v8, v9, 23, 8
	v_cmp_eq_u32_e32 vcc, 0, v8
	v_add_u32_e32 v9, 0xffffff81, v8
	v_cmp_gt_u32_e64 s[30:31], s38, v8
	v_sub_u32_e32 v8, 0x71, v8
	v_mov_b32_e32 v16, 0xffffff82
	v_cndmask_b32_e64 v8, 0, v8, s[30:31]
	v_cndmask_b32_e32 v32, v9, v16, vcc
	v_mov_b32_e32 v9, 0x70
	v_cndmask_b32_e32 v33, v8, v9, vcc
	v_add_u32_e32 v8, 21, v33
	v_or_b32_e32 v13, 0x800000, v42
	v_lshlrev_b64 v[8:9], v8, -1
	v_cndmask_b32_e32 v42, v13, v42, vcc
	v_not_b32_e32 v9, v9
	v_not_b32_e32 v8, v8
	v_add_u32_e32 v13, 20, v33
	v_and_b32_e32 v9, 0, v9
	v_and_b32_e32 v8, v42, v8
	v_lshlrev_b64 v[16:17], v13, 1
	v_cmp_eq_u64_e32 vcc, v[8:9], v[16:17]
	v_lshrrev_b64 v[8:9], v33, v[42:43]
	v_lshrrev_b32_e32 v13, 23, v8
	v_add3_u32 v17, v33, v32, v13
	v_bfe_u32 v13, v8, 21, 1
	v_add_u32_e32 v13, -1, v13
	v_cndmask_b32_e32 v13, 0, v13, vcc
	v_add_u32_e32 v13, v13, v8
	v_and_b32_e32 v13, 0x1fffff, v13
	v_add_co_u32_e32 v8, vcc, v13, v8
	v_add_u32_e32 v16, 14, v17
	v_addc_co_u32_e32 v9, vcc, 0, v9, vcc
	v_cmp_ne_u32_e32 vcc, 0, v16
                                        ; implicit-def: $vgpr13
	s_and_saveexec_b64 s[30:31], vcc
	s_xor_b64 s[30:31], exec, s[30:31]
; %bb.2204:                             ;   in Loop: Header=BB4_772 Depth=4
	v_add_u32_e32 v13, 15, v17
	v_cmp_lt_u64_e32 vcc, s[56:57], v[8:9]
	v_cndmask_b32_e32 v13, v16, v13, vcc
	v_cndmask_b32_e64 v16, 0, 1, vcc
	v_lshrrev_b64 v[8:9], v16, v[8:9]
; %bb.2205:                             ;   in Loop: Header=BB4_772 Depth=4
	s_andn2_saveexec_b64 vcc, s[30:31]
; %bb.2206:                             ;   in Loop: Header=BB4_772 Depth=4
	v_bfe_u32 v13, v8, 23, 1
; %bb.2207:                             ;   in Loop: Header=BB4_772 Depth=4
	s_or_b64 exec, exec, vcc
	v_lshrrev_b64 v[8:9], 21, v[8:9]
	v_cmp_gt_i32_e32 vcc, 32, v13
	v_cndmask_b32_e32 v9, 0, v9, vcc
	v_cndmask_b32_e32 v8, 3, v8, vcc
	v_cmp_eq_u64_e64 s[30:31], 0, v[8:9]
	v_min_i32_e32 v9, 31, v13
	v_cmp_eq_u32_e32 vcc, 0, v13
	v_lshlrev_b32_e32 v9, 2, v9
	v_and_or_b32 v8, v8, 3, v9
	s_and_b64 vcc, vcc, s[30:31]
	v_cndmask_b32_e64 v8, v8, 0, vcc
	v_or_b32_e32 v13, v8, v12
.LBB4_2208:                             ;   in Loop: Header=BB4_772 Depth=4
	s_or_b64 exec, exec, s[72:73]
.LBB4_2209:                             ;   in Loop: Header=BB4_772 Depth=4
	s_or_b64 exec, exec, s[70:71]
                                        ; implicit-def: $vgpr9
.LBB4_2210:                             ;   in Loop: Header=BB4_772 Depth=4
	s_andn2_saveexec_b64 s[30:31], s[68:69]
; %bb.2211:                             ;   in Loop: Header=BB4_772 Depth=4
	v_or_b32_sdwa v8, v9, s39 dst_sel:DWORD dst_unused:UNUSED_PAD src0_sel:BYTE_3 src1_sel:DWORD
	v_cmp_eq_u64_e32 vcc, 0, v[42:43]
	v_cndmask_b32_e32 v13, v8, v13, vcc
; %bb.2212:                             ;   in Loop: Header=BB4_772 Depth=4
	s_or_b64 exec, exec, s[30:31]
	v_lshrrev_b32_e32 v12, 16, v15
	v_lshrrev_b32_e32 v8, 16, v11
	s_and_b64 vcc, exec, s[28:29]
	v_cmp_ne_u16_sdwa s[30:31], v12, v43 src0_sel:BYTE_0 src1_sel:DWORD
	s_cbranch_vccnz .LBB4_2230
; %bb.2213:                             ;   in Loop: Header=BB4_772 Depth=4
	v_mov_b32_e32 v16, 0
	v_mov_b32_e32 v9, 0
	s_and_saveexec_b64 s[68:69], s[30:31]
	s_cbranch_execz .LBB4_2221
; %bb.2214:                             ;   in Loop: Header=BB4_772 Depth=4
	v_cmp_ne_u16_sdwa vcc, v12, s97 src0_sel:BYTE_0 src1_sel:DWORD
	v_bfrev_b32_e32 v9, 1
	s_and_saveexec_b64 s[70:71], vcc
	s_cbranch_execz .LBB4_2220
; %bb.2215:                             ;   in Loop: Header=BB4_772 Depth=4
	v_and_b32_e32 v9, 0x7c0000, v15
	v_bfe_u32 v17, v15, 16, 2
	v_cmp_ne_u32_e32 vcc, s36, v9
                                        ; implicit-def: $vgpr9
	s_and_saveexec_b64 s[72:73], vcc
	s_xor_b64 s[72:73], exec, s[72:73]
	s_cbranch_execz .LBB4_2217
; %bb.2216:                             ;   in Loop: Header=BB4_772 Depth=4
	v_ffbh_u32_e32 v32, v17
	v_min_u32_e32 v50, 32, v32
	v_subrev_u32_e32 v32, 29, v50
	v_bfe_u32 v9, v15, 18, 5
	v_lshlrev_b64 v[32:33], v32, v[12:13]
	v_sub_u32_e32 v33, 30, v50
	v_cmp_eq_u32_e32 vcc, 0, v9
	v_and_b32_e32 v32, 3, v32
	v_cndmask_b32_e32 v9, v9, v33, vcc
	v_bfrev_b32_e32 v33, 28
	v_cndmask_b32_e32 v17, v17, v32, vcc
	v_lshlrev_b32_e32 v32, 24, v12
	v_lshl_add_u32 v9, v9, 23, v33
	v_and_or_b32 v9, v32, s96, v9
	v_lshl_or_b32 v9, v17, 21, v9
                                        ; implicit-def: $vgpr17
.LBB4_2217:                             ;   in Loop: Header=BB4_772 Depth=4
	s_andn2_saveexec_b64 s[72:73], s[72:73]
; %bb.2218:                             ;   in Loop: Header=BB4_772 Depth=4
	v_mov_b32_e32 v9, -1
	v_cmp_gt_i16_sdwa vcc, sext(v12), v9 src0_sel:BYTE_0 src1_sel:DWORD
	v_cndmask_b32_e32 v9, v6, v1, vcc
	v_cmp_eq_u32_e32 vcc, 0, v17
	v_mov_b32_e32 v17, 0x7f800001
	v_cndmask_b32_e32 v9, v17, v9, vcc
; %bb.2219:                             ;   in Loop: Header=BB4_772 Depth=4
	s_or_b64 exec, exec, s[72:73]
.LBB4_2220:                             ;   in Loop: Header=BB4_772 Depth=4
	s_or_b64 exec, exec, s[70:71]
.LBB4_2221:                             ;   in Loop: Header=BB4_772 Depth=4
	s_or_b64 exec, exec, s[68:69]
	v_cmp_ne_u16_sdwa vcc, v8, v43 src0_sel:BYTE_0 src1_sel:DWORD
	s_and_saveexec_b64 s[68:69], vcc
	s_cbranch_execz .LBB4_2229
; %bb.2222:                             ;   in Loop: Header=BB4_772 Depth=4
	v_cmp_ne_u16_sdwa vcc, v8, s97 src0_sel:BYTE_0 src1_sel:DWORD
	v_bfrev_b32_e32 v16, 1
	s_and_saveexec_b64 s[70:71], vcc
	s_cbranch_execz .LBB4_2228
; %bb.2223:                             ;   in Loop: Header=BB4_772 Depth=4
	v_and_b32_e32 v16, 0x7c0000, v11
	v_bfe_u32 v17, v11, 16, 2
	v_cmp_ne_u32_e32 vcc, s36, v16
                                        ; implicit-def: $vgpr16
	s_and_saveexec_b64 s[72:73], vcc
	s_xor_b64 s[72:73], exec, s[72:73]
	s_cbranch_execz .LBB4_2225
; %bb.2224:                             ;   in Loop: Header=BB4_772 Depth=4
	v_ffbh_u32_e32 v32, v17
	v_min_u32_e32 v50, 32, v32
	v_subrev_u32_e32 v32, 29, v50
	v_bfe_u32 v16, v11, 18, 5
	v_lshlrev_b64 v[32:33], v32, v[8:9]
	v_sub_u32_e32 v33, 30, v50
	v_cmp_eq_u32_e32 vcc, 0, v16
	v_and_b32_e32 v32, 3, v32
	v_cndmask_b32_e32 v16, v16, v33, vcc
	v_bfrev_b32_e32 v33, 28
	v_cndmask_b32_e32 v17, v17, v32, vcc
	v_lshlrev_b32_e32 v32, 24, v8
	v_lshl_add_u32 v16, v16, 23, v33
	v_and_or_b32 v16, v32, s96, v16
	v_lshl_or_b32 v16, v17, 21, v16
                                        ; implicit-def: $vgpr17
.LBB4_2225:                             ;   in Loop: Header=BB4_772 Depth=4
	s_andn2_saveexec_b64 s[72:73], s[72:73]
; %bb.2226:                             ;   in Loop: Header=BB4_772 Depth=4
	v_mov_b32_e32 v16, -1
	v_cmp_gt_i16_sdwa vcc, sext(v8), v16 src0_sel:BYTE_0 src1_sel:DWORD
	v_cndmask_b32_e32 v16, v6, v1, vcc
	v_cmp_eq_u32_e32 vcc, 0, v17
	v_mov_b32_e32 v17, 0x7f800001
	v_cndmask_b32_e32 v16, v17, v16, vcc
; %bb.2227:                             ;   in Loop: Header=BB4_772 Depth=4
	s_or_b64 exec, exec, s[72:73]
.LBB4_2228:                             ;   in Loop: Header=BB4_772 Depth=4
	s_or_b64 exec, exec, s[70:71]
.LBB4_2229:                             ;   in Loop: Header=BB4_772 Depth=4
	s_or_b64 exec, exec, s[68:69]
	v_max_f32_e32 v16, v16, v16
	v_max_f32_e32 v9, v9, v9
	;; [unrolled: 1-line block ×3, first 2 shown]
	s_branch .LBB4_2248
.LBB4_2230:                             ;   in Loop: Header=BB4_772 Depth=4
                                        ; implicit-def: $vgpr9
	s_cbranch_execz .LBB4_2248
; %bb.2231:                             ;   in Loop: Header=BB4_772 Depth=4
	v_mov_b32_e32 v16, 0
	v_mov_b32_e32 v9, 0
	s_and_saveexec_b64 s[68:69], s[30:31]
	s_cbranch_execz .LBB4_2239
; %bb.2232:                             ;   in Loop: Header=BB4_772 Depth=4
	v_cmp_ne_u16_sdwa vcc, v12, s97 src0_sel:BYTE_0 src1_sel:DWORD
	v_bfrev_b32_e32 v9, 1
	s_and_saveexec_b64 s[30:31], vcc
	s_cbranch_execz .LBB4_2238
; %bb.2233:                             ;   in Loop: Header=BB4_772 Depth=4
	v_and_b32_e32 v9, 0x7c0000, v15
	v_bfe_u32 v17, v15, 16, 2
	v_cmp_ne_u32_e32 vcc, s36, v9
                                        ; implicit-def: $vgpr9
	s_and_saveexec_b64 s[70:71], vcc
	s_xor_b64 s[70:71], exec, s[70:71]
	s_cbranch_execz .LBB4_2235
; %bb.2234:                             ;   in Loop: Header=BB4_772 Depth=4
	v_ffbh_u32_e32 v32, v17
	v_min_u32_e32 v50, 32, v32
	v_subrev_u32_e32 v32, 29, v50
	v_bfe_u32 v9, v15, 18, 5
	v_lshlrev_b64 v[32:33], v32, v[12:13]
	v_sub_u32_e32 v33, 30, v50
	v_and_b32_e32 v32, 3, v32
	v_cmp_eq_u32_e32 vcc, 0, v9
	v_cndmask_b32_e32 v9, v9, v33, vcc
	v_cndmask_b32_e32 v17, v17, v32, vcc
	v_bfrev_b32_e32 v32, 28
	v_lshlrev_b32_e32 v12, 24, v12
	v_lshl_add_u32 v9, v9, 23, v32
	v_and_or_b32 v9, v12, s96, v9
	v_lshl_or_b32 v9, v17, 21, v9
                                        ; implicit-def: $vgpr17
                                        ; implicit-def: $vgpr12
.LBB4_2235:                             ;   in Loop: Header=BB4_772 Depth=4
	s_andn2_saveexec_b64 s[70:71], s[70:71]
; %bb.2236:                             ;   in Loop: Header=BB4_772 Depth=4
	v_mov_b32_e32 v9, -1
	v_cmp_gt_i16_sdwa vcc, sext(v12), v9 src0_sel:BYTE_0 src1_sel:DWORD
	v_cndmask_b32_e32 v9, v6, v1, vcc
	v_cmp_eq_u32_e32 vcc, 0, v17
	v_mov_b32_e32 v12, 0x7f800001
	v_cndmask_b32_e32 v9, v12, v9, vcc
; %bb.2237:                             ;   in Loop: Header=BB4_772 Depth=4
	s_or_b64 exec, exec, s[70:71]
.LBB4_2238:                             ;   in Loop: Header=BB4_772 Depth=4
	s_or_b64 exec, exec, s[30:31]
.LBB4_2239:                             ;   in Loop: Header=BB4_772 Depth=4
	s_or_b64 exec, exec, s[68:69]
	v_cmp_ne_u16_sdwa vcc, v8, v43 src0_sel:BYTE_0 src1_sel:DWORD
	s_and_saveexec_b64 s[30:31], vcc
	s_cbranch_execz .LBB4_2247
; %bb.2240:                             ;   in Loop: Header=BB4_772 Depth=4
	v_cmp_ne_u16_sdwa vcc, v8, s97 src0_sel:BYTE_0 src1_sel:DWORD
	v_bfrev_b32_e32 v16, 1
	s_and_saveexec_b64 s[68:69], vcc
	s_cbranch_execz .LBB4_2246
; %bb.2241:                             ;   in Loop: Header=BB4_772 Depth=4
	v_and_b32_e32 v16, 0x7c0000, v11
	v_bfe_u32 v12, v11, 16, 2
	v_cmp_ne_u32_e32 vcc, s36, v16
                                        ; implicit-def: $vgpr16
	s_and_saveexec_b64 s[70:71], vcc
	s_xor_b64 s[70:71], exec, s[70:71]
	s_cbranch_execz .LBB4_2243
; %bb.2242:                             ;   in Loop: Header=BB4_772 Depth=4
	v_ffbh_u32_e32 v16, v12
	v_min_u32_e32 v33, 32, v16
	v_subrev_u32_e32 v16, 29, v33
	v_bfe_u32 v32, v11, 18, 5
	v_lshlrev_b64 v[16:17], v16, v[8:9]
	v_sub_u32_e32 v17, 30, v33
	v_and_b32_e32 v16, 3, v16
	v_cmp_eq_u32_e32 vcc, 0, v32
	v_cndmask_b32_e32 v17, v32, v17, vcc
	v_cndmask_b32_e32 v12, v12, v16, vcc
	v_bfrev_b32_e32 v16, 28
	v_lshlrev_b32_e32 v8, 24, v8
	v_lshl_add_u32 v16, v17, 23, v16
	v_and_or_b32 v8, v8, s96, v16
	v_lshl_or_b32 v16, v12, 21, v8
                                        ; implicit-def: $vgpr12
                                        ; implicit-def: $vgpr8
.LBB4_2243:                             ;   in Loop: Header=BB4_772 Depth=4
	s_andn2_saveexec_b64 s[70:71], s[70:71]
; %bb.2244:                             ;   in Loop: Header=BB4_772 Depth=4
	v_mov_b32_e32 v16, -1
	v_cmp_gt_i16_sdwa vcc, sext(v8), v16 src0_sel:BYTE_0 src1_sel:DWORD
	v_cndmask_b32_e32 v8, v6, v1, vcc
	v_cmp_eq_u32_e32 vcc, 0, v12
	v_mov_b32_e32 v12, 0x7f800001
	v_cndmask_b32_e32 v16, v12, v8, vcc
; %bb.2245:                             ;   in Loop: Header=BB4_772 Depth=4
	s_or_b64 exec, exec, s[70:71]
.LBB4_2246:                             ;   in Loop: Header=BB4_772 Depth=4
	s_or_b64 exec, exec, s[68:69]
.LBB4_2247:                             ;   in Loop: Header=BB4_772 Depth=4
	s_or_b64 exec, exec, s[30:31]
	v_max_f32_e32 v8, v16, v16
	v_max_f32_e32 v9, v9, v9
	v_min_f32_e32 v9, v9, v8
.LBB4_2248:                             ;   in Loop: Header=BB4_772 Depth=4
	v_and_b32_sdwa v12, v9, s97 dst_sel:DWORD dst_unused:UNUSED_PAD src0_sel:BYTE_3 src1_sel:DWORD
	v_and_b32_e32 v32, 0x7f800000, v9
	v_mov_b32_e32 v33, v43
	v_and_b32_e32 v42, 0x7fffff, v9
	v_or_b32_e32 v16, 0x7b, v12
	v_cmp_ne_u64_e32 vcc, s[52:53], v[32:33]
	s_and_saveexec_b64 s[30:31], vcc
	s_xor_b64 s[68:69], exec, s[30:31]
	s_cbranch_execz .LBB4_2258
; %bb.2249:                             ;   in Loop: Header=BB4_772 Depth=4
	v_and_b32_e32 v32, 0x7fffffff, v9
	v_mov_b32_e32 v33, v43
	v_cmp_gt_u64_e32 vcc, s[54:55], v[32:33]
	s_and_saveexec_b64 s[70:71], vcc
	s_cbranch_execz .LBB4_2257
; %bb.2250:                             ;   in Loop: Header=BB4_772 Depth=4
	v_cmp_ne_u32_e32 vcc, 0, v9
	v_mov_b32_e32 v16, 0
	s_and_saveexec_b64 s[72:73], vcc
	s_cbranch_execz .LBB4_2256
; %bb.2251:                             ;   in Loop: Header=BB4_772 Depth=4
	v_bfe_u32 v8, v9, 23, 8
	v_cmp_eq_u32_e32 vcc, 0, v8
	v_add_u32_e32 v9, 0xffffff81, v8
	v_cmp_gt_u32_e64 s[30:31], s38, v8
	v_sub_u32_e32 v8, 0x71, v8
	v_mov_b32_e32 v17, 0xffffff82
	v_cndmask_b32_e64 v8, 0, v8, s[30:31]
	v_cndmask_b32_e32 v32, v9, v17, vcc
	v_mov_b32_e32 v9, 0x70
	v_cndmask_b32_e32 v33, v8, v9, vcc
	v_add_u32_e32 v8, 21, v33
	v_or_b32_e32 v16, 0x800000, v42
	v_lshlrev_b64 v[8:9], v8, -1
	v_cndmask_b32_e32 v42, v16, v42, vcc
	v_not_b32_e32 v9, v9
	v_not_b32_e32 v8, v8
	v_add_u32_e32 v16, 20, v33
	v_and_b32_e32 v9, 0, v9
	v_and_b32_e32 v8, v42, v8
	v_lshlrev_b64 v[16:17], v16, 1
	v_cmp_eq_u64_e32 vcc, v[8:9], v[16:17]
	v_lshrrev_b64 v[8:9], v33, v[42:43]
	v_lshrrev_b32_e32 v16, 23, v8
	v_add3_u32 v50, v33, v32, v16
	v_bfe_u32 v16, v8, 21, 1
	v_add_u32_e32 v16, -1, v16
	v_cndmask_b32_e32 v16, 0, v16, vcc
	v_add_u32_e32 v16, v16, v8
	v_and_b32_e32 v16, 0x1fffff, v16
	v_add_co_u32_e32 v8, vcc, v16, v8
	v_add_u32_e32 v17, 14, v50
	v_addc_co_u32_e32 v9, vcc, 0, v9, vcc
	v_cmp_ne_u32_e32 vcc, 0, v17
                                        ; implicit-def: $vgpr16
	s_and_saveexec_b64 s[30:31], vcc
	s_xor_b64 s[30:31], exec, s[30:31]
; %bb.2252:                             ;   in Loop: Header=BB4_772 Depth=4
	v_add_u32_e32 v16, 15, v50
	v_cmp_lt_u64_e32 vcc, s[56:57], v[8:9]
	v_cndmask_b32_e32 v16, v17, v16, vcc
	v_cndmask_b32_e64 v17, 0, 1, vcc
	v_lshrrev_b64 v[8:9], v17, v[8:9]
; %bb.2253:                             ;   in Loop: Header=BB4_772 Depth=4
	s_andn2_saveexec_b64 vcc, s[30:31]
; %bb.2254:                             ;   in Loop: Header=BB4_772 Depth=4
	v_bfe_u32 v16, v8, 23, 1
; %bb.2255:                             ;   in Loop: Header=BB4_772 Depth=4
	s_or_b64 exec, exec, vcc
	v_lshrrev_b64 v[8:9], 21, v[8:9]
	v_cmp_gt_i32_e32 vcc, 32, v16
	v_cndmask_b32_e32 v9, 0, v9, vcc
	v_cndmask_b32_e32 v8, 3, v8, vcc
	v_cmp_eq_u64_e64 s[30:31], 0, v[8:9]
	v_min_i32_e32 v9, 31, v16
	v_cmp_eq_u32_e32 vcc, 0, v16
	v_lshlrev_b32_e32 v9, 2, v9
	v_and_or_b32 v8, v8, 3, v9
	s_and_b64 vcc, vcc, s[30:31]
	v_cndmask_b32_e64 v8, v8, 0, vcc
	v_or_b32_e32 v16, v8, v12
.LBB4_2256:                             ;   in Loop: Header=BB4_772 Depth=4
	s_or_b64 exec, exec, s[72:73]
.LBB4_2257:                             ;   in Loop: Header=BB4_772 Depth=4
	s_or_b64 exec, exec, s[70:71]
                                        ; implicit-def: $vgpr9
.LBB4_2258:                             ;   in Loop: Header=BB4_772 Depth=4
	s_andn2_saveexec_b64 s[30:31], s[68:69]
; %bb.2259:                             ;   in Loop: Header=BB4_772 Depth=4
	v_or_b32_sdwa v8, v9, s39 dst_sel:DWORD dst_unused:UNUSED_PAD src0_sel:BYTE_3 src1_sel:DWORD
	v_cmp_eq_u64_e32 vcc, 0, v[42:43]
	v_cndmask_b32_e32 v16, v8, v16, vcc
; %bb.2260:                             ;   in Loop: Header=BB4_772 Depth=4
	s_or_b64 exec, exec, s[30:31]
	v_lshrrev_b32_e32 v12, 24, v15
	v_lshrrev_b32_e32 v8, 24, v11
	s_and_b64 vcc, exec, s[28:29]
	v_cmp_lt_u64_e64 s[28:29], s[42:43], v[14:15]
	s_cbranch_vccnz .LBB4_2278
; %bb.2261:                             ;   in Loop: Header=BB4_772 Depth=4
	v_mov_b32_e32 v17, 0
	v_mov_b32_e32 v9, 0
	s_and_saveexec_b64 s[30:31], s[28:29]
	s_cbranch_execz .LBB4_2269
; %bb.2262:                             ;   in Loop: Header=BB4_772 Depth=4
	v_cmp_ne_u32_e32 vcc, s97, v12
	v_bfrev_b32_e32 v9, 1
	s_and_saveexec_b64 s[68:69], vcc
	s_cbranch_execz .LBB4_2268
; %bb.2263:                             ;   in Loop: Header=BB4_772 Depth=4
	v_and_b32_e32 v9, 0x7c000000, v15
	v_bfe_u32 v50, v15, 24, 2
	v_cmp_ne_u32_e32 vcc, s37, v9
                                        ; implicit-def: $vgpr9
	s_and_saveexec_b64 s[70:71], vcc
	s_xor_b64 s[70:71], exec, s[70:71]
	s_cbranch_execz .LBB4_2265
; %bb.2264:                             ;   in Loop: Header=BB4_772 Depth=4
	v_ffbh_u32_e32 v32, v50
	v_min_u32_e32 v51, 32, v32
	v_subrev_u32_e32 v32, 29, v51
	v_bfe_u32 v9, v15, 26, 5
	v_lshlrev_b64 v[32:33], v32, v[12:13]
	v_sub_u32_e32 v33, 30, v51
	v_cmp_eq_u32_e32 vcc, 0, v9
	v_cndmask_b32_e32 v9, v9, v33, vcc
	v_bfrev_b32_e32 v33, 28
	v_and_b32_e32 v32, 3, v32
	v_lshl_add_u32 v9, v9, 23, v33
	v_cndmask_b32_e32 v32, v50, v32, vcc
	v_and_or_b32 v9, v15, s96, v9
	v_lshl_or_b32 v9, v32, 21, v9
                                        ; implicit-def: $vgpr50
.LBB4_2265:                             ;   in Loop: Header=BB4_772 Depth=4
	s_andn2_saveexec_b64 s[70:71], s[70:71]
; %bb.2266:                             ;   in Loop: Header=BB4_772 Depth=4
	v_cmp_lt_i64_e32 vcc, -1, v[14:15]
	v_cndmask_b32_e32 v9, v6, v1, vcc
	v_cmp_eq_u32_e32 vcc, 0, v50
	v_mov_b32_e32 v32, 0x7f800001
	v_cndmask_b32_e32 v9, v32, v9, vcc
; %bb.2267:                             ;   in Loop: Header=BB4_772 Depth=4
	s_or_b64 exec, exec, s[70:71]
.LBB4_2268:                             ;   in Loop: Header=BB4_772 Depth=4
	s_or_b64 exec, exec, s[68:69]
.LBB4_2269:                             ;   in Loop: Header=BB4_772 Depth=4
	s_or_b64 exec, exec, s[30:31]
	v_cmp_lt_u64_e32 vcc, s[42:43], v[10:11]
	s_and_saveexec_b64 s[30:31], vcc
	s_cbranch_execz .LBB4_2277
; %bb.2270:                             ;   in Loop: Header=BB4_772 Depth=4
	v_cmp_ne_u32_e32 vcc, s97, v8
	v_bfrev_b32_e32 v17, 1
	s_and_saveexec_b64 s[68:69], vcc
	s_cbranch_execz .LBB4_2276
; %bb.2271:                             ;   in Loop: Header=BB4_772 Depth=4
	v_and_b32_e32 v17, 0x7c000000, v11
	v_bfe_u32 v50, v11, 24, 2
	v_cmp_ne_u32_e32 vcc, s37, v17
                                        ; implicit-def: $vgpr17
	s_and_saveexec_b64 s[70:71], vcc
	s_xor_b64 s[70:71], exec, s[70:71]
	s_cbranch_execz .LBB4_2273
; %bb.2272:                             ;   in Loop: Header=BB4_772 Depth=4
	v_ffbh_u32_e32 v32, v50
	v_min_u32_e32 v51, 32, v32
	v_subrev_u32_e32 v32, 29, v51
	v_bfe_u32 v17, v11, 26, 5
	v_lshlrev_b64 v[32:33], v32, v[8:9]
	v_sub_u32_e32 v33, 30, v51
	v_cmp_eq_u32_e32 vcc, 0, v17
	v_cndmask_b32_e32 v17, v17, v33, vcc
	v_bfrev_b32_e32 v33, 28
	v_and_b32_e32 v32, 3, v32
	v_lshl_add_u32 v17, v17, 23, v33
	v_cndmask_b32_e32 v32, v50, v32, vcc
	v_and_or_b32 v17, v11, s96, v17
	v_lshl_or_b32 v17, v32, 21, v17
                                        ; implicit-def: $vgpr50
.LBB4_2273:                             ;   in Loop: Header=BB4_772 Depth=4
	s_andn2_saveexec_b64 s[70:71], s[70:71]
; %bb.2274:                             ;   in Loop: Header=BB4_772 Depth=4
	v_cmp_lt_i64_e32 vcc, -1, v[10:11]
	v_cndmask_b32_e32 v17, v6, v1, vcc
	v_cmp_eq_u32_e32 vcc, 0, v50
	v_mov_b32_e32 v32, 0x7f800001
	v_cndmask_b32_e32 v17, v32, v17, vcc
; %bb.2275:                             ;   in Loop: Header=BB4_772 Depth=4
	s_or_b64 exec, exec, s[70:71]
.LBB4_2276:                             ;   in Loop: Header=BB4_772 Depth=4
	s_or_b64 exec, exec, s[68:69]
.LBB4_2277:                             ;   in Loop: Header=BB4_772 Depth=4
	s_or_b64 exec, exec, s[30:31]
	v_max_f32_e32 v17, v17, v17
	v_max_f32_e32 v9, v9, v9
	;; [unrolled: 1-line block ×3, first 2 shown]
	s_branch .LBB4_2296
.LBB4_2278:                             ;   in Loop: Header=BB4_772 Depth=4
                                        ; implicit-def: $vgpr9
	s_cbranch_execz .LBB4_2296
; %bb.2279:                             ;   in Loop: Header=BB4_772 Depth=4
	v_mov_b32_e32 v17, 0
	v_mov_b32_e32 v9, 0
	s_and_saveexec_b64 s[30:31], s[28:29]
	s_cbranch_execz .LBB4_2287
; %bb.2280:                             ;   in Loop: Header=BB4_772 Depth=4
	v_cmp_ne_u32_e32 vcc, s97, v12
	v_bfrev_b32_e32 v9, 1
	s_and_saveexec_b64 s[28:29], vcc
	s_cbranch_execz .LBB4_2286
; %bb.2281:                             ;   in Loop: Header=BB4_772 Depth=4
	v_and_b32_e32 v9, 0x7c000000, v15
	v_bfe_u32 v42, v15, 24, 2
	v_cmp_ne_u32_e32 vcc, s37, v9
                                        ; implicit-def: $vgpr9
	s_and_saveexec_b64 s[68:69], vcc
	s_xor_b64 s[68:69], exec, s[68:69]
	s_cbranch_execz .LBB4_2283
; %bb.2282:                             ;   in Loop: Header=BB4_772 Depth=4
	v_ffbh_u32_e32 v14, v42
	v_min_u32_e32 v14, 32, v14
	v_subrev_u32_e32 v32, 29, v14
	v_bfe_u32 v9, v15, 26, 5
	v_lshlrev_b64 v[32:33], v32, v[12:13]
	v_sub_u32_e32 v12, 30, v14
	v_and_b32_e32 v14, 3, v32
	v_cmp_eq_u32_e32 vcc, 0, v9
	v_cndmask_b32_e32 v9, v9, v12, vcc
	v_cndmask_b32_e32 v12, v42, v14, vcc
	v_bfrev_b32_e32 v14, 28
	v_lshl_add_u32 v9, v9, 23, v14
	v_and_or_b32 v9, v15, s96, v9
	v_lshl_or_b32 v9, v12, 21, v9
                                        ; implicit-def: $vgpr42
                                        ; implicit-def: $vgpr14_vgpr15
.LBB4_2283:                             ;   in Loop: Header=BB4_772 Depth=4
	s_andn2_saveexec_b64 s[68:69], s[68:69]
; %bb.2284:                             ;   in Loop: Header=BB4_772 Depth=4
	v_cmp_lt_i64_e32 vcc, -1, v[14:15]
	v_cndmask_b32_e32 v9, v6, v1, vcc
	v_cmp_eq_u32_e32 vcc, 0, v42
	v_mov_b32_e32 v12, 0x7f800001
	v_cndmask_b32_e32 v9, v12, v9, vcc
; %bb.2285:                             ;   in Loop: Header=BB4_772 Depth=4
	s_or_b64 exec, exec, s[68:69]
.LBB4_2286:                             ;   in Loop: Header=BB4_772 Depth=4
	s_or_b64 exec, exec, s[28:29]
.LBB4_2287:                             ;   in Loop: Header=BB4_772 Depth=4
	s_or_b64 exec, exec, s[30:31]
	v_cmp_lt_u64_e32 vcc, s[42:43], v[10:11]
	s_and_saveexec_b64 s[28:29], vcc
	s_cbranch_execz .LBB4_2295
; %bb.2288:                             ;   in Loop: Header=BB4_772 Depth=4
	v_cmp_ne_u32_e32 vcc, s97, v8
	v_bfrev_b32_e32 v17, 1
	s_and_saveexec_b64 s[30:31], vcc
	s_cbranch_execz .LBB4_2294
; %bb.2289:                             ;   in Loop: Header=BB4_772 Depth=4
	v_and_b32_e32 v14, 0x7c000000, v11
	v_bfe_u32 v12, v11, 24, 2
	v_cmp_ne_u32_e32 vcc, s37, v14
                                        ; implicit-def: $vgpr17
	s_and_saveexec_b64 s[68:69], vcc
	s_xor_b64 s[68:69], exec, s[68:69]
	s_cbranch_execz .LBB4_2291
; %bb.2290:                             ;   in Loop: Header=BB4_772 Depth=4
	v_ffbh_u32_e32 v14, v12
	v_min_u32_e32 v17, 32, v14
	v_subrev_u32_e32 v14, 29, v17
	v_bfe_u32 v10, v11, 26, 5
	v_lshlrev_b64 v[14:15], v14, v[8:9]
	v_sub_u32_e32 v8, 30, v17
	v_and_b32_e32 v14, 3, v14
	v_cmp_eq_u32_e32 vcc, 0, v10
	v_cndmask_b32_e32 v8, v10, v8, vcc
	v_cndmask_b32_e32 v10, v12, v14, vcc
	v_bfrev_b32_e32 v12, 28
	v_lshl_add_u32 v8, v8, 23, v12
	v_and_or_b32 v8, v11, s96, v8
	v_lshl_or_b32 v17, v10, 21, v8
                                        ; implicit-def: $vgpr12
                                        ; implicit-def: $vgpr10_vgpr11
.LBB4_2291:                             ;   in Loop: Header=BB4_772 Depth=4
	s_andn2_saveexec_b64 s[68:69], s[68:69]
; %bb.2292:                             ;   in Loop: Header=BB4_772 Depth=4
	v_cmp_lt_i64_e32 vcc, -1, v[10:11]
	v_cndmask_b32_e32 v8, v6, v1, vcc
	v_cmp_eq_u32_e32 vcc, 0, v12
	v_mov_b32_e32 v10, 0x7f800001
	v_cndmask_b32_e32 v17, v10, v8, vcc
; %bb.2293:                             ;   in Loop: Header=BB4_772 Depth=4
	s_or_b64 exec, exec, s[68:69]
.LBB4_2294:                             ;   in Loop: Header=BB4_772 Depth=4
	s_or_b64 exec, exec, s[30:31]
.LBB4_2295:                             ;   in Loop: Header=BB4_772 Depth=4
	s_or_b64 exec, exec, s[28:29]
	v_max_f32_e32 v8, v17, v17
	v_max_f32_e32 v9, v9, v9
	v_min_f32_e32 v9, v9, v8
.LBB4_2296:                             ;   in Loop: Header=BB4_772 Depth=4
	v_and_b32_sdwa v10, v9, s97 dst_sel:DWORD dst_unused:UNUSED_PAD src0_sel:BYTE_3 src1_sel:DWORD
	v_and_b32_e32 v14, 0x7f800000, v9
	v_mov_b32_e32 v15, v43
	v_and_b32_e32 v42, 0x7fffff, v9
	v_or_b32_e32 v8, 0x7b, v10
	v_cmp_ne_u64_e32 vcc, s[52:53], v[14:15]
	s_and_saveexec_b64 s[28:29], vcc
	s_xor_b64 s[30:31], exec, s[28:29]
	s_cbranch_execz .LBB4_2306
; %bb.2297:                             ;   in Loop: Header=BB4_772 Depth=4
	v_and_b32_e32 v14, 0x7fffffff, v9
	v_mov_b32_e32 v15, v43
	v_cmp_gt_u64_e32 vcc, s[54:55], v[14:15]
	s_and_saveexec_b64 s[68:69], vcc
	s_cbranch_execz .LBB4_2305
; %bb.2298:                             ;   in Loop: Header=BB4_772 Depth=4
	v_cmp_ne_u32_e32 vcc, 0, v9
	v_mov_b32_e32 v8, 0
	s_and_saveexec_b64 s[70:71], vcc
	s_cbranch_execz .LBB4_2304
; %bb.2299:                             ;   in Loop: Header=BB4_772 Depth=4
	v_bfe_u32 v8, v9, 23, 8
	v_sub_u32_e32 v11, 0x71, v8
	v_cmp_gt_u32_e32 vcc, s38, v8
	v_add_u32_e32 v9, 0xffffff81, v8
	v_cndmask_b32_e32 v11, 0, v11, vcc
	v_cmp_eq_u32_e32 vcc, 0, v8
	v_mov_b32_e32 v8, 0xffffff82
	v_cndmask_b32_e32 v14, v9, v8, vcc
	v_mov_b32_e32 v8, 0x70
	v_or_b32_e32 v12, 0x800000, v42
	v_cndmask_b32_e32 v11, v11, v8, vcc
	v_cndmask_b32_e32 v42, v12, v42, vcc
	v_add_u32_e32 v8, 21, v11
	v_lshlrev_b64 v[8:9], v8, -1
	v_add_u32_e32 v12, 20, v11
	v_lshrrev_b64 v[50:51], v11, v[42:43]
	v_not_b32_e32 v9, v9
	v_not_b32_e32 v8, v8
	v_lshlrev_b64 v[32:33], v12, 1
	v_lshrrev_b32_e32 v12, 23, v50
	v_and_b32_e32 v9, 0, v9
	v_and_b32_e32 v8, v42, v8
	v_add3_u32 v14, v11, v14, v12
	v_bfe_u32 v11, v50, 21, 1
	v_add_u32_e32 v11, -1, v11
	v_cmp_eq_u64_e32 vcc, v[8:9], v[32:33]
	v_cndmask_b32_e32 v8, 0, v11, vcc
	v_add_u32_e32 v8, v8, v50
	v_and_b32_e32 v8, 0x1fffff, v8
	v_add_co_u32_e32 v8, vcc, v8, v50
	v_add_u32_e32 v12, 14, v14
	v_addc_co_u32_e32 v9, vcc, 0, v51, vcc
	v_cmp_ne_u32_e32 vcc, 0, v12
                                        ; implicit-def: $vgpr11
	s_and_saveexec_b64 s[28:29], vcc
	s_xor_b64 s[28:29], exec, s[28:29]
; %bb.2300:                             ;   in Loop: Header=BB4_772 Depth=4
	v_add_u32_e32 v11, 15, v14
	v_cmp_lt_u64_e32 vcc, s[56:57], v[8:9]
	v_cndmask_b32_e32 v11, v12, v11, vcc
	v_cndmask_b32_e64 v12, 0, 1, vcc
	v_lshrrev_b64 v[8:9], v12, v[8:9]
; %bb.2301:                             ;   in Loop: Header=BB4_772 Depth=4
	s_andn2_saveexec_b64 s[28:29], s[28:29]
; %bb.2302:                             ;   in Loop: Header=BB4_772 Depth=4
	v_bfe_u32 v11, v8, 23, 1
; %bb.2303:                             ;   in Loop: Header=BB4_772 Depth=4
	s_or_b64 exec, exec, s[28:29]
	v_lshrrev_b64 v[8:9], 21, v[8:9]
	v_cmp_gt_i32_e32 vcc, 32, v11
	v_cndmask_b32_e32 v9, 0, v9, vcc
	v_cndmask_b32_e32 v8, 3, v8, vcc
	v_cmp_eq_u64_e64 s[28:29], 0, v[8:9]
	v_min_i32_e32 v9, 31, v11
	v_lshlrev_b32_e32 v9, 2, v9
	v_cmp_eq_u32_e32 vcc, 0, v11
	v_and_b32_e32 v9, 0xfc, v9
	v_and_or_b32 v8, v8, 3, v9
	s_and_b64 s[28:29], vcc, s[28:29]
	v_cndmask_b32_e64 v8, v8, 0, s[28:29]
	v_or_b32_e32 v8, v8, v10
.LBB4_2304:                             ;   in Loop: Header=BB4_772 Depth=4
	s_or_b64 exec, exec, s[70:71]
.LBB4_2305:                             ;   in Loop: Header=BB4_772 Depth=4
	s_or_b64 exec, exec, s[68:69]
                                        ; implicit-def: $vgpr9
.LBB4_2306:                             ;   in Loop: Header=BB4_772 Depth=4
	s_andn2_saveexec_b64 s[28:29], s[30:31]
	s_cbranch_execz .LBB4_771
; %bb.2307:                             ;   in Loop: Header=BB4_772 Depth=4
	v_or_b32_sdwa v9, v9, s39 dst_sel:DWORD dst_unused:UNUSED_PAD src0_sel:BYTE_3 src1_sel:DWORD
	v_cmp_eq_u64_e32 vcc, 0, v[42:43]
	v_cndmask_b32_e32 v8, v9, v8, vcc
	s_branch .LBB4_771
.LBB4_2308:                             ;   in Loop: Header=BB4_274 Depth=3
	s_or_b64 exec, exec, s[68:69]
	v_accvgpr_read_b32 v58, a33
	v_accvgpr_read_b32 v55, a34
.LBB4_2309:                             ;   in Loop: Header=BB4_274 Depth=3
	s_or_b64 exec, exec, s[34:35]
	v_lshlrev_b32_e32 v4, 9, v60
	v_cmp_ne_u32_e32 vcc, v7, v4
	s_and_saveexec_b64 s[66:67], vcc
	s_cbranch_execz .LBB4_2365
; %bb.2310:                             ;   in Loop: Header=BB4_274 Depth=3
	v_add_u32_e32 v5, v30, v50
	v_and_b32_e32 v5, 0xffffffc0, v5
	v_sub_u32_e32 v5, v30, v5
	v_lshlrev_b32_e32 v3, 6, v3
	v_sub_u32_e32 v3, v5, v3
	v_add_u32_e32 v4, v4, v3
	v_sub_u32_e32 v3, v7, v4
	v_cmp_lt_i32_e32 vcc, 0, v3
	s_and_b64 exec, exec, vcc
	s_cbranch_execz .LBB4_2365
; %bb.2311:                             ;   in Loop: Header=BB4_274 Depth=3
	s_trap 2
	ds_read_b128 v[8:11], v0
	v_add_u32_e32 v0, v4, v0
	ds_read_b64 v[12:13], v0
	v_ashrrev_i32_e32 v7, 31, v0
	s_bitcmp1_b32 s76, 0
	s_waitcnt lgkmcnt(0)
	v_add_co_u32_e32 v4, vcc, v8, v0
	v_addc_co_u32_e32 v5, vcc, v9, v7, vcc
	v_add_co_u32_e32 v8, vcc, v10, v0
	v_addc_co_u32_e32 v9, vcc, v11, v7, vcc
	;; [unrolled: 2-line block ×3, first 2 shown]
	s_mov_b64 s[68:69], 0
	s_cselect_b64 s[70:71], -1, 0
	s_branch .LBB4_2313
.LBB4_2312:                             ;   in Loop: Header=BB4_2313 Depth=4
	s_or_b64 exec, exec, s[28:29]
	v_accvgpr_read_b32 v0, a36
	flat_store_byte v[10:11], v7 glc slc
	v_add_co_u32_e32 v4, vcc, v4, v0
	v_accvgpr_read_b32 v7, a37
	v_addc_co_u32_e32 v5, vcc, v5, v7, vcc
	v_add_co_u32_e32 v8, vcc, v8, v0
	v_addc_co_u32_e32 v9, vcc, v9, v7, vcc
	v_sub_u32_e32 v3, v3, v41
	v_cmp_gt_i32_e32 vcc, 1, v3
	s_or_b64 s[68:69], vcc, s[68:69]
	v_add_co_u32_e32 v10, vcc, v10, v0
	v_addc_co_u32_e32 v11, vcc, v11, v7, vcc
	s_andn2_b64 exec, exec, s[68:69]
	s_cbranch_execz .LBB4_2365
.LBB4_2313:                             ;   Parent Loop BB4_47 Depth=1
                                        ;     Parent Loop BB4_271 Depth=2
                                        ;       Parent Loop BB4_274 Depth=3
                                        ; =>      This Inner Loop Header: Depth=4
	flat_load_ubyte v13, v[4:5] glc slc
	flat_load_ubyte v0, v[8:9] glc slc
	v_mov_b32_e32 v7, -1
	s_and_b64 vcc, exec, s[70:71]
	s_waitcnt vmcnt(0) lgkmcnt(0)
	v_bfe_i32 v12, v13, 0, 8
	v_lshlrev_b32_e32 v14, 24, v0
	v_cmp_gt_i16_sdwa s[34:35], sext(v0), v7 src0_sel:BYTE_0 src1_sel:DWORD
	v_cmp_ne_u16_e64 s[30:31], 0, v0
	v_and_b32_e32 v42, 0xffff, v0
	v_cmp_ne_u16_e64 s[28:29], s97, v0
	v_cndmask_b32_e64 v7, v6, v1, s[34:35]
	v_and_b32_e32 v15, 0xffff, v13
	v_cmp_ne_u16_e64 s[34:35], 0, v13
	v_and_b32_e32 v14, 0x80000000, v14
	s_cbranch_vccz .LBB4_2331
; %bb.2314:                             ;   in Loop: Header=BB4_2313 Depth=4
	v_mov_b32_e32 v16, 0
	v_mov_b32_e32 v13, 0
	s_and_saveexec_b64 s[72:73], s[34:35]
	s_cbranch_execz .LBB4_2322
; %bb.2315:                             ;   in Loop: Header=BB4_2313 Depth=4
	v_cmp_ne_u16_e32 vcc, s94, v12
	v_bfrev_b32_e32 v13, 1
	s_and_saveexec_b64 s[74:75], vcc
	s_cbranch_execz .LBB4_2321
; %bb.2316:                             ;   in Loop: Header=BB4_2313 Depth=4
	v_and_b32_e32 v13, 0x7c, v15
	v_and_b32_e32 v17, 3, v15
	v_cmp_ne_u32_e32 vcc, s95, v13
                                        ; implicit-def: $vgpr13
	s_and_saveexec_b64 s[26:27], vcc
	s_xor_b64 s[76:77], exec, s[26:27]
	s_cbranch_execz .LBB4_2318
; %bb.2317:                             ;   in Loop: Header=BB4_2313 Depth=4
	v_ffbh_u32_e32 v18, v17
	v_min_u32_e32 v22, 32, v18
	v_mov_b32_e32 v13, v43
	v_subrev_u32_e32 v18, 29, v22
	v_bfe_u32 v20, v15, 2, 5
	v_lshlrev_b64 v[18:19], v18, v[12:13]
	v_sub_u32_e32 v13, 30, v22
	v_and_b32_e32 v18, 3, v18
	v_cmp_eq_u32_e32 vcc, 0, v20
	v_cndmask_b32_e32 v13, v20, v13, vcc
	v_cndmask_b32_e32 v17, v17, v18, vcc
	v_bfrev_b32_e32 v18, 28
	v_bfe_i32 v21, v12, 0, 16
	v_lshl_add_u32 v13, v13, 23, v18
	v_and_or_b32 v13, v21, s96, v13
	v_lshl_or_b32 v13, v17, 21, v13
                                        ; implicit-def: $vgpr17
.LBB4_2318:                             ;   in Loop: Header=BB4_2313 Depth=4
	s_andn2_saveexec_b64 s[76:77], s[76:77]
; %bb.2319:                             ;   in Loop: Header=BB4_2313 Depth=4
	v_cmp_lt_i16_e32 vcc, -1, v12
	v_cndmask_b32_e32 v13, v6, v1, vcc
	v_cmp_eq_u32_e32 vcc, 0, v17
	v_mov_b32_e32 v17, 0x7f800001
	v_cndmask_b32_e32 v13, v17, v13, vcc
; %bb.2320:                             ;   in Loop: Header=BB4_2313 Depth=4
	s_or_b64 exec, exec, s[76:77]
.LBB4_2321:                             ;   in Loop: Header=BB4_2313 Depth=4
	s_or_b64 exec, exec, s[74:75]
.LBB4_2322:                             ;   in Loop: Header=BB4_2313 Depth=4
	s_or_b64 exec, exec, s[72:73]
	s_and_saveexec_b64 s[72:73], s[30:31]
	s_cbranch_execz .LBB4_2330
; %bb.2323:                             ;   in Loop: Header=BB4_2313 Depth=4
	v_bfrev_b32_e32 v16, 1
	s_and_saveexec_b64 s[74:75], s[28:29]
	s_cbranch_execz .LBB4_2329
; %bb.2324:                             ;   in Loop: Header=BB4_2313 Depth=4
	v_mov_b32_e32 v16, 3
	v_and_b32_sdwa v17, sext(v0), v16 dst_sel:DWORD dst_unused:UNUSED_PAD src0_sel:BYTE_0 src1_sel:DWORD
	v_and_b32_sdwa v16, sext(v0), s95 dst_sel:DWORD dst_unused:UNUSED_PAD src0_sel:BYTE_0 src1_sel:DWORD
	v_cmp_ne_u32_e32 vcc, s95, v16
                                        ; implicit-def: $vgpr16
	s_and_saveexec_b64 s[26:27], vcc
	s_xor_b64 s[76:77], exec, s[26:27]
	s_cbranch_execz .LBB4_2326
; %bb.2325:                             ;   in Loop: Header=BB4_2313 Depth=4
	v_ffbh_u32_e32 v18, v17
	v_min_u32_e32 v20, 32, v18
	v_and_b32_sdwa v16, sext(v0), s93 dst_sel:DWORD dst_unused:UNUSED_PAD src0_sel:BYTE_0 src1_sel:DWORD
	v_subrev_u32_e32 v18, 29, v20
	v_bfe_u32 v16, v16, 2, 5
	v_lshlrev_b64 v[18:19], v18, v[42:43]
	v_and_b32_e32 v18, 3, v18
	v_cmp_eq_u32_e32 vcc, 0, v16
	v_sub_u32_e32 v19, 30, v20
	v_cndmask_b32_e32 v17, v17, v18, vcc
	v_cndmask_b32_e32 v16, v16, v19, vcc
	v_lshlrev_b32_e32 v17, 21, v17
	v_lshl_or_b32 v16, v16, 23, v17
	v_add_u32_e32 v16, 0x38000000, v16
	v_or_b32_e32 v16, v16, v14
                                        ; implicit-def: $vgpr17
.LBB4_2326:                             ;   in Loop: Header=BB4_2313 Depth=4
	s_andn2_saveexec_b64 s[76:77], s[76:77]
; %bb.2327:                             ;   in Loop: Header=BB4_2313 Depth=4
	v_cmp_eq_u32_e32 vcc, 0, v17
	v_mov_b32_e32 v16, 0x7f800001
	v_cndmask_b32_e32 v16, v16, v7, vcc
; %bb.2328:                             ;   in Loop: Header=BB4_2313 Depth=4
	s_or_b64 exec, exec, s[76:77]
.LBB4_2329:                             ;   in Loop: Header=BB4_2313 Depth=4
	s_or_b64 exec, exec, s[74:75]
.LBB4_2330:                             ;   in Loop: Header=BB4_2313 Depth=4
	s_or_b64 exec, exec, s[72:73]
	v_max_f32_e32 v16, v16, v16
	v_max_f32_e32 v13, v13, v13
	;; [unrolled: 1-line block ×3, first 2 shown]
	s_branch .LBB4_2349
.LBB4_2331:                             ;   in Loop: Header=BB4_2313 Depth=4
                                        ; implicit-def: $vgpr13
	s_cbranch_execz .LBB4_2349
; %bb.2332:                             ;   in Loop: Header=BB4_2313 Depth=4
	v_mov_b32_e32 v16, 0
	v_mov_b32_e32 v13, 0
	s_and_saveexec_b64 s[72:73], s[34:35]
	s_cbranch_execz .LBB4_2340
; %bb.2333:                             ;   in Loop: Header=BB4_2313 Depth=4
	v_cmp_ne_u16_e32 vcc, s94, v12
	v_bfrev_b32_e32 v13, 1
	s_and_saveexec_b64 s[34:35], vcc
	s_cbranch_execz .LBB4_2339
; %bb.2334:                             ;   in Loop: Header=BB4_2313 Depth=4
	v_and_b32_e32 v13, 0x7c, v15
	v_and_b32_e32 v17, 3, v15
	v_cmp_ne_u32_e32 vcc, s95, v13
                                        ; implicit-def: $vgpr13
	s_and_saveexec_b64 s[26:27], vcc
	s_xor_b64 s[74:75], exec, s[26:27]
	s_cbranch_execz .LBB4_2336
; %bb.2335:                             ;   in Loop: Header=BB4_2313 Depth=4
	v_ffbh_u32_e32 v19, v17
	v_min_u32_e32 v19, 32, v19
	v_mov_b32_e32 v13, v43
	v_subrev_u32_e32 v20, 29, v19
	v_bfe_u32 v15, v15, 2, 5
	v_bfe_i32 v18, v12, 0, 16
	v_lshlrev_b64 v[12:13], v20, v[12:13]
	v_sub_u32_e32 v13, 30, v19
	v_cmp_eq_u32_e32 vcc, 0, v15
	v_cndmask_b32_e32 v13, v15, v13, vcc
	v_bfrev_b32_e32 v15, 28
	v_and_b32_e32 v12, 3, v12
	v_lshl_add_u32 v13, v13, 23, v15
	v_cndmask_b32_e32 v12, v17, v12, vcc
	v_and_or_b32 v13, v18, s96, v13
	v_lshl_or_b32 v13, v12, 21, v13
                                        ; implicit-def: $vgpr17
                                        ; implicit-def: $vgpr12
.LBB4_2336:                             ;   in Loop: Header=BB4_2313 Depth=4
	s_andn2_saveexec_b64 s[74:75], s[74:75]
; %bb.2337:                             ;   in Loop: Header=BB4_2313 Depth=4
	v_cmp_lt_i16_e32 vcc, -1, v12
	v_cndmask_b32_e32 v12, v6, v1, vcc
	v_cmp_eq_u32_e32 vcc, 0, v17
	v_mov_b32_e32 v13, 0x7f800001
	v_cndmask_b32_e32 v13, v13, v12, vcc
; %bb.2338:                             ;   in Loop: Header=BB4_2313 Depth=4
	s_or_b64 exec, exec, s[74:75]
.LBB4_2339:                             ;   in Loop: Header=BB4_2313 Depth=4
	s_or_b64 exec, exec, s[34:35]
.LBB4_2340:                             ;   in Loop: Header=BB4_2313 Depth=4
	s_or_b64 exec, exec, s[72:73]
	s_and_saveexec_b64 s[34:35], s[30:31]
	s_cbranch_execz .LBB4_2348
; %bb.2341:                             ;   in Loop: Header=BB4_2313 Depth=4
	v_bfrev_b32_e32 v16, 1
	s_and_saveexec_b64 s[30:31], s[28:29]
	s_cbranch_execz .LBB4_2347
; %bb.2342:                             ;   in Loop: Header=BB4_2313 Depth=4
	v_mov_b32_e32 v12, 3
	v_and_b32_sdwa v15, sext(v0), s95 dst_sel:DWORD dst_unused:UNUSED_PAD src0_sel:BYTE_0 src1_sel:DWORD
	v_and_b32_sdwa v12, sext(v0), v12 dst_sel:DWORD dst_unused:UNUSED_PAD src0_sel:BYTE_0 src1_sel:DWORD
	v_cmp_ne_u32_e32 vcc, s95, v15
                                        ; implicit-def: $vgpr16
	s_and_saveexec_b64 s[26:27], vcc
	s_xor_b64 s[28:29], exec, s[26:27]
	s_cbranch_execz .LBB4_2344
; %bb.2343:                             ;   in Loop: Header=BB4_2313 Depth=4
	v_ffbh_u32_e32 v7, v12
	v_min_u32_e32 v7, 32, v7
	v_and_b32_sdwa v0, sext(v0), s93 dst_sel:DWORD dst_unused:UNUSED_PAD src0_sel:BYTE_0 src1_sel:DWORD
	v_subrev_u32_e32 v15, 29, v7
	v_bfe_u32 v0, v0, 2, 5
	v_lshlrev_b64 v[16:17], v15, v[42:43]
	v_sub_u32_e32 v7, 30, v7
	v_and_b32_e32 v15, 3, v16
	v_cmp_eq_u32_e32 vcc, 0, v0
	v_cndmask_b32_e32 v0, v0, v7, vcc
	v_cndmask_b32_e32 v7, v12, v15, vcc
	v_lshlrev_b32_e32 v7, 21, v7
	v_lshl_or_b32 v0, v0, 23, v7
	v_add_u32_e32 v0, 0x38000000, v0
	v_or_b32_e32 v16, v0, v14
                                        ; implicit-def: $vgpr12
                                        ; implicit-def: $vgpr7
.LBB4_2344:                             ;   in Loop: Header=BB4_2313 Depth=4
	s_andn2_saveexec_b64 s[28:29], s[28:29]
; %bb.2345:                             ;   in Loop: Header=BB4_2313 Depth=4
	v_cmp_eq_u32_e32 vcc, 0, v12
	v_mov_b32_e32 v0, 0x7f800001
	v_cndmask_b32_e32 v16, v0, v7, vcc
; %bb.2346:                             ;   in Loop: Header=BB4_2313 Depth=4
	s_or_b64 exec, exec, s[28:29]
.LBB4_2347:                             ;   in Loop: Header=BB4_2313 Depth=4
	s_or_b64 exec, exec, s[30:31]
.LBB4_2348:                             ;   in Loop: Header=BB4_2313 Depth=4
	s_or_b64 exec, exec, s[34:35]
	v_max_f32_e32 v0, v16, v16
	v_max_f32_e32 v7, v13, v13
	v_min_f32_e32 v13, v7, v0
.LBB4_2349:                             ;   in Loop: Header=BB4_2313 Depth=4
	v_and_b32_sdwa v0, v13, s97 dst_sel:DWORD dst_unused:UNUSED_PAD src0_sel:BYTE_3 src1_sel:DWORD
	v_and_b32_e32 v14, 0x7f800000, v13
	v_mov_b32_e32 v15, v43
	v_and_b32_e32 v42, 0x7fffff, v13
	v_or_b32_e32 v7, 0x7b, v0
	v_cmp_ne_u64_e32 vcc, s[52:53], v[14:15]
	s_and_saveexec_b64 s[26:27], vcc
	s_xor_b64 s[30:31], exec, s[26:27]
	s_cbranch_execz .LBB4_2363
; %bb.2350:                             ;   in Loop: Header=BB4_2313 Depth=4
	v_and_b32_e32 v14, 0x7fffffff, v13
	v_mov_b32_e32 v15, v43
	v_cmp_gt_u64_e32 vcc, s[54:55], v[14:15]
	s_and_saveexec_b64 s[26:27], vcc
	s_xor_b64 s[34:35], exec, s[26:27]
	s_cbranch_execz .LBB4_2362
; %bb.2351:                             ;   in Loop: Header=BB4_2313 Depth=4
	v_cmp_ne_u32_e32 vcc, 0, v13
	v_mov_b32_e32 v7, 0
	s_and_saveexec_b64 s[72:73], vcc
	s_cbranch_execz .LBB4_2361
; %bb.2352:                             ;   in Loop: Header=BB4_2313 Depth=4
	v_bfe_u32 v7, v13, 23, 8
	v_cmp_eq_u32_e32 vcc, 0, v7
	v_add_u32_e32 v12, 0xffffff81, v7
	v_cmp_gt_u32_e64 s[28:29], s38, v7
	v_sub_u32_e32 v7, 0x71, v7
	v_mov_b32_e32 v14, 0xffffff82
	v_cndmask_b32_e64 v7, 0, v7, s[28:29]
	v_cndmask_b32_e32 v16, v12, v14, vcc
	v_mov_b32_e32 v12, 0x70
	v_cndmask_b32_e32 v7, v7, v12, vcc
	v_or_b32_e32 v13, 0x800000, v42
	v_add_u32_e32 v12, 21, v7
	v_cndmask_b32_e32 v42, v13, v42, vcc
	v_lshlrev_b64 v[12:13], v12, -1
	v_not_b32_e32 v13, v13
	v_not_b32_e32 v12, v12
	v_add_u32_e32 v14, 20, v7
	v_and_b32_e32 v13, 0, v13
	v_and_b32_e32 v12, v42, v12
	v_lshlrev_b64 v[14:15], v14, 1
	v_cmp_eq_u64_e32 vcc, v[12:13], v[14:15]
	v_lshrrev_b64 v[12:13], v7, v[42:43]
	v_lshrrev_b32_e32 v14, 23, v12
	v_add3_u32 v15, v7, v16, v14
	v_bfe_u32 v14, v12, 21, 1
	v_add_u32_e32 v14, -1, v14
	v_cndmask_b32_e32 v14, 0, v14, vcc
	v_add_u32_e32 v14, v14, v12
	v_and_b32_e32 v14, 0x1fffff, v14
	v_add_co_u32_e32 v12, vcc, v14, v12
	v_add_u32_e32 v7, 14, v15
	v_addc_co_u32_e32 v13, vcc, 0, v13, vcc
	v_cmp_ne_u32_e32 vcc, 0, v7
                                        ; implicit-def: $vgpr14
	s_and_saveexec_b64 s[26:27], vcc
	s_xor_b64 s[28:29], exec, s[26:27]
; %bb.2353:                             ;   in Loop: Header=BB4_2313 Depth=4
	v_add_u32_e32 v14, 15, v15
	v_cmp_lt_u64_e32 vcc, s[56:57], v[12:13]
	v_cndmask_b32_e32 v14, v7, v14, vcc
	v_cndmask_b32_e64 v7, 0, 1, vcc
	v_lshrrev_b64 v[12:13], v7, v[12:13]
; %bb.2354:                             ;   in Loop: Header=BB4_2313 Depth=4
	s_andn2_saveexec_b64 s[28:29], s[28:29]
; %bb.2355:                             ;   in Loop: Header=BB4_2313 Depth=4
	v_bfe_u32 v14, v12, 23, 1
; %bb.2356:                             ;   in Loop: Header=BB4_2313 Depth=4
	s_or_b64 exec, exec, s[28:29]
	v_lshrrev_b64 v[12:13], 21, v[12:13]
	v_cmp_gt_i32_e32 vcc, 32, v14
	v_cndmask_b32_e32 v13, 0, v13, vcc
	v_cndmask_b32_e32 v12, 3, v12, vcc
	v_cmp_ne_u32_e32 vcc, 0, v14
	v_cmp_ne_u64_e64 s[28:29], 0, v[12:13]
	s_or_b64 s[26:27], vcc, s[28:29]
                                        ; implicit-def: $vgpr7
	s_and_saveexec_b64 s[28:29], s[26:27]
	s_xor_b64 s[28:29], exec, s[28:29]
; %bb.2357:                             ;   in Loop: Header=BB4_2313 Depth=4
	v_min_i32_e32 v7, 31, v14
	v_lshl_or_b32 v0, v7, 2, v0
	v_and_or_b32 v7, v12, 3, v0
                                        ; implicit-def: $vgpr0
; %bb.2358:                             ;   in Loop: Header=BB4_2313 Depth=4
	s_andn2_saveexec_b64 s[28:29], s[28:29]
; %bb.2359:                             ;   in Loop: Header=BB4_2313 Depth=4
	v_mov_b32_e32 v7, v0
; %bb.2360:                             ;   in Loop: Header=BB4_2313 Depth=4
	s_or_b64 exec, exec, s[28:29]
.LBB4_2361:                             ;   in Loop: Header=BB4_2313 Depth=4
	s_or_b64 exec, exec, s[72:73]
.LBB4_2362:                             ;   in Loop: Header=BB4_2313 Depth=4
	s_andn2_saveexec_b64 s[28:29], s[34:35]
	s_or_b64 exec, exec, s[28:29]
                                        ; implicit-def: $vgpr13
.LBB4_2363:                             ;   in Loop: Header=BB4_2313 Depth=4
	s_andn2_saveexec_b64 s[28:29], s[30:31]
	s_cbranch_execz .LBB4_2312
; %bb.2364:                             ;   in Loop: Header=BB4_2313 Depth=4
	v_or_b32_sdwa v0, v13, s39 dst_sel:DWORD dst_unused:UNUSED_PAD src0_sel:BYTE_3 src1_sel:DWORD
	v_cmp_eq_u64_e32 vcc, 0, v[42:43]
	v_cndmask_b32_e32 v7, v0, v7, vcc
	s_branch .LBB4_2312
.LBB4_2365:                             ;   in Loop: Header=BB4_274 Depth=3
	s_or_b64 exec, exec, s[66:67]
	s_or_b64 exec, exec, s[64:65]
	s_and_saveexec_b64 s[28:29], s[10:11]
	s_cbranch_execz .LBB4_765
	s_branch .LBB4_3145
.LBB4_2366:                             ;   in Loop: Header=BB4_274 Depth=3
	s_or_b64 exec, exec, s[64:65]
	v_accvgpr_read_b32 v41, a25
	v_accvgpr_read_b32 v3, a53
.LBB4_2367:                             ;   in Loop: Header=BB4_274 Depth=3
	s_or_b64 exec, exec, s[34:35]
	v_lshlrev_b32_e32 v3, 11, v3
	v_cmp_ne_u32_e32 vcc, v35, v3
	s_mov_b64 s[28:29], 0
	v_mov_b32_e32 v0, 0
                                        ; implicit-def: $vgpr7
                                        ; implicit-def: $vgpr30
                                        ; implicit-def: $vgpr4
	s_and_saveexec_b64 s[34:35], vcc
	s_cbranch_execz .LBB4_3143
; %bb.2368:                             ;   in Loop: Header=BB4_274 Depth=3
	v_lshlrev_b32_e32 v0, 6, v44
	v_accvgpr_read_b32 v5, a40
	v_sub_u32_e32 v0, v5, v0
	v_ashrrev_i32_e32 v5, 31, v0
	v_lshrrev_b32_e32 v5, 26, v5
	v_add_u32_e32 v5, v0, v5
	v_sub_u32_e32 v4, v35, v3
	v_ashrrev_i32_e32 v7, 6, v5
	v_and_b32_e32 v5, 0xffffffc0, v5
	v_sub_u32_e32 v26, v0, v5
	v_ashrrev_i32_e32 v5, 31, v4
	v_lshrrev_b32_e32 v5, 22, v5
	v_add_u32_e32 v5, v4, v5
	v_and_b32_e32 v27, 0xfffffc00, v5
	v_lshlrev_b32_e32 v0, 4, v26
	v_sub_u32_e32 v38, v4, v27
	v_lshl_add_u32 v0, v7, 10, v0
	v_ashrrev_i32_e32 v8, 10, v5
	v_cmp_lt_i32_e64 s[28:29], 15, v38
	v_sub_u32_e32 v39, v4, v0
	v_addc_co_u32_e64 v4, vcc, 0, v8, s[28:29]
	v_sub_u32_e32 v28, v4, v7
	v_cmp_lt_i32_e32 vcc, 15, v39
	s_and_saveexec_b64 s[64:65], vcc
	s_cbranch_execz .LBB4_3140
; %bb.2369:                             ;   in Loop: Header=BB4_274 Depth=3
	s_trap 2
	ds_read_b128 v[8:11], v0
	v_add_u32_e32 v0, v0, v3
	ds_read_b64 v[12:13], v0
	v_ashrrev_i32_e32 v7, 31, v0
	s_bitcmp1_b32 s76, 0
	s_waitcnt lgkmcnt(0)
	v_add_co_u32_e32 v4, vcc, v8, v0
	v_addc_co_u32_e32 v5, vcc, v9, v7, vcc
	v_add_co_u32_e32 v16, vcc, v10, v0
	v_addc_co_u32_e32 v17, vcc, v11, v7, vcc
	;; [unrolled: 2-line block ×3, first 2 shown]
	s_mov_b64 s[66:67], 0
	s_cselect_b64 s[68:69], -1, 0
	s_branch .LBB4_2371
.LBB4_2370:                             ;   in Loop: Header=BB4_2371 Depth=4
	s_or_b64 exec, exec, s[30:31]
	v_lshlrev_b32_e32 v9, 16, v23
	v_lshlrev_b32_e32 v0, 8, v0
	v_perm_b32 v9, v22, v9, s82
	v_perm_b32 v0, v0, v40, s9
	v_or_b32_e32 v11, v9, v0
	v_and_b32_e32 v0, 0xff, v7
	v_lshlrev_b32_e32 v9, 8, v53
	v_lshlrev_b32_e32 v7, 24, v30
	;; [unrolled: 1-line block ×3, first 2 shown]
	v_perm_b32 v9, v9, v52, s9
	v_or3_b32 v10, v7, v0, v9
	v_and_b32_e32 v0, 0xff, v55
	v_lshlrev_b32_e32 v9, 8, v25
	v_lshlrev_b32_e32 v7, 24, v36
	;; [unrolled: 1-line block ×3, first 2 shown]
	v_perm_b32 v9, v9, v24, s9
	v_or3_b32 v12, v7, v0, v9
	v_lshlrev_b32_e32 v0, 8, v13
	v_lshlrev_b32_e32 v7, 16, v20
	v_perm_b32 v0, v0, v37, s9
	v_perm_b32 v7, v8, v7, s82
	v_or_b32_e32 v13, v7, v0
	v_accvgpr_read_b32 v0, a41
	v_add_co_u32_e32 v4, vcc, v4, v0
	v_accvgpr_read_b32 v7, a42
	v_addc_co_u32_e32 v5, vcc, v5, v7, vcc
	v_add_co_u32_e32 v16, vcc, v16, v0
	v_addc_co_u32_e32 v17, vcc, v17, v7, vcc
	global_store_dwordx4 v[18:19], v[10:13], off glc slc
	v_add_co_u32_e32 v18, vcc, v18, v0
	v_accvgpr_read_b32 v0, a28
	v_addc_co_u32_e32 v19, vcc, v19, v7, vcc
	v_sub_u32_e32 v39, v39, v0
	v_cmp_gt_i32_e32 vcc, 16, v39
	s_or_b64 s[66:67], vcc, s[66:67]
	v_sub_u32_e32 v28, v28, v46
	s_andn2_b64 exec, exec, s[66:67]
	s_cbranch_execz .LBB4_3139
.LBB4_2371:                             ;   Parent Loop BB4_47 Depth=1
                                        ;     Parent Loop BB4_271 Depth=2
                                        ;       Parent Loop BB4_274 Depth=3
                                        ; =>      This Inner Loop Header: Depth=4
	global_load_dwordx4 v[12:15], v[4:5], off glc slc
	global_load_dwordx4 v[8:11], v[16:17], off glc slc
	s_and_b64 vcc, exec, s[68:69]
	s_waitcnt vmcnt(0)
	v_cmp_ne_u16_sdwa s[30:31], v12, v43 src0_sel:BYTE_0 src1_sel:DWORD
	s_cbranch_vccz .LBB4_2389
; %bb.2372:                             ;   in Loop: Header=BB4_2371 Depth=4
	v_mov_b32_e32 v7, 0
	v_mov_b32_e32 v0, 0
	s_and_saveexec_b64 s[70:71], s[30:31]
	s_cbranch_execz .LBB4_2380
; %bb.2373:                             ;   in Loop: Header=BB4_2371 Depth=4
	v_cmp_ne_u16_sdwa vcc, sext(v12), s94 src0_sel:BYTE_0 src1_sel:DWORD
	v_bfrev_b32_e32 v0, 1
	s_and_saveexec_b64 s[72:73], vcc
	s_cbranch_execz .LBB4_2379
; %bb.2374:                             ;   in Loop: Header=BB4_2371 Depth=4
	v_and_b32_e32 v0, 0x7c, v12
	v_and_b32_e32 v20, 3, v12
	v_cmp_ne_u32_e32 vcc, s95, v0
                                        ; implicit-def: $vgpr0
	s_and_saveexec_b64 s[74:75], vcc
	s_xor_b64 s[74:75], exec, s[74:75]
	s_cbranch_execz .LBB4_2376
; %bb.2375:                             ;   in Loop: Header=BB4_2371 Depth=4
	v_ffbh_u32_e32 v21, v20
	v_min_u32_e32 v21, 32, v21
	v_subrev_u32_e32 v22, 29, v21
	v_bfe_u32 v0, v12, 2, 5
	v_lshlrev_b64 v[22:23], v22, v[12:13]
	v_sub_u32_e32 v21, 30, v21
	v_and_b32_e32 v22, 3, v22
	v_cmp_eq_u32_e32 vcc, 0, v0
	v_cndmask_b32_e32 v0, v0, v21, vcc
	v_cndmask_b32_e32 v20, v20, v22, vcc
	v_bfrev_b32_e32 v22, 28
	v_lshlrev_b32_e32 v21, 24, v12
	v_lshl_add_u32 v0, v0, 23, v22
	v_and_or_b32 v0, v21, s96, v0
	v_lshl_or_b32 v0, v20, 21, v0
                                        ; implicit-def: $vgpr20
.LBB4_2376:                             ;   in Loop: Header=BB4_2371 Depth=4
	s_andn2_saveexec_b64 s[74:75], s[74:75]
; %bb.2377:                             ;   in Loop: Header=BB4_2371 Depth=4
	v_mov_b32_e32 v0, -1
	v_cmp_gt_i16_sdwa vcc, sext(v12), v0 src0_sel:BYTE_0 src1_sel:DWORD
	v_cndmask_b32_e32 v0, v6, v1, vcc
	v_cmp_eq_u32_e32 vcc, 0, v20
	v_mov_b32_e32 v20, 0x7f800001
	v_cndmask_b32_e32 v0, v20, v0, vcc
; %bb.2378:                             ;   in Loop: Header=BB4_2371 Depth=4
	s_or_b64 exec, exec, s[74:75]
.LBB4_2379:                             ;   in Loop: Header=BB4_2371 Depth=4
	s_or_b64 exec, exec, s[72:73]
.LBB4_2380:                             ;   in Loop: Header=BB4_2371 Depth=4
	s_or_b64 exec, exec, s[70:71]
	v_cmp_ne_u16_sdwa vcc, sext(v8), v43 src0_sel:BYTE_0 src1_sel:DWORD
	s_and_saveexec_b64 s[70:71], vcc
	s_cbranch_execz .LBB4_2388
; %bb.2381:                             ;   in Loop: Header=BB4_2371 Depth=4
	v_cmp_ne_u16_sdwa vcc, sext(v8), s94 src0_sel:BYTE_0 src1_sel:DWORD
	v_bfrev_b32_e32 v7, 1
	s_and_saveexec_b64 s[72:73], vcc
	s_cbranch_execz .LBB4_2387
; %bb.2382:                             ;   in Loop: Header=BB4_2371 Depth=4
	v_and_b32_e32 v7, 0x7c, v8
	v_and_b32_e32 v20, 3, v8
	v_cmp_ne_u32_e32 vcc, s95, v7
                                        ; implicit-def: $vgpr7
	s_and_saveexec_b64 s[74:75], vcc
	s_xor_b64 s[74:75], exec, s[74:75]
	s_cbranch_execz .LBB4_2384
; %bb.2383:                             ;   in Loop: Header=BB4_2371 Depth=4
	v_ffbh_u32_e32 v21, v20
	v_min_u32_e32 v21, 32, v21
	v_subrev_u32_e32 v22, 29, v21
	v_bfe_u32 v7, v8, 2, 5
	v_lshlrev_b64 v[22:23], v22, v[8:9]
	v_sub_u32_e32 v21, 30, v21
	v_and_b32_e32 v22, 3, v22
	v_cmp_eq_u32_e32 vcc, 0, v7
	v_cndmask_b32_e32 v7, v7, v21, vcc
	v_cndmask_b32_e32 v20, v20, v22, vcc
	v_bfrev_b32_e32 v22, 28
	v_lshlrev_b32_e32 v21, 24, v8
	v_lshl_add_u32 v7, v7, 23, v22
	v_and_or_b32 v7, v21, s96, v7
	v_lshl_or_b32 v7, v20, 21, v7
                                        ; implicit-def: $vgpr20
.LBB4_2384:                             ;   in Loop: Header=BB4_2371 Depth=4
	s_andn2_saveexec_b64 s[74:75], s[74:75]
; %bb.2385:                             ;   in Loop: Header=BB4_2371 Depth=4
	v_mov_b32_e32 v7, -1
	v_cmp_gt_i16_sdwa vcc, sext(v8), v7 src0_sel:BYTE_0 src1_sel:DWORD
	v_cndmask_b32_e32 v7, v6, v1, vcc
	v_cmp_eq_u32_e32 vcc, 0, v20
	v_mov_b32_e32 v20, 0x7f800001
	v_cndmask_b32_e32 v7, v20, v7, vcc
; %bb.2386:                             ;   in Loop: Header=BB4_2371 Depth=4
	s_or_b64 exec, exec, s[74:75]
.LBB4_2387:                             ;   in Loop: Header=BB4_2371 Depth=4
	s_or_b64 exec, exec, s[72:73]
.LBB4_2388:                             ;   in Loop: Header=BB4_2371 Depth=4
	s_or_b64 exec, exec, s[70:71]
	v_max_f32_e32 v7, v7, v7
	v_max_f32_e32 v0, v0, v0
	;; [unrolled: 1-line block ×3, first 2 shown]
	s_branch .LBB4_2407
.LBB4_2389:                             ;   in Loop: Header=BB4_2371 Depth=4
                                        ; implicit-def: $vgpr7
	s_cbranch_execz .LBB4_2407
; %bb.2390:                             ;   in Loop: Header=BB4_2371 Depth=4
	v_mov_b32_e32 v7, 0
	v_mov_b32_e32 v0, 0
	s_and_saveexec_b64 s[70:71], s[30:31]
	s_cbranch_execz .LBB4_2398
; %bb.2391:                             ;   in Loop: Header=BB4_2371 Depth=4
	v_cmp_ne_u16_sdwa vcc, sext(v12), s94 src0_sel:BYTE_0 src1_sel:DWORD
	v_bfrev_b32_e32 v0, 1
	s_and_saveexec_b64 s[30:31], vcc
	s_cbranch_execz .LBB4_2397
; %bb.2392:                             ;   in Loop: Header=BB4_2371 Depth=4
	v_and_b32_e32 v0, 0x7c, v12
	v_and_b32_e32 v20, 3, v12
	v_cmp_ne_u32_e32 vcc, s95, v0
                                        ; implicit-def: $vgpr0
	s_and_saveexec_b64 s[72:73], vcc
	s_xor_b64 s[72:73], exec, s[72:73]
	s_cbranch_execz .LBB4_2394
; %bb.2393:                             ;   in Loop: Header=BB4_2371 Depth=4
	v_ffbh_u32_e32 v21, v20
	v_min_u32_e32 v21, 32, v21
	v_subrev_u32_e32 v22, 29, v21
	v_bfe_u32 v0, v12, 2, 5
	v_lshlrev_b64 v[22:23], v22, v[12:13]
	v_sub_u32_e32 v21, 30, v21
	v_and_b32_e32 v22, 3, v22
	v_cmp_eq_u32_e32 vcc, 0, v0
	v_cndmask_b32_e32 v0, v0, v21, vcc
	v_cndmask_b32_e32 v20, v20, v22, vcc
	v_bfrev_b32_e32 v22, 28
	v_lshlrev_b32_e32 v21, 24, v12
	v_lshl_add_u32 v0, v0, 23, v22
	v_and_or_b32 v0, v21, s96, v0
	v_lshl_or_b32 v0, v20, 21, v0
                                        ; implicit-def: $vgpr20
.LBB4_2394:                             ;   in Loop: Header=BB4_2371 Depth=4
	s_andn2_saveexec_b64 s[72:73], s[72:73]
; %bb.2395:                             ;   in Loop: Header=BB4_2371 Depth=4
	v_mov_b32_e32 v0, -1
	v_cmp_gt_i16_sdwa vcc, sext(v12), v0 src0_sel:BYTE_0 src1_sel:DWORD
	v_cndmask_b32_e32 v0, v6, v1, vcc
	v_cmp_eq_u32_e32 vcc, 0, v20
	v_mov_b32_e32 v20, 0x7f800001
	v_cndmask_b32_e32 v0, v20, v0, vcc
; %bb.2396:                             ;   in Loop: Header=BB4_2371 Depth=4
	s_or_b64 exec, exec, s[72:73]
.LBB4_2397:                             ;   in Loop: Header=BB4_2371 Depth=4
	s_or_b64 exec, exec, s[30:31]
.LBB4_2398:                             ;   in Loop: Header=BB4_2371 Depth=4
	s_or_b64 exec, exec, s[70:71]
	v_cmp_ne_u16_sdwa vcc, sext(v8), v43 src0_sel:BYTE_0 src1_sel:DWORD
	s_and_saveexec_b64 s[30:31], vcc
	s_cbranch_execz .LBB4_2406
; %bb.2399:                             ;   in Loop: Header=BB4_2371 Depth=4
	v_cmp_ne_u16_sdwa vcc, sext(v8), s94 src0_sel:BYTE_0 src1_sel:DWORD
	v_bfrev_b32_e32 v7, 1
	s_and_saveexec_b64 s[70:71], vcc
	s_cbranch_execz .LBB4_2405
; %bb.2400:                             ;   in Loop: Header=BB4_2371 Depth=4
	v_and_b32_e32 v7, 0x7c, v8
	v_and_b32_e32 v20, 3, v8
	v_cmp_ne_u32_e32 vcc, s95, v7
                                        ; implicit-def: $vgpr7
	s_and_saveexec_b64 s[72:73], vcc
	s_xor_b64 s[72:73], exec, s[72:73]
	s_cbranch_execz .LBB4_2402
; %bb.2401:                             ;   in Loop: Header=BB4_2371 Depth=4
	v_ffbh_u32_e32 v21, v20
	v_min_u32_e32 v21, 32, v21
	v_subrev_u32_e32 v22, 29, v21
	v_bfe_u32 v7, v8, 2, 5
	v_lshlrev_b64 v[22:23], v22, v[8:9]
	v_sub_u32_e32 v21, 30, v21
	v_and_b32_e32 v22, 3, v22
	v_cmp_eq_u32_e32 vcc, 0, v7
	v_cndmask_b32_e32 v7, v7, v21, vcc
	v_cndmask_b32_e32 v20, v20, v22, vcc
	v_bfrev_b32_e32 v22, 28
	v_lshlrev_b32_e32 v21, 24, v8
	v_lshl_add_u32 v7, v7, 23, v22
	v_and_or_b32 v7, v21, s96, v7
	v_lshl_or_b32 v7, v20, 21, v7
                                        ; implicit-def: $vgpr20
.LBB4_2402:                             ;   in Loop: Header=BB4_2371 Depth=4
	s_andn2_saveexec_b64 s[72:73], s[72:73]
; %bb.2403:                             ;   in Loop: Header=BB4_2371 Depth=4
	v_mov_b32_e32 v7, -1
	v_cmp_gt_i16_sdwa vcc, sext(v8), v7 src0_sel:BYTE_0 src1_sel:DWORD
	v_cndmask_b32_e32 v7, v6, v1, vcc
	v_cmp_eq_u32_e32 vcc, 0, v20
	v_mov_b32_e32 v20, 0x7f800001
	v_cndmask_b32_e32 v7, v20, v7, vcc
; %bb.2404:                             ;   in Loop: Header=BB4_2371 Depth=4
	s_or_b64 exec, exec, s[72:73]
.LBB4_2405:                             ;   in Loop: Header=BB4_2371 Depth=4
	s_or_b64 exec, exec, s[70:71]
.LBB4_2406:                             ;   in Loop: Header=BB4_2371 Depth=4
	s_or_b64 exec, exec, s[30:31]
	v_max_f32_e32 v7, v7, v7
	v_max_f32_e32 v0, v0, v0
	v_min_f32_e32 v7, v0, v7
.LBB4_2407:                             ;   in Loop: Header=BB4_2371 Depth=4
	v_and_b32_sdwa v0, v7, s97 dst_sel:DWORD dst_unused:UNUSED_PAD src0_sel:BYTE_3 src1_sel:DWORD
	v_and_b32_e32 v20, 0x7f800000, v7
	v_mov_b32_e32 v21, v43
	v_and_b32_e32 v42, 0x7fffff, v7
	v_or_b32_e32 v52, 0x7b, v0
	v_cmp_ne_u64_e32 vcc, s[52:53], v[20:21]
	s_and_saveexec_b64 s[30:31], vcc
	s_xor_b64 s[70:71], exec, s[30:31]
	s_cbranch_execz .LBB4_2417
; %bb.2408:                             ;   in Loop: Header=BB4_2371 Depth=4
	v_and_b32_e32 v20, 0x7fffffff, v7
	v_mov_b32_e32 v21, v43
	v_cmp_gt_u64_e32 vcc, s[54:55], v[20:21]
	s_and_saveexec_b64 s[72:73], vcc
	s_cbranch_execz .LBB4_2416
; %bb.2409:                             ;   in Loop: Header=BB4_2371 Depth=4
	v_cmp_ne_u32_e32 vcc, 0, v7
	v_mov_b32_e32 v52, 0
	s_and_saveexec_b64 s[74:75], vcc
	s_cbranch_execz .LBB4_2415
; %bb.2410:                             ;   in Loop: Header=BB4_2371 Depth=4
	v_bfe_u32 v7, v7, 23, 8
	v_cmp_eq_u32_e32 vcc, 0, v7
	v_add_u32_e32 v20, 0xffffff81, v7
	v_cmp_gt_u32_e64 s[30:31], s38, v7
	v_sub_u32_e32 v7, 0x71, v7
	v_mov_b32_e32 v22, 0xffffff82
	v_cndmask_b32_e64 v7, 0, v7, s[30:31]
	v_cndmask_b32_e32 v24, v20, v22, vcc
	v_mov_b32_e32 v20, 0x70
	v_cndmask_b32_e32 v7, v7, v20, vcc
	v_or_b32_e32 v21, 0x800000, v42
	v_add_u32_e32 v20, 21, v7
	v_cndmask_b32_e32 v42, v21, v42, vcc
	v_lshlrev_b64 v[20:21], v20, -1
	v_not_b32_e32 v21, v21
	v_not_b32_e32 v20, v20
	v_add_u32_e32 v22, 20, v7
	v_and_b32_e32 v21, 0, v21
	v_and_b32_e32 v20, v42, v20
	v_lshlrev_b64 v[22:23], v22, 1
	v_cmp_eq_u64_e32 vcc, v[20:21], v[22:23]
	v_lshrrev_b64 v[20:21], v7, v[42:43]
	v_lshrrev_b32_e32 v22, 23, v20
	v_add3_u32 v23, v7, v24, v22
	v_bfe_u32 v7, v20, 21, 1
	v_add_u32_e32 v7, -1, v7
	v_cndmask_b32_e32 v7, 0, v7, vcc
	v_add_u32_e32 v7, v7, v20
	v_and_b32_e32 v7, 0x1fffff, v7
	v_add_co_u32_e32 v20, vcc, v7, v20
	v_add_u32_e32 v22, 14, v23
	v_addc_co_u32_e32 v21, vcc, 0, v21, vcc
	v_cmp_ne_u32_e32 vcc, 0, v22
                                        ; implicit-def: $vgpr7
	s_and_saveexec_b64 s[30:31], vcc
	s_xor_b64 s[30:31], exec, s[30:31]
; %bb.2411:                             ;   in Loop: Header=BB4_2371 Depth=4
	v_add_u32_e32 v7, 15, v23
	v_cmp_lt_u64_e32 vcc, s[56:57], v[20:21]
	v_cndmask_b32_e32 v7, v22, v7, vcc
	v_cndmask_b32_e64 v22, 0, 1, vcc
	v_lshrrev_b64 v[20:21], v22, v[20:21]
; %bb.2412:                             ;   in Loop: Header=BB4_2371 Depth=4
	s_andn2_saveexec_b64 vcc, s[30:31]
; %bb.2413:                             ;   in Loop: Header=BB4_2371 Depth=4
	v_bfe_u32 v7, v20, 23, 1
; %bb.2414:                             ;   in Loop: Header=BB4_2371 Depth=4
	s_or_b64 exec, exec, vcc
	v_lshrrev_b64 v[20:21], 21, v[20:21]
	v_cmp_gt_i32_e32 vcc, 32, v7
	v_cndmask_b32_e32 v21, 0, v21, vcc
	v_cndmask_b32_e32 v20, 3, v20, vcc
	v_cmp_eq_u32_e32 vcc, 0, v7
	v_min_i32_e32 v7, 31, v7
	v_cmp_eq_u64_e64 s[30:31], 0, v[20:21]
	v_lshlrev_b32_e32 v7, 2, v7
	v_and_or_b32 v7, v20, 3, v7
	s_and_b64 vcc, vcc, s[30:31]
	v_cndmask_b32_e64 v7, v7, 0, vcc
	v_or_b32_e32 v52, v7, v0
.LBB4_2415:                             ;   in Loop: Header=BB4_2371 Depth=4
	s_or_b64 exec, exec, s[74:75]
.LBB4_2416:                             ;   in Loop: Header=BB4_2371 Depth=4
	s_or_b64 exec, exec, s[72:73]
                                        ; implicit-def: $vgpr7
.LBB4_2417:                             ;   in Loop: Header=BB4_2371 Depth=4
	s_andn2_saveexec_b64 s[30:31], s[70:71]
; %bb.2418:                             ;   in Loop: Header=BB4_2371 Depth=4
	v_or_b32_sdwa v0, v7, s39 dst_sel:DWORD dst_unused:UNUSED_PAD src0_sel:BYTE_3 src1_sel:DWORD
	v_cmp_eq_u64_e32 vcc, 0, v[42:43]
	v_cndmask_b32_e32 v52, v0, v52, vcc
; %bb.2419:                             ;   in Loop: Header=BB4_2371 Depth=4
	s_or_b64 exec, exec, s[30:31]
	v_lshrrev_b16_e32 v42, 8, v12
	v_lshrrev_b16_e32 v20, 8, v8
	v_cmp_ne_u16_e64 s[30:31], 0, v42
	s_and_b64 vcc, exec, s[68:69]
	s_cbranch_vccz .LBB4_2437
; %bb.2420:                             ;   in Loop: Header=BB4_2371 Depth=4
	v_mov_b32_e32 v7, 0
	v_mov_b32_e32 v0, 0
	s_and_saveexec_b64 s[70:71], s[30:31]
	s_cbranch_execz .LBB4_2428
; %bb.2421:                             ;   in Loop: Header=BB4_2371 Depth=4
	v_cmp_ne_u16_e32 vcc, s97, v42
	v_bfrev_b32_e32 v0, 1
	s_and_saveexec_b64 s[72:73], vcc
	s_cbranch_execz .LBB4_2427
; %bb.2422:                             ;   in Loop: Header=BB4_2371 Depth=4
	v_and_b32_e32 v0, 0x7c, v42
	v_and_b32_e32 v21, 3, v42
	v_cmp_ne_u32_e32 vcc, s95, v0
                                        ; implicit-def: $vgpr0
	s_and_saveexec_b64 s[74:75], vcc
	s_xor_b64 s[74:75], exec, s[74:75]
	s_cbranch_execz .LBB4_2424
; %bb.2423:                             ;   in Loop: Header=BB4_2371 Depth=4
	v_ffbh_u32_e32 v22, v21
	v_min_u32_e32 v24, 32, v22
	v_subrev_u32_e32 v22, 29, v24
	v_bfe_u32 v0, v42, 2, 5
	v_lshlrev_b64 v[22:23], v22, v[42:43]
	v_sub_u32_e32 v23, 30, v24
	v_cmp_eq_u32_e32 vcc, 0, v0
	v_and_b32_e32 v22, 3, v22
	v_cndmask_b32_e32 v0, v0, v23, vcc
	v_bfrev_b32_e32 v23, 28
	v_cndmask_b32_e32 v21, v21, v22, vcc
	v_lshlrev_b32_e32 v22, 16, v12
	v_lshl_add_u32 v0, v0, 23, v23
	v_and_or_b32 v0, v22, s96, v0
	v_lshl_or_b32 v0, v21, 21, v0
                                        ; implicit-def: $vgpr21
.LBB4_2424:                             ;   in Loop: Header=BB4_2371 Depth=4
	s_andn2_saveexec_b64 s[74:75], s[74:75]
; %bb.2425:                             ;   in Loop: Header=BB4_2371 Depth=4
	v_cmp_lt_i16_e32 vcc, -1, v12
	v_cndmask_b32_e32 v0, v6, v1, vcc
	v_cmp_eq_u32_e32 vcc, 0, v21
	v_mov_b32_e32 v21, 0x7f800001
	v_cndmask_b32_e32 v0, v21, v0, vcc
; %bb.2426:                             ;   in Loop: Header=BB4_2371 Depth=4
	s_or_b64 exec, exec, s[74:75]
.LBB4_2427:                             ;   in Loop: Header=BB4_2371 Depth=4
	s_or_b64 exec, exec, s[72:73]
.LBB4_2428:                             ;   in Loop: Header=BB4_2371 Depth=4
	s_or_b64 exec, exec, s[70:71]
	v_cmp_ne_u16_e32 vcc, 0, v20
	s_and_saveexec_b64 s[70:71], vcc
	s_cbranch_execz .LBB4_2436
; %bb.2429:                             ;   in Loop: Header=BB4_2371 Depth=4
	v_cmp_ne_u16_e32 vcc, s97, v20
	v_bfrev_b32_e32 v7, 1
	s_and_saveexec_b64 s[72:73], vcc
	s_cbranch_execz .LBB4_2435
; %bb.2430:                             ;   in Loop: Header=BB4_2371 Depth=4
	v_and_b32_e32 v7, 0x7c, v20
	v_and_b32_e32 v22, 3, v20
	v_cmp_ne_u32_e32 vcc, s95, v7
                                        ; implicit-def: $vgpr7
	s_and_saveexec_b64 s[74:75], vcc
	s_xor_b64 s[74:75], exec, s[74:75]
	s_cbranch_execz .LBB4_2432
; %bb.2431:                             ;   in Loop: Header=BB4_2371 Depth=4
	v_ffbh_u32_e32 v23, v22
	v_min_u32_e32 v23, 32, v23
	v_mov_b32_e32 v21, v43
	v_subrev_u32_e32 v24, 29, v23
	v_bfe_u32 v7, v20, 2, 5
	v_lshlrev_b64 v[24:25], v24, v[20:21]
	v_sub_u32_e32 v21, 30, v23
	v_and_b32_e32 v23, 3, v24
	v_cmp_eq_u32_e32 vcc, 0, v7
	v_cndmask_b32_e32 v7, v7, v21, vcc
	v_cndmask_b32_e32 v21, v22, v23, vcc
	v_bfrev_b32_e32 v23, 28
	v_lshlrev_b32_e32 v22, 16, v8
	v_lshl_add_u32 v7, v7, 23, v23
	v_and_or_b32 v7, v22, s96, v7
	v_lshl_or_b32 v7, v21, 21, v7
                                        ; implicit-def: $vgpr22
.LBB4_2432:                             ;   in Loop: Header=BB4_2371 Depth=4
	s_andn2_saveexec_b64 s[74:75], s[74:75]
; %bb.2433:                             ;   in Loop: Header=BB4_2371 Depth=4
	v_cmp_lt_i16_e32 vcc, -1, v8
	v_cndmask_b32_e32 v7, v6, v1, vcc
	v_cmp_eq_u32_e32 vcc, 0, v22
	v_mov_b32_e32 v21, 0x7f800001
	v_cndmask_b32_e32 v7, v21, v7, vcc
; %bb.2434:                             ;   in Loop: Header=BB4_2371 Depth=4
	s_or_b64 exec, exec, s[74:75]
.LBB4_2435:                             ;   in Loop: Header=BB4_2371 Depth=4
	s_or_b64 exec, exec, s[72:73]
.LBB4_2436:                             ;   in Loop: Header=BB4_2371 Depth=4
	s_or_b64 exec, exec, s[70:71]
	v_max_f32_e32 v7, v7, v7
	v_max_f32_e32 v0, v0, v0
	;; [unrolled: 1-line block ×3, first 2 shown]
	s_branch .LBB4_2455
.LBB4_2437:                             ;   in Loop: Header=BB4_2371 Depth=4
                                        ; implicit-def: $vgpr7
	s_cbranch_execz .LBB4_2455
; %bb.2438:                             ;   in Loop: Header=BB4_2371 Depth=4
	v_mov_b32_e32 v7, 0
	v_mov_b32_e32 v0, 0
	s_and_saveexec_b64 s[70:71], s[30:31]
	s_cbranch_execz .LBB4_2446
; %bb.2439:                             ;   in Loop: Header=BB4_2371 Depth=4
	v_cmp_ne_u16_e32 vcc, s97, v42
	v_bfrev_b32_e32 v0, 1
	s_and_saveexec_b64 s[30:31], vcc
	s_cbranch_execz .LBB4_2445
; %bb.2440:                             ;   in Loop: Header=BB4_2371 Depth=4
	v_and_b32_e32 v0, 0x7c, v42
	v_and_b32_e32 v21, 3, v42
	v_cmp_ne_u32_e32 vcc, s95, v0
                                        ; implicit-def: $vgpr0
	s_and_saveexec_b64 s[72:73], vcc
	s_xor_b64 s[72:73], exec, s[72:73]
	s_cbranch_execz .LBB4_2442
; %bb.2441:                             ;   in Loop: Header=BB4_2371 Depth=4
	v_ffbh_u32_e32 v22, v21
	v_min_u32_e32 v24, 32, v22
	v_subrev_u32_e32 v22, 29, v24
	v_bfe_u32 v0, v42, 2, 5
	v_lshlrev_b64 v[22:23], v22, v[42:43]
	v_sub_u32_e32 v23, 30, v24
	v_cmp_eq_u32_e32 vcc, 0, v0
	v_and_b32_e32 v22, 3, v22
	v_cndmask_b32_e32 v0, v0, v23, vcc
	v_bfrev_b32_e32 v23, 28
	v_cndmask_b32_e32 v21, v21, v22, vcc
	v_lshlrev_b32_e32 v22, 16, v12
	v_lshl_add_u32 v0, v0, 23, v23
	v_and_or_b32 v0, v22, s96, v0
	v_lshl_or_b32 v0, v21, 21, v0
                                        ; implicit-def: $vgpr21
.LBB4_2442:                             ;   in Loop: Header=BB4_2371 Depth=4
	s_andn2_saveexec_b64 s[72:73], s[72:73]
; %bb.2443:                             ;   in Loop: Header=BB4_2371 Depth=4
	v_cmp_lt_i16_e32 vcc, -1, v12
	v_cndmask_b32_e32 v0, v6, v1, vcc
	v_cmp_eq_u32_e32 vcc, 0, v21
	v_mov_b32_e32 v21, 0x7f800001
	v_cndmask_b32_e32 v0, v21, v0, vcc
; %bb.2444:                             ;   in Loop: Header=BB4_2371 Depth=4
	s_or_b64 exec, exec, s[72:73]
.LBB4_2445:                             ;   in Loop: Header=BB4_2371 Depth=4
	s_or_b64 exec, exec, s[30:31]
.LBB4_2446:                             ;   in Loop: Header=BB4_2371 Depth=4
	s_or_b64 exec, exec, s[70:71]
	v_cmp_ne_u16_e32 vcc, 0, v20
	s_and_saveexec_b64 s[30:31], vcc
	s_cbranch_execz .LBB4_2454
; %bb.2447:                             ;   in Loop: Header=BB4_2371 Depth=4
	v_cmp_ne_u16_e32 vcc, s97, v20
	v_bfrev_b32_e32 v7, 1
	s_and_saveexec_b64 s[70:71], vcc
	s_cbranch_execz .LBB4_2453
; %bb.2448:                             ;   in Loop: Header=BB4_2371 Depth=4
	v_and_b32_e32 v7, 0x7c, v20
	v_and_b32_e32 v22, 3, v20
	v_cmp_ne_u32_e32 vcc, s95, v7
                                        ; implicit-def: $vgpr7
	s_and_saveexec_b64 s[72:73], vcc
	s_xor_b64 s[72:73], exec, s[72:73]
	s_cbranch_execz .LBB4_2450
; %bb.2449:                             ;   in Loop: Header=BB4_2371 Depth=4
	v_ffbh_u32_e32 v23, v22
	v_min_u32_e32 v23, 32, v23
	v_mov_b32_e32 v21, v43
	v_subrev_u32_e32 v24, 29, v23
	v_bfe_u32 v7, v20, 2, 5
	v_lshlrev_b64 v[20:21], v24, v[20:21]
	v_sub_u32_e32 v21, 30, v23
	v_and_b32_e32 v20, 3, v20
	v_cmp_eq_u32_e32 vcc, 0, v7
	v_cndmask_b32_e32 v7, v7, v21, vcc
	v_cndmask_b32_e32 v20, v22, v20, vcc
	v_bfrev_b32_e32 v22, 28
	v_lshlrev_b32_e32 v21, 16, v8
	v_lshl_add_u32 v7, v7, 23, v22
	v_and_or_b32 v7, v21, s96, v7
	v_lshl_or_b32 v7, v20, 21, v7
                                        ; implicit-def: $vgpr22
.LBB4_2450:                             ;   in Loop: Header=BB4_2371 Depth=4
	s_andn2_saveexec_b64 s[72:73], s[72:73]
; %bb.2451:                             ;   in Loop: Header=BB4_2371 Depth=4
	v_cmp_lt_i16_e32 vcc, -1, v8
	v_cndmask_b32_e32 v7, v6, v1, vcc
	v_cmp_eq_u32_e32 vcc, 0, v22
	v_mov_b32_e32 v20, 0x7f800001
	v_cndmask_b32_e32 v7, v20, v7, vcc
; %bb.2452:                             ;   in Loop: Header=BB4_2371 Depth=4
	s_or_b64 exec, exec, s[72:73]
.LBB4_2453:                             ;   in Loop: Header=BB4_2371 Depth=4
	s_or_b64 exec, exec, s[70:71]
.LBB4_2454:                             ;   in Loop: Header=BB4_2371 Depth=4
	s_or_b64 exec, exec, s[30:31]
	v_max_f32_e32 v7, v7, v7
	v_max_f32_e32 v0, v0, v0
	v_min_f32_e32 v7, v0, v7
.LBB4_2455:                             ;   in Loop: Header=BB4_2371 Depth=4
	v_and_b32_sdwa v0, v7, s97 dst_sel:DWORD dst_unused:UNUSED_PAD src0_sel:BYTE_3 src1_sel:DWORD
	v_and_b32_e32 v20, 0x7f800000, v7
	v_mov_b32_e32 v21, v43
	v_and_b32_e32 v42, 0x7fffff, v7
	v_or_b32_e32 v53, 0x7b, v0
	v_cmp_ne_u64_e32 vcc, s[52:53], v[20:21]
	s_and_saveexec_b64 s[30:31], vcc
	s_xor_b64 s[70:71], exec, s[30:31]
	s_cbranch_execz .LBB4_2465
; %bb.2456:                             ;   in Loop: Header=BB4_2371 Depth=4
	v_and_b32_e32 v20, 0x7fffffff, v7
	v_mov_b32_e32 v21, v43
	v_cmp_gt_u64_e32 vcc, s[54:55], v[20:21]
	s_and_saveexec_b64 s[72:73], vcc
	s_cbranch_execz .LBB4_2464
; %bb.2457:                             ;   in Loop: Header=BB4_2371 Depth=4
	v_cmp_ne_u32_e32 vcc, 0, v7
	v_mov_b32_e32 v53, 0
	s_and_saveexec_b64 s[74:75], vcc
	s_cbranch_execz .LBB4_2463
; %bb.2458:                             ;   in Loop: Header=BB4_2371 Depth=4
	v_bfe_u32 v7, v7, 23, 8
	v_cmp_eq_u32_e32 vcc, 0, v7
	v_add_u32_e32 v20, 0xffffff81, v7
	v_cmp_gt_u32_e64 s[30:31], s38, v7
	v_sub_u32_e32 v7, 0x71, v7
	v_mov_b32_e32 v22, 0xffffff82
	v_cndmask_b32_e64 v7, 0, v7, s[30:31]
	v_cndmask_b32_e32 v24, v20, v22, vcc
	v_mov_b32_e32 v20, 0x70
	v_cndmask_b32_e32 v7, v7, v20, vcc
	v_or_b32_e32 v21, 0x800000, v42
	v_add_u32_e32 v20, 21, v7
	v_cndmask_b32_e32 v42, v21, v42, vcc
	v_lshlrev_b64 v[20:21], v20, -1
	v_not_b32_e32 v21, v21
	v_not_b32_e32 v20, v20
	v_add_u32_e32 v22, 20, v7
	v_and_b32_e32 v21, 0, v21
	v_and_b32_e32 v20, v42, v20
	v_lshlrev_b64 v[22:23], v22, 1
	v_cmp_eq_u64_e32 vcc, v[20:21], v[22:23]
	v_lshrrev_b64 v[20:21], v7, v[42:43]
	v_lshrrev_b32_e32 v22, 23, v20
	v_add3_u32 v23, v7, v24, v22
	v_bfe_u32 v7, v20, 21, 1
	v_add_u32_e32 v7, -1, v7
	v_cndmask_b32_e32 v7, 0, v7, vcc
	v_add_u32_e32 v7, v7, v20
	v_and_b32_e32 v7, 0x1fffff, v7
	v_add_co_u32_e32 v20, vcc, v7, v20
	v_add_u32_e32 v22, 14, v23
	v_addc_co_u32_e32 v21, vcc, 0, v21, vcc
	v_cmp_ne_u32_e32 vcc, 0, v22
                                        ; implicit-def: $vgpr7
	s_and_saveexec_b64 s[30:31], vcc
	s_xor_b64 s[30:31], exec, s[30:31]
; %bb.2459:                             ;   in Loop: Header=BB4_2371 Depth=4
	v_add_u32_e32 v7, 15, v23
	v_cmp_lt_u64_e32 vcc, s[56:57], v[20:21]
	v_cndmask_b32_e32 v7, v22, v7, vcc
	v_cndmask_b32_e64 v22, 0, 1, vcc
	v_lshrrev_b64 v[20:21], v22, v[20:21]
; %bb.2460:                             ;   in Loop: Header=BB4_2371 Depth=4
	s_andn2_saveexec_b64 vcc, s[30:31]
; %bb.2461:                             ;   in Loop: Header=BB4_2371 Depth=4
	v_bfe_u32 v7, v20, 23, 1
; %bb.2462:                             ;   in Loop: Header=BB4_2371 Depth=4
	s_or_b64 exec, exec, vcc
	v_lshrrev_b64 v[20:21], 21, v[20:21]
	v_cmp_gt_i32_e32 vcc, 32, v7
	v_cndmask_b32_e32 v21, 0, v21, vcc
	v_cndmask_b32_e32 v20, 3, v20, vcc
	v_cmp_eq_u32_e32 vcc, 0, v7
	v_min_i32_e32 v7, 31, v7
	v_cmp_eq_u64_e64 s[30:31], 0, v[20:21]
	v_lshlrev_b32_e32 v7, 2, v7
	v_and_or_b32 v7, v20, 3, v7
	s_and_b64 vcc, vcc, s[30:31]
	v_cndmask_b32_e64 v7, v7, 0, vcc
	v_or_b32_e32 v53, v7, v0
.LBB4_2463:                             ;   in Loop: Header=BB4_2371 Depth=4
	s_or_b64 exec, exec, s[74:75]
.LBB4_2464:                             ;   in Loop: Header=BB4_2371 Depth=4
	s_or_b64 exec, exec, s[72:73]
                                        ; implicit-def: $vgpr7
.LBB4_2465:                             ;   in Loop: Header=BB4_2371 Depth=4
	s_andn2_saveexec_b64 s[30:31], s[70:71]
; %bb.2466:                             ;   in Loop: Header=BB4_2371 Depth=4
	v_or_b32_sdwa v0, v7, s39 dst_sel:DWORD dst_unused:UNUSED_PAD src0_sel:BYTE_3 src1_sel:DWORD
	v_cmp_eq_u64_e32 vcc, 0, v[42:43]
	v_cndmask_b32_e32 v53, v0, v53, vcc
; %bb.2467:                             ;   in Loop: Header=BB4_2371 Depth=4
	s_or_b64 exec, exec, s[30:31]
	v_lshrrev_b32_e32 v22, 16, v12
	v_lshrrev_b32_e32 v20, 16, v8
	v_cmp_ne_u16_sdwa s[30:31], v22, v43 src0_sel:BYTE_0 src1_sel:DWORD
	s_and_b64 vcc, exec, s[68:69]
	s_cbranch_vccz .LBB4_2485
; %bb.2468:                             ;   in Loop: Header=BB4_2371 Depth=4
	v_mov_b32_e32 v7, 0
	v_mov_b32_e32 v0, 0
	s_and_saveexec_b64 s[70:71], s[30:31]
	s_cbranch_execz .LBB4_2476
; %bb.2469:                             ;   in Loop: Header=BB4_2371 Depth=4
	v_cmp_ne_u16_sdwa vcc, v22, s97 src0_sel:BYTE_0 src1_sel:DWORD
	v_bfrev_b32_e32 v0, 1
	s_and_saveexec_b64 s[72:73], vcc
	s_cbranch_execz .LBB4_2475
; %bb.2470:                             ;   in Loop: Header=BB4_2371 Depth=4
	v_and_b32_e32 v0, 0x7c0000, v12
	v_bfe_u32 v21, v12, 16, 2
	v_cmp_ne_u32_e32 vcc, s36, v0
                                        ; implicit-def: $vgpr0
	s_and_saveexec_b64 s[74:75], vcc
	s_xor_b64 s[74:75], exec, s[74:75]
	s_cbranch_execz .LBB4_2472
; %bb.2471:                             ;   in Loop: Header=BB4_2371 Depth=4
	v_ffbh_u32_e32 v23, v21
	v_min_u32_e32 v23, 32, v23
	v_subrev_u32_e32 v24, 29, v23
	v_bfe_u32 v0, v12, 18, 5
	v_lshlrev_b64 v[24:25], v24, v[22:23]
	v_sub_u32_e32 v23, 30, v23
	v_and_b32_e32 v24, 3, v24
	v_cmp_eq_u32_e32 vcc, 0, v0
	v_cndmask_b32_e32 v0, v0, v23, vcc
	v_cndmask_b32_e32 v21, v21, v24, vcc
	v_bfrev_b32_e32 v24, 28
	v_lshlrev_b32_e32 v23, 24, v22
	v_lshl_add_u32 v0, v0, 23, v24
	v_and_or_b32 v0, v23, s96, v0
	v_lshl_or_b32 v0, v21, 21, v0
                                        ; implicit-def: $vgpr21
.LBB4_2472:                             ;   in Loop: Header=BB4_2371 Depth=4
	s_andn2_saveexec_b64 s[74:75], s[74:75]
; %bb.2473:                             ;   in Loop: Header=BB4_2371 Depth=4
	v_mov_b32_e32 v0, -1
	v_cmp_gt_i16_sdwa vcc, sext(v22), v0 src0_sel:BYTE_0 src1_sel:DWORD
	v_cndmask_b32_e32 v0, v6, v1, vcc
	v_cmp_eq_u32_e32 vcc, 0, v21
	v_mov_b32_e32 v21, 0x7f800001
	v_cndmask_b32_e32 v0, v21, v0, vcc
; %bb.2474:                             ;   in Loop: Header=BB4_2371 Depth=4
	s_or_b64 exec, exec, s[74:75]
.LBB4_2475:                             ;   in Loop: Header=BB4_2371 Depth=4
	s_or_b64 exec, exec, s[72:73]
.LBB4_2476:                             ;   in Loop: Header=BB4_2371 Depth=4
	s_or_b64 exec, exec, s[70:71]
	v_cmp_ne_u16_sdwa vcc, v20, v43 src0_sel:BYTE_0 src1_sel:DWORD
	s_and_saveexec_b64 s[70:71], vcc
	s_cbranch_execz .LBB4_2484
; %bb.2477:                             ;   in Loop: Header=BB4_2371 Depth=4
	v_cmp_ne_u16_sdwa vcc, v20, s97 src0_sel:BYTE_0 src1_sel:DWORD
	v_bfrev_b32_e32 v7, 1
	s_and_saveexec_b64 s[72:73], vcc
	s_cbranch_execz .LBB4_2483
; %bb.2478:                             ;   in Loop: Header=BB4_2371 Depth=4
	v_and_b32_e32 v7, 0x7c0000, v8
	v_bfe_u32 v21, v8, 16, 2
	v_cmp_ne_u32_e32 vcc, s36, v7
                                        ; implicit-def: $vgpr7
	s_and_saveexec_b64 s[74:75], vcc
	s_xor_b64 s[74:75], exec, s[74:75]
	s_cbranch_execz .LBB4_2480
; %bb.2479:                             ;   in Loop: Header=BB4_2371 Depth=4
	v_ffbh_u32_e32 v23, v21
	v_min_u32_e32 v23, 32, v23
	v_subrev_u32_e32 v24, 29, v23
	v_bfe_u32 v7, v8, 18, 5
	v_lshlrev_b64 v[24:25], v24, v[20:21]
	v_sub_u32_e32 v23, 30, v23
	v_and_b32_e32 v24, 3, v24
	v_cmp_eq_u32_e32 vcc, 0, v7
	v_cndmask_b32_e32 v7, v7, v23, vcc
	v_cndmask_b32_e32 v21, v21, v24, vcc
	v_bfrev_b32_e32 v24, 28
	v_lshlrev_b32_e32 v23, 24, v20
	v_lshl_add_u32 v7, v7, 23, v24
	v_and_or_b32 v7, v23, s96, v7
	v_lshl_or_b32 v7, v21, 21, v7
                                        ; implicit-def: $vgpr21
.LBB4_2480:                             ;   in Loop: Header=BB4_2371 Depth=4
	s_andn2_saveexec_b64 s[74:75], s[74:75]
; %bb.2481:                             ;   in Loop: Header=BB4_2371 Depth=4
	v_mov_b32_e32 v7, -1
	v_cmp_gt_i16_sdwa vcc, sext(v20), v7 src0_sel:BYTE_0 src1_sel:DWORD
	v_cndmask_b32_e32 v7, v6, v1, vcc
	v_cmp_eq_u32_e32 vcc, 0, v21
	v_mov_b32_e32 v21, 0x7f800001
	v_cndmask_b32_e32 v7, v21, v7, vcc
; %bb.2482:                             ;   in Loop: Header=BB4_2371 Depth=4
	s_or_b64 exec, exec, s[74:75]
.LBB4_2483:                             ;   in Loop: Header=BB4_2371 Depth=4
	s_or_b64 exec, exec, s[72:73]
.LBB4_2484:                             ;   in Loop: Header=BB4_2371 Depth=4
	s_or_b64 exec, exec, s[70:71]
	v_max_f32_e32 v7, v7, v7
	v_max_f32_e32 v0, v0, v0
	;; [unrolled: 1-line block ×3, first 2 shown]
	s_branch .LBB4_2503
.LBB4_2485:                             ;   in Loop: Header=BB4_2371 Depth=4
                                        ; implicit-def: $vgpr21
	s_cbranch_execz .LBB4_2503
; %bb.2486:                             ;   in Loop: Header=BB4_2371 Depth=4
	v_mov_b32_e32 v7, 0
	v_mov_b32_e32 v0, 0
	s_and_saveexec_b64 s[70:71], s[30:31]
	s_cbranch_execz .LBB4_2494
; %bb.2487:                             ;   in Loop: Header=BB4_2371 Depth=4
	v_cmp_ne_u16_sdwa vcc, v22, s97 src0_sel:BYTE_0 src1_sel:DWORD
	v_bfrev_b32_e32 v0, 1
	s_and_saveexec_b64 s[30:31], vcc
	s_cbranch_execz .LBB4_2493
; %bb.2488:                             ;   in Loop: Header=BB4_2371 Depth=4
	v_and_b32_e32 v0, 0x7c0000, v12
	v_bfe_u32 v21, v12, 16, 2
	v_cmp_ne_u32_e32 vcc, s36, v0
                                        ; implicit-def: $vgpr0
	s_and_saveexec_b64 s[72:73], vcc
	s_xor_b64 s[72:73], exec, s[72:73]
	s_cbranch_execz .LBB4_2490
; %bb.2489:                             ;   in Loop: Header=BB4_2371 Depth=4
	v_ffbh_u32_e32 v23, v21
	v_min_u32_e32 v23, 32, v23
	v_bfe_u32 v0, v12, 18, 5
	v_subrev_u32_e32 v24, 29, v23
	v_lshlrev_b64 v[24:25], v24, v[22:23]
	v_sub_u32_e32 v23, 30, v23
	v_cmp_eq_u32_e32 vcc, 0, v0
	v_cndmask_b32_e32 v0, v0, v23, vcc
	v_bfrev_b32_e32 v23, 28
	v_and_b32_e32 v24, 3, v24
	v_lshlrev_b32_e32 v22, 24, v22
	v_lshl_add_u32 v0, v0, 23, v23
	v_cndmask_b32_e32 v21, v21, v24, vcc
	v_and_or_b32 v0, v22, s96, v0
	v_lshl_or_b32 v0, v21, 21, v0
                                        ; implicit-def: $vgpr21
                                        ; implicit-def: $vgpr22
.LBB4_2490:                             ;   in Loop: Header=BB4_2371 Depth=4
	s_andn2_saveexec_b64 s[72:73], s[72:73]
; %bb.2491:                             ;   in Loop: Header=BB4_2371 Depth=4
	v_mov_b32_e32 v0, -1
	v_cmp_gt_i16_sdwa vcc, sext(v22), v0 src0_sel:BYTE_0 src1_sel:DWORD
	v_cndmask_b32_e32 v0, v6, v1, vcc
	v_cmp_eq_u32_e32 vcc, 0, v21
	v_mov_b32_e32 v21, 0x7f800001
	v_cndmask_b32_e32 v0, v21, v0, vcc
; %bb.2492:                             ;   in Loop: Header=BB4_2371 Depth=4
	s_or_b64 exec, exec, s[72:73]
.LBB4_2493:                             ;   in Loop: Header=BB4_2371 Depth=4
	s_or_b64 exec, exec, s[30:31]
.LBB4_2494:                             ;   in Loop: Header=BB4_2371 Depth=4
	s_or_b64 exec, exec, s[70:71]
	v_cmp_ne_u16_sdwa vcc, v20, v43 src0_sel:BYTE_0 src1_sel:DWORD
	s_and_saveexec_b64 s[30:31], vcc
	s_cbranch_execz .LBB4_2502
; %bb.2495:                             ;   in Loop: Header=BB4_2371 Depth=4
	v_cmp_ne_u16_sdwa vcc, v20, s97 src0_sel:BYTE_0 src1_sel:DWORD
	v_bfrev_b32_e32 v7, 1
	s_and_saveexec_b64 s[70:71], vcc
	s_cbranch_execz .LBB4_2501
; %bb.2496:                             ;   in Loop: Header=BB4_2371 Depth=4
	v_and_b32_e32 v7, 0x7c0000, v8
	v_bfe_u32 v21, v8, 16, 2
	v_cmp_ne_u32_e32 vcc, s36, v7
                                        ; implicit-def: $vgpr7
	s_and_saveexec_b64 s[72:73], vcc
	s_xor_b64 s[72:73], exec, s[72:73]
	s_cbranch_execz .LBB4_2498
; %bb.2497:                             ;   in Loop: Header=BB4_2371 Depth=4
	v_ffbh_u32_e32 v22, v21
	v_min_u32_e32 v24, 32, v22
	v_subrev_u32_e32 v22, 29, v24
	v_bfe_u32 v7, v8, 18, 5
	v_lshlrev_b64 v[22:23], v22, v[20:21]
	v_sub_u32_e32 v23, 30, v24
	v_and_b32_e32 v22, 3, v22
	v_cmp_eq_u32_e32 vcc, 0, v7
	v_cndmask_b32_e32 v7, v7, v23, vcc
	v_cndmask_b32_e32 v21, v21, v22, vcc
	v_bfrev_b32_e32 v22, 28
	v_lshlrev_b32_e32 v20, 24, v20
	v_lshl_add_u32 v7, v7, 23, v22
	v_and_or_b32 v7, v20, s96, v7
	v_lshl_or_b32 v7, v21, 21, v7
                                        ; implicit-def: $vgpr21
                                        ; implicit-def: $vgpr20
.LBB4_2498:                             ;   in Loop: Header=BB4_2371 Depth=4
	s_andn2_saveexec_b64 s[72:73], s[72:73]
; %bb.2499:                             ;   in Loop: Header=BB4_2371 Depth=4
	v_mov_b32_e32 v7, -1
	v_cmp_gt_i16_sdwa vcc, sext(v20), v7 src0_sel:BYTE_0 src1_sel:DWORD
	v_cndmask_b32_e32 v7, v6, v1, vcc
	v_cmp_eq_u32_e32 vcc, 0, v21
	v_mov_b32_e32 v20, 0x7f800001
	v_cndmask_b32_e32 v7, v20, v7, vcc
; %bb.2500:                             ;   in Loop: Header=BB4_2371 Depth=4
	s_or_b64 exec, exec, s[72:73]
.LBB4_2501:                             ;   in Loop: Header=BB4_2371 Depth=4
	s_or_b64 exec, exec, s[70:71]
.LBB4_2502:                             ;   in Loop: Header=BB4_2371 Depth=4
	s_or_b64 exec, exec, s[30:31]
	v_max_f32_e32 v7, v7, v7
	v_max_f32_e32 v0, v0, v0
	v_min_f32_e32 v21, v0, v7
.LBB4_2503:                             ;   in Loop: Header=BB4_2371 Depth=4
	v_and_b32_sdwa v0, v21, s97 dst_sel:DWORD dst_unused:UNUSED_PAD src0_sel:BYTE_3 src1_sel:DWORD
	v_and_b32_e32 v22, 0x7f800000, v21
	v_mov_b32_e32 v23, v43
	v_and_b32_e32 v42, 0x7fffff, v21
	v_or_b32_e32 v7, 0x7b, v0
	v_cmp_ne_u64_e32 vcc, s[52:53], v[22:23]
	s_and_saveexec_b64 s[30:31], vcc
	s_xor_b64 s[70:71], exec, s[30:31]
	s_cbranch_execz .LBB4_2513
; %bb.2504:                             ;   in Loop: Header=BB4_2371 Depth=4
	v_and_b32_e32 v22, 0x7fffffff, v21
	v_mov_b32_e32 v23, v43
	v_cmp_gt_u64_e32 vcc, s[54:55], v[22:23]
	s_and_saveexec_b64 s[72:73], vcc
	s_cbranch_execz .LBB4_2512
; %bb.2505:                             ;   in Loop: Header=BB4_2371 Depth=4
	v_cmp_ne_u32_e32 vcc, 0, v21
	v_mov_b32_e32 v7, 0
	s_and_saveexec_b64 s[74:75], vcc
	s_cbranch_execz .LBB4_2511
; %bb.2506:                             ;   in Loop: Header=BB4_2371 Depth=4
	v_bfe_u32 v7, v21, 23, 8
	v_cmp_eq_u32_e32 vcc, 0, v7
	v_add_u32_e32 v20, 0xffffff81, v7
	v_cmp_gt_u32_e64 s[30:31], s38, v7
	v_sub_u32_e32 v7, 0x71, v7
	v_mov_b32_e32 v22, 0xffffff82
	v_cndmask_b32_e64 v7, 0, v7, s[30:31]
	v_cndmask_b32_e32 v24, v20, v22, vcc
	v_mov_b32_e32 v20, 0x70
	v_cndmask_b32_e32 v7, v7, v20, vcc
	v_or_b32_e32 v21, 0x800000, v42
	v_add_u32_e32 v20, 21, v7
	v_cndmask_b32_e32 v42, v21, v42, vcc
	v_lshlrev_b64 v[20:21], v20, -1
	v_not_b32_e32 v21, v21
	v_not_b32_e32 v20, v20
	v_add_u32_e32 v22, 20, v7
	v_and_b32_e32 v21, 0, v21
	v_and_b32_e32 v20, v42, v20
	v_lshlrev_b64 v[22:23], v22, 1
	v_cmp_eq_u64_e32 vcc, v[20:21], v[22:23]
	v_lshrrev_b64 v[20:21], v7, v[42:43]
	v_lshrrev_b32_e32 v22, 23, v20
	v_add3_u32 v23, v7, v24, v22
	v_bfe_u32 v7, v20, 21, 1
	v_add_u32_e32 v7, -1, v7
	v_cndmask_b32_e32 v7, 0, v7, vcc
	v_add_u32_e32 v7, v7, v20
	v_and_b32_e32 v7, 0x1fffff, v7
	v_add_co_u32_e32 v20, vcc, v7, v20
	v_add_u32_e32 v22, 14, v23
	v_addc_co_u32_e32 v21, vcc, 0, v21, vcc
	v_cmp_ne_u32_e32 vcc, 0, v22
                                        ; implicit-def: $vgpr7
	s_and_saveexec_b64 s[30:31], vcc
	s_xor_b64 s[30:31], exec, s[30:31]
; %bb.2507:                             ;   in Loop: Header=BB4_2371 Depth=4
	v_add_u32_e32 v7, 15, v23
	v_cmp_lt_u64_e32 vcc, s[56:57], v[20:21]
	v_cndmask_b32_e32 v7, v22, v7, vcc
	v_cndmask_b32_e64 v22, 0, 1, vcc
	v_lshrrev_b64 v[20:21], v22, v[20:21]
; %bb.2508:                             ;   in Loop: Header=BB4_2371 Depth=4
	s_andn2_saveexec_b64 vcc, s[30:31]
; %bb.2509:                             ;   in Loop: Header=BB4_2371 Depth=4
	v_bfe_u32 v7, v20, 23, 1
; %bb.2510:                             ;   in Loop: Header=BB4_2371 Depth=4
	s_or_b64 exec, exec, vcc
	v_lshrrev_b64 v[20:21], 21, v[20:21]
	v_cmp_gt_i32_e32 vcc, 32, v7
	v_cndmask_b32_e32 v21, 0, v21, vcc
	v_cndmask_b32_e32 v20, 3, v20, vcc
	v_cmp_eq_u32_e32 vcc, 0, v7
	v_min_i32_e32 v7, 31, v7
	v_cmp_eq_u64_e64 s[30:31], 0, v[20:21]
	v_lshlrev_b32_e32 v7, 2, v7
	v_and_or_b32 v7, v20, 3, v7
	s_and_b64 vcc, vcc, s[30:31]
	v_cndmask_b32_e64 v7, v7, 0, vcc
	v_or_b32_e32 v7, v7, v0
.LBB4_2511:                             ;   in Loop: Header=BB4_2371 Depth=4
	s_or_b64 exec, exec, s[74:75]
.LBB4_2512:                             ;   in Loop: Header=BB4_2371 Depth=4
	s_or_b64 exec, exec, s[72:73]
                                        ; implicit-def: $vgpr21
.LBB4_2513:                             ;   in Loop: Header=BB4_2371 Depth=4
	s_andn2_saveexec_b64 s[30:31], s[70:71]
; %bb.2514:                             ;   in Loop: Header=BB4_2371 Depth=4
	v_or_b32_sdwa v0, v21, s39 dst_sel:DWORD dst_unused:UNUSED_PAD src0_sel:BYTE_3 src1_sel:DWORD
	v_cmp_eq_u64_e32 vcc, 0, v[42:43]
	v_cndmask_b32_e32 v7, v0, v7, vcc
; %bb.2515:                             ;   in Loop: Header=BB4_2371 Depth=4
	s_or_b64 exec, exec, s[30:31]
	v_lshrrev_b32_e32 v22, 24, v12
	v_lshrrev_b32_e32 v20, 24, v8
	v_cmp_lt_u32_e64 s[30:31], s43, v12
	s_and_b64 vcc, exec, s[68:69]
	s_cbranch_vccz .LBB4_2533
; %bb.2516:                             ;   in Loop: Header=BB4_2371 Depth=4
	v_mov_b32_e32 v21, 0
	v_mov_b32_e32 v0, 0
	s_and_saveexec_b64 s[70:71], s[30:31]
	s_cbranch_execz .LBB4_2524
; %bb.2517:                             ;   in Loop: Header=BB4_2371 Depth=4
	v_cmp_ne_u32_e32 vcc, s97, v22
	v_bfrev_b32_e32 v0, 1
	s_and_saveexec_b64 s[72:73], vcc
	s_cbranch_execz .LBB4_2523
; %bb.2518:                             ;   in Loop: Header=BB4_2371 Depth=4
	v_and_b32_e32 v0, 0x7c000000, v12
	v_bfe_u32 v23, v12, 24, 2
	v_cmp_ne_u32_e32 vcc, s37, v0
                                        ; implicit-def: $vgpr0
	s_and_saveexec_b64 s[74:75], vcc
	s_xor_b64 s[74:75], exec, s[74:75]
	s_cbranch_execz .LBB4_2520
; %bb.2519:                             ;   in Loop: Header=BB4_2371 Depth=4
	v_ffbh_u32_e32 v24, v23
	v_min_u32_e32 v30, 32, v24
	v_subrev_u32_e32 v24, 29, v30
	v_bfe_u32 v0, v12, 26, 5
	v_lshlrev_b64 v[24:25], v24, v[22:23]
	v_sub_u32_e32 v25, 30, v30
	v_and_b32_e32 v24, 3, v24
	v_cmp_eq_u32_e32 vcc, 0, v0
	v_cndmask_b32_e32 v0, v0, v25, vcc
	v_cndmask_b32_e32 v23, v23, v24, vcc
	v_bfrev_b32_e32 v24, 28
	v_lshl_add_u32 v0, v0, 23, v24
	v_and_or_b32 v0, v12, s96, v0
	v_lshl_or_b32 v0, v23, 21, v0
                                        ; implicit-def: $vgpr23
.LBB4_2520:                             ;   in Loop: Header=BB4_2371 Depth=4
	s_andn2_saveexec_b64 s[74:75], s[74:75]
; %bb.2521:                             ;   in Loop: Header=BB4_2371 Depth=4
	v_cmp_lt_i32_e32 vcc, -1, v12
	v_cndmask_b32_e32 v0, v6, v1, vcc
	v_cmp_eq_u32_e32 vcc, 0, v23
	v_mov_b32_e32 v23, 0x7f800001
	v_cndmask_b32_e32 v0, v23, v0, vcc
; %bb.2522:                             ;   in Loop: Header=BB4_2371 Depth=4
	s_or_b64 exec, exec, s[74:75]
.LBB4_2523:                             ;   in Loop: Header=BB4_2371 Depth=4
	s_or_b64 exec, exec, s[72:73]
.LBB4_2524:                             ;   in Loop: Header=BB4_2371 Depth=4
	s_or_b64 exec, exec, s[70:71]
	v_cmp_lt_u32_e32 vcc, s43, v8
	s_and_saveexec_b64 s[70:71], vcc
	s_cbranch_execz .LBB4_2532
; %bb.2525:                             ;   in Loop: Header=BB4_2371 Depth=4
	v_cmp_ne_u32_e32 vcc, s97, v20
	v_bfrev_b32_e32 v21, 1
	s_and_saveexec_b64 s[72:73], vcc
	s_cbranch_execz .LBB4_2531
; %bb.2526:                             ;   in Loop: Header=BB4_2371 Depth=4
	v_and_b32_e32 v21, 0x7c000000, v8
	v_bfe_u32 v23, v8, 24, 2
	v_cmp_ne_u32_e32 vcc, s37, v21
                                        ; implicit-def: $vgpr21
	s_and_saveexec_b64 s[74:75], vcc
	s_xor_b64 s[74:75], exec, s[74:75]
	s_cbranch_execz .LBB4_2528
; %bb.2527:                             ;   in Loop: Header=BB4_2371 Depth=4
	v_ffbh_u32_e32 v24, v23
	v_min_u32_e32 v30, 32, v24
	v_bfe_u32 v21, v8, 26, 5
	v_subrev_u32_e32 v24, 29, v30
	v_lshlrev_b64 v[24:25], v24, v[20:21]
	v_sub_u32_e32 v25, 30, v30
	v_and_b32_e32 v24, 3, v24
	v_cmp_eq_u32_e32 vcc, 0, v21
	v_cndmask_b32_e32 v21, v21, v25, vcc
	v_cndmask_b32_e32 v23, v23, v24, vcc
	v_bfrev_b32_e32 v24, 28
	v_lshl_add_u32 v21, v21, 23, v24
	v_and_or_b32 v21, v8, s96, v21
	v_lshl_or_b32 v21, v23, 21, v21
                                        ; implicit-def: $vgpr23
.LBB4_2528:                             ;   in Loop: Header=BB4_2371 Depth=4
	s_andn2_saveexec_b64 s[74:75], s[74:75]
; %bb.2529:                             ;   in Loop: Header=BB4_2371 Depth=4
	v_cmp_lt_i32_e32 vcc, -1, v8
	v_cndmask_b32_e32 v21, v6, v1, vcc
	v_cmp_eq_u32_e32 vcc, 0, v23
	v_mov_b32_e32 v23, 0x7f800001
	v_cndmask_b32_e32 v21, v23, v21, vcc
; %bb.2530:                             ;   in Loop: Header=BB4_2371 Depth=4
	s_or_b64 exec, exec, s[74:75]
.LBB4_2531:                             ;   in Loop: Header=BB4_2371 Depth=4
	s_or_b64 exec, exec, s[72:73]
.LBB4_2532:                             ;   in Loop: Header=BB4_2371 Depth=4
	s_or_b64 exec, exec, s[70:71]
	v_max_f32_e32 v21, v21, v21
	v_max_f32_e32 v0, v0, v0
	;; [unrolled: 1-line block ×3, first 2 shown]
	s_branch .LBB4_2551
.LBB4_2533:                             ;   in Loop: Header=BB4_2371 Depth=4
                                        ; implicit-def: $vgpr21
	s_cbranch_execz .LBB4_2551
; %bb.2534:                             ;   in Loop: Header=BB4_2371 Depth=4
	v_mov_b32_e32 v21, 0
	v_mov_b32_e32 v0, 0
	s_and_saveexec_b64 s[70:71], s[30:31]
	s_cbranch_execz .LBB4_2542
; %bb.2535:                             ;   in Loop: Header=BB4_2371 Depth=4
	v_cmp_ne_u32_e32 vcc, s97, v22
	v_bfrev_b32_e32 v0, 1
	s_and_saveexec_b64 s[30:31], vcc
	s_cbranch_execz .LBB4_2541
; %bb.2536:                             ;   in Loop: Header=BB4_2371 Depth=4
	v_and_b32_e32 v0, 0x7c000000, v12
	v_bfe_u32 v23, v12, 24, 2
	v_cmp_ne_u32_e32 vcc, s37, v0
                                        ; implicit-def: $vgpr0
	s_and_saveexec_b64 s[72:73], vcc
	s_xor_b64 s[72:73], exec, s[72:73]
	s_cbranch_execz .LBB4_2538
; %bb.2537:                             ;   in Loop: Header=BB4_2371 Depth=4
	v_ffbh_u32_e32 v24, v23
	v_min_u32_e32 v30, 32, v24
	v_subrev_u32_e32 v24, 29, v30
	v_bfe_u32 v0, v12, 26, 5
	v_lshlrev_b64 v[24:25], v24, v[22:23]
	v_sub_u32_e32 v22, 30, v30
	v_and_b32_e32 v24, 3, v24
	v_cmp_eq_u32_e32 vcc, 0, v0
	v_cndmask_b32_e32 v0, v0, v22, vcc
	v_cndmask_b32_e32 v22, v23, v24, vcc
	v_bfrev_b32_e32 v23, 28
	v_lshl_add_u32 v0, v0, 23, v23
	v_and_or_b32 v0, v12, s96, v0
	v_lshl_or_b32 v0, v22, 21, v0
                                        ; implicit-def: $vgpr23
.LBB4_2538:                             ;   in Loop: Header=BB4_2371 Depth=4
	s_andn2_saveexec_b64 s[72:73], s[72:73]
; %bb.2539:                             ;   in Loop: Header=BB4_2371 Depth=4
	v_cmp_lt_i32_e32 vcc, -1, v12
	v_cndmask_b32_e32 v0, v6, v1, vcc
	v_cmp_eq_u32_e32 vcc, 0, v23
	v_mov_b32_e32 v22, 0x7f800001
	v_cndmask_b32_e32 v0, v22, v0, vcc
; %bb.2540:                             ;   in Loop: Header=BB4_2371 Depth=4
	s_or_b64 exec, exec, s[72:73]
.LBB4_2541:                             ;   in Loop: Header=BB4_2371 Depth=4
	s_or_b64 exec, exec, s[30:31]
.LBB4_2542:                             ;   in Loop: Header=BB4_2371 Depth=4
	s_or_b64 exec, exec, s[70:71]
	v_cmp_lt_u32_e32 vcc, s43, v8
	s_and_saveexec_b64 s[30:31], vcc
	s_cbranch_execz .LBB4_2550
; %bb.2543:                             ;   in Loop: Header=BB4_2371 Depth=4
	v_cmp_ne_u32_e32 vcc, s97, v20
	v_bfrev_b32_e32 v21, 1
	s_and_saveexec_b64 s[70:71], vcc
	s_cbranch_execz .LBB4_2549
; %bb.2544:                             ;   in Loop: Header=BB4_2371 Depth=4
	v_and_b32_e32 v21, 0x7c000000, v8
	v_bfe_u32 v22, v8, 24, 2
	v_cmp_ne_u32_e32 vcc, s37, v21
                                        ; implicit-def: $vgpr21
	s_and_saveexec_b64 s[72:73], vcc
	s_xor_b64 s[72:73], exec, s[72:73]
	s_cbranch_execz .LBB4_2546
; %bb.2545:                             ;   in Loop: Header=BB4_2371 Depth=4
	v_ffbh_u32_e32 v21, v22
	v_min_u32_e32 v24, 32, v21
	v_subrev_u32_e32 v21, 29, v24
	v_bfe_u32 v23, v8, 26, 5
	v_lshlrev_b64 v[20:21], v21, v[20:21]
	v_sub_u32_e32 v21, 30, v24
	v_and_b32_e32 v20, 3, v20
	v_cmp_eq_u32_e32 vcc, 0, v23
	v_cndmask_b32_e32 v21, v23, v21, vcc
	v_cndmask_b32_e32 v20, v22, v20, vcc
	v_bfrev_b32_e32 v22, 28
	v_lshl_add_u32 v21, v21, 23, v22
	v_and_or_b32 v21, v8, s96, v21
	v_lshl_or_b32 v21, v20, 21, v21
                                        ; implicit-def: $vgpr22
.LBB4_2546:                             ;   in Loop: Header=BB4_2371 Depth=4
	s_andn2_saveexec_b64 s[72:73], s[72:73]
; %bb.2547:                             ;   in Loop: Header=BB4_2371 Depth=4
	v_cmp_lt_i32_e32 vcc, -1, v8
	v_cndmask_b32_e32 v20, v6, v1, vcc
	v_cmp_eq_u32_e32 vcc, 0, v22
	v_mov_b32_e32 v21, 0x7f800001
	v_cndmask_b32_e32 v21, v21, v20, vcc
; %bb.2548:                             ;   in Loop: Header=BB4_2371 Depth=4
	s_or_b64 exec, exec, s[72:73]
.LBB4_2549:                             ;   in Loop: Header=BB4_2371 Depth=4
	s_or_b64 exec, exec, s[70:71]
.LBB4_2550:                             ;   in Loop: Header=BB4_2371 Depth=4
	s_or_b64 exec, exec, s[30:31]
	v_max_f32_e32 v20, v21, v21
	v_max_f32_e32 v0, v0, v0
	v_min_f32_e32 v21, v0, v20
.LBB4_2551:                             ;   in Loop: Header=BB4_2371 Depth=4
	v_and_b32_sdwa v0, v21, s97 dst_sel:DWORD dst_unused:UNUSED_PAD src0_sel:BYTE_3 src1_sel:DWORD
	v_and_b32_e32 v22, 0x7f800000, v21
	v_mov_b32_e32 v23, v43
	v_and_b32_e32 v42, 0x7fffff, v21
	v_or_b32_e32 v30, 0x7b, v0
	v_cmp_ne_u64_e32 vcc, s[52:53], v[22:23]
	s_and_saveexec_b64 s[30:31], vcc
	s_xor_b64 s[70:71], exec, s[30:31]
	s_cbranch_execz .LBB4_2561
; %bb.2552:                             ;   in Loop: Header=BB4_2371 Depth=4
	v_and_b32_e32 v22, 0x7fffffff, v21
	v_mov_b32_e32 v23, v43
	v_cmp_gt_u64_e32 vcc, s[54:55], v[22:23]
	s_and_saveexec_b64 s[72:73], vcc
	s_cbranch_execz .LBB4_2560
; %bb.2553:                             ;   in Loop: Header=BB4_2371 Depth=4
	v_cmp_ne_u32_e32 vcc, 0, v21
	v_mov_b32_e32 v30, 0
	s_and_saveexec_b64 s[74:75], vcc
	s_cbranch_execz .LBB4_2559
; %bb.2554:                             ;   in Loop: Header=BB4_2371 Depth=4
	v_bfe_u32 v20, v21, 23, 8
	v_cmp_eq_u32_e32 vcc, 0, v20
	v_add_u32_e32 v21, 0xffffff81, v20
	v_cmp_gt_u32_e64 s[30:31], s38, v20
	v_sub_u32_e32 v20, 0x71, v20
	v_mov_b32_e32 v23, 0xffffff82
	v_cndmask_b32_e64 v20, 0, v20, s[30:31]
	v_cndmask_b32_e32 v24, v21, v23, vcc
	v_mov_b32_e32 v21, 0x70
	v_cndmask_b32_e32 v25, v20, v21, vcc
	v_add_u32_e32 v20, 21, v25
	v_or_b32_e32 v22, 0x800000, v42
	v_lshlrev_b64 v[20:21], v20, -1
	v_cndmask_b32_e32 v42, v22, v42, vcc
	v_not_b32_e32 v21, v21
	v_not_b32_e32 v20, v20
	v_add_u32_e32 v22, 20, v25
	v_and_b32_e32 v21, 0, v21
	v_and_b32_e32 v20, v42, v20
	v_lshlrev_b64 v[22:23], v22, 1
	v_cmp_eq_u64_e32 vcc, v[20:21], v[22:23]
	v_lshrrev_b64 v[20:21], v25, v[42:43]
	v_lshrrev_b32_e32 v22, 23, v20
	v_add3_u32 v24, v25, v24, v22
	v_bfe_u32 v22, v20, 21, 1
	v_add_u32_e32 v22, -1, v22
	v_cndmask_b32_e32 v22, 0, v22, vcc
	v_add_u32_e32 v22, v22, v20
	v_and_b32_e32 v22, 0x1fffff, v22
	v_add_co_u32_e32 v20, vcc, v22, v20
	v_add_u32_e32 v23, 14, v24
	v_addc_co_u32_e32 v21, vcc, 0, v21, vcc
	v_cmp_ne_u32_e32 vcc, 0, v23
                                        ; implicit-def: $vgpr22
	s_and_saveexec_b64 s[30:31], vcc
	s_xor_b64 s[30:31], exec, s[30:31]
; %bb.2555:                             ;   in Loop: Header=BB4_2371 Depth=4
	v_add_u32_e32 v22, 15, v24
	v_cmp_lt_u64_e32 vcc, s[56:57], v[20:21]
	v_cndmask_b32_e32 v22, v23, v22, vcc
	v_cndmask_b32_e64 v23, 0, 1, vcc
	v_lshrrev_b64 v[20:21], v23, v[20:21]
; %bb.2556:                             ;   in Loop: Header=BB4_2371 Depth=4
	s_andn2_saveexec_b64 vcc, s[30:31]
; %bb.2557:                             ;   in Loop: Header=BB4_2371 Depth=4
	v_bfe_u32 v22, v20, 23, 1
; %bb.2558:                             ;   in Loop: Header=BB4_2371 Depth=4
	s_or_b64 exec, exec, vcc
	v_lshrrev_b64 v[20:21], 21, v[20:21]
	v_cmp_gt_i32_e32 vcc, 32, v22
	v_cndmask_b32_e32 v21, 0, v21, vcc
	v_cndmask_b32_e32 v20, 3, v20, vcc
	v_cmp_eq_u64_e64 s[30:31], 0, v[20:21]
	v_min_i32_e32 v21, 31, v22
	v_cmp_eq_u32_e32 vcc, 0, v22
	v_lshlrev_b32_e32 v21, 2, v21
	v_and_or_b32 v20, v20, 3, v21
	s_and_b64 vcc, vcc, s[30:31]
	v_cndmask_b32_e64 v20, v20, 0, vcc
	v_or_b32_e32 v30, v20, v0
.LBB4_2559:                             ;   in Loop: Header=BB4_2371 Depth=4
	s_or_b64 exec, exec, s[74:75]
.LBB4_2560:                             ;   in Loop: Header=BB4_2371 Depth=4
	s_or_b64 exec, exec, s[72:73]
                                        ; implicit-def: $vgpr21
.LBB4_2561:                             ;   in Loop: Header=BB4_2371 Depth=4
	s_andn2_saveexec_b64 s[30:31], s[70:71]
; %bb.2562:                             ;   in Loop: Header=BB4_2371 Depth=4
	v_or_b32_sdwa v0, v21, s39 dst_sel:DWORD dst_unused:UNUSED_PAD src0_sel:BYTE_3 src1_sel:DWORD
	v_cmp_eq_u64_e32 vcc, 0, v[42:43]
	v_cndmask_b32_e32 v30, v0, v30, vcc
; %bb.2563:                             ;   in Loop: Header=BB4_2371 Depth=4
	s_or_b64 exec, exec, s[30:31]
	v_mov_b32_e32 v42, v13
	v_mov_b32_e32 v20, v9
	;; [unrolled: 1-line block ×3, first 2 shown]
	v_cmp_ne_u16_sdwa s[30:31], v13, v43 src0_sel:BYTE_0 src1_sel:DWORD
	s_and_b64 vcc, exec, s[68:69]
	s_cbranch_vccz .LBB4_2581
; %bb.2564:                             ;   in Loop: Header=BB4_2371 Depth=4
	v_mov_b32_e32 v22, 0
	v_mov_b32_e32 v0, 0
	s_and_saveexec_b64 s[70:71], s[30:31]
	s_cbranch_execz .LBB4_2572
; %bb.2565:                             ;   in Loop: Header=BB4_2371 Depth=4
	v_cmp_ne_u16_sdwa vcc, v13, s97 src0_sel:BYTE_0 src1_sel:DWORD
	v_bfrev_b32_e32 v0, 1
	s_and_saveexec_b64 s[72:73], vcc
	s_cbranch_execz .LBB4_2571
; %bb.2566:                             ;   in Loop: Header=BB4_2371 Depth=4
	v_and_b32_e32 v0, 0x7c, v13
	v_and_b32_e32 v23, 3, v13
	v_cmp_ne_u32_e32 vcc, s95, v0
                                        ; implicit-def: $vgpr0
	s_and_saveexec_b64 s[74:75], vcc
	s_xor_b64 s[74:75], exec, s[74:75]
	s_cbranch_execz .LBB4_2568
; %bb.2567:                             ;   in Loop: Header=BB4_2371 Depth=4
	v_ffbh_u32_e32 v24, v23
	v_min_u32_e32 v32, 32, v24
	v_subrev_u32_e32 v24, 29, v32
	v_bfe_u32 v0, v13, 2, 5
	v_lshlrev_b64 v[24:25], v24, v[42:43]
	v_sub_u32_e32 v25, 30, v32
	v_cmp_eq_u32_e32 vcc, 0, v0
	v_and_b32_e32 v24, 3, v24
	v_cndmask_b32_e32 v0, v0, v25, vcc
	v_bfrev_b32_e32 v25, 28
	v_cndmask_b32_e32 v23, v23, v24, vcc
	v_lshlrev_b32_e32 v24, 24, v13
	v_lshl_add_u32 v0, v0, 23, v25
	v_and_or_b32 v0, v24, s96, v0
	v_lshl_or_b32 v0, v23, 21, v0
                                        ; implicit-def: $vgpr23
.LBB4_2568:                             ;   in Loop: Header=BB4_2371 Depth=4
	s_andn2_saveexec_b64 s[74:75], s[74:75]
; %bb.2569:                             ;   in Loop: Header=BB4_2371 Depth=4
	v_mov_b32_e32 v0, -1
	v_cmp_gt_i16_sdwa vcc, sext(v13), v0 src0_sel:BYTE_0 src1_sel:DWORD
	v_cndmask_b32_e32 v0, v6, v1, vcc
	v_cmp_eq_u32_e32 vcc, 0, v23
	v_mov_b32_e32 v23, 0x7f800001
	v_cndmask_b32_e32 v0, v23, v0, vcc
; %bb.2570:                             ;   in Loop: Header=BB4_2371 Depth=4
	s_or_b64 exec, exec, s[74:75]
.LBB4_2571:                             ;   in Loop: Header=BB4_2371 Depth=4
	s_or_b64 exec, exec, s[72:73]
.LBB4_2572:                             ;   in Loop: Header=BB4_2371 Depth=4
	s_or_b64 exec, exec, s[70:71]
	v_cmp_ne_u16_sdwa vcc, v9, v43 src0_sel:BYTE_0 src1_sel:DWORD
	s_and_saveexec_b64 s[70:71], vcc
	s_cbranch_execz .LBB4_2580
; %bb.2573:                             ;   in Loop: Header=BB4_2371 Depth=4
	v_cmp_ne_u16_sdwa vcc, v9, s97 src0_sel:BYTE_0 src1_sel:DWORD
	v_bfrev_b32_e32 v22, 1
	s_and_saveexec_b64 s[72:73], vcc
	s_cbranch_execz .LBB4_2579
; %bb.2574:                             ;   in Loop: Header=BB4_2371 Depth=4
	v_and_b32_e32 v22, 0x7c, v9
	v_and_b32_e32 v23, 3, v9
	v_cmp_ne_u32_e32 vcc, s95, v22
                                        ; implicit-def: $vgpr22
	s_and_saveexec_b64 s[74:75], vcc
	s_xor_b64 s[74:75], exec, s[74:75]
	s_cbranch_execz .LBB4_2576
; %bb.2575:                             ;   in Loop: Header=BB4_2371 Depth=4
	v_ffbh_u32_e32 v24, v23
	v_min_u32_e32 v32, 32, v24
	v_subrev_u32_e32 v24, 29, v32
	v_bfe_u32 v22, v9, 2, 5
	v_lshlrev_b64 v[24:25], v24, v[20:21]
	v_sub_u32_e32 v25, 30, v32
	v_cmp_eq_u32_e32 vcc, 0, v22
	v_and_b32_e32 v24, 3, v24
	v_cndmask_b32_e32 v22, v22, v25, vcc
	v_bfrev_b32_e32 v25, 28
	v_cndmask_b32_e32 v23, v23, v24, vcc
	v_lshlrev_b32_e32 v24, 24, v9
	v_lshl_add_u32 v22, v22, 23, v25
	v_and_or_b32 v22, v24, s96, v22
	v_lshl_or_b32 v22, v23, 21, v22
                                        ; implicit-def: $vgpr23
.LBB4_2576:                             ;   in Loop: Header=BB4_2371 Depth=4
	s_andn2_saveexec_b64 s[74:75], s[74:75]
; %bb.2577:                             ;   in Loop: Header=BB4_2371 Depth=4
	v_mov_b32_e32 v22, -1
	v_cmp_gt_i16_sdwa vcc, sext(v9), v22 src0_sel:BYTE_0 src1_sel:DWORD
	v_cndmask_b32_e32 v22, v6, v1, vcc
	v_cmp_eq_u32_e32 vcc, 0, v23
	v_mov_b32_e32 v23, 0x7f800001
	v_cndmask_b32_e32 v22, v23, v22, vcc
; %bb.2578:                             ;   in Loop: Header=BB4_2371 Depth=4
	s_or_b64 exec, exec, s[74:75]
.LBB4_2579:                             ;   in Loop: Header=BB4_2371 Depth=4
	s_or_b64 exec, exec, s[72:73]
.LBB4_2580:                             ;   in Loop: Header=BB4_2371 Depth=4
	s_or_b64 exec, exec, s[70:71]
	v_max_f32_e32 v22, v22, v22
	v_max_f32_e32 v0, v0, v0
	;; [unrolled: 1-line block ×3, first 2 shown]
	s_branch .LBB4_2599
.LBB4_2581:                             ;   in Loop: Header=BB4_2371 Depth=4
                                        ; implicit-def: $vgpr24
	s_cbranch_execz .LBB4_2599
; %bb.2582:                             ;   in Loop: Header=BB4_2371 Depth=4
	v_mov_b32_e32 v22, 0
	v_mov_b32_e32 v0, 0
	s_and_saveexec_b64 s[70:71], s[30:31]
	s_cbranch_execz .LBB4_2590
; %bb.2583:                             ;   in Loop: Header=BB4_2371 Depth=4
	v_cmp_ne_u16_sdwa vcc, v13, s97 src0_sel:BYTE_0 src1_sel:DWORD
	v_bfrev_b32_e32 v0, 1
	s_and_saveexec_b64 s[30:31], vcc
	s_cbranch_execz .LBB4_2589
; %bb.2584:                             ;   in Loop: Header=BB4_2371 Depth=4
	v_and_b32_e32 v0, 0x7c, v13
	v_and_b32_e32 v23, 3, v13
	v_cmp_ne_u32_e32 vcc, s95, v0
                                        ; implicit-def: $vgpr0
	s_and_saveexec_b64 s[72:73], vcc
	s_xor_b64 s[72:73], exec, s[72:73]
	s_cbranch_execz .LBB4_2586
; %bb.2585:                             ;   in Loop: Header=BB4_2371 Depth=4
	v_ffbh_u32_e32 v24, v23
	v_min_u32_e32 v32, 32, v24
	v_subrev_u32_e32 v24, 29, v32
	v_bfe_u32 v0, v13, 2, 5
	v_lshlrev_b64 v[24:25], v24, v[42:43]
	v_sub_u32_e32 v25, 30, v32
	v_cmp_eq_u32_e32 vcc, 0, v0
	v_and_b32_e32 v24, 3, v24
	v_cndmask_b32_e32 v0, v0, v25, vcc
	v_bfrev_b32_e32 v25, 28
	v_cndmask_b32_e32 v23, v23, v24, vcc
	v_lshlrev_b32_e32 v24, 24, v13
	v_lshl_add_u32 v0, v0, 23, v25
	v_and_or_b32 v0, v24, s96, v0
	v_lshl_or_b32 v0, v23, 21, v0
                                        ; implicit-def: $vgpr23
.LBB4_2586:                             ;   in Loop: Header=BB4_2371 Depth=4
	s_andn2_saveexec_b64 s[72:73], s[72:73]
; %bb.2587:                             ;   in Loop: Header=BB4_2371 Depth=4
	v_mov_b32_e32 v0, -1
	v_cmp_gt_i16_sdwa vcc, sext(v13), v0 src0_sel:BYTE_0 src1_sel:DWORD
	v_cndmask_b32_e32 v0, v6, v1, vcc
	v_cmp_eq_u32_e32 vcc, 0, v23
	v_mov_b32_e32 v23, 0x7f800001
	v_cndmask_b32_e32 v0, v23, v0, vcc
; %bb.2588:                             ;   in Loop: Header=BB4_2371 Depth=4
	s_or_b64 exec, exec, s[72:73]
.LBB4_2589:                             ;   in Loop: Header=BB4_2371 Depth=4
	s_or_b64 exec, exec, s[30:31]
.LBB4_2590:                             ;   in Loop: Header=BB4_2371 Depth=4
	s_or_b64 exec, exec, s[70:71]
	v_cmp_ne_u16_sdwa vcc, v9, v43 src0_sel:BYTE_0 src1_sel:DWORD
	s_and_saveexec_b64 s[30:31], vcc
	s_cbranch_execz .LBB4_2598
; %bb.2591:                             ;   in Loop: Header=BB4_2371 Depth=4
	v_cmp_ne_u16_sdwa vcc, v9, s97 src0_sel:BYTE_0 src1_sel:DWORD
	v_bfrev_b32_e32 v22, 1
	s_and_saveexec_b64 s[70:71], vcc
	s_cbranch_execz .LBB4_2597
; %bb.2592:                             ;   in Loop: Header=BB4_2371 Depth=4
	v_and_b32_e32 v22, 0x7c, v9
	v_and_b32_e32 v23, 3, v9
	v_cmp_ne_u32_e32 vcc, s95, v22
                                        ; implicit-def: $vgpr22
	s_and_saveexec_b64 s[72:73], vcc
	s_xor_b64 s[72:73], exec, s[72:73]
	s_cbranch_execz .LBB4_2594
; %bb.2593:                             ;   in Loop: Header=BB4_2371 Depth=4
	v_ffbh_u32_e32 v24, v23
	v_min_u32_e32 v32, 32, v24
	v_subrev_u32_e32 v24, 29, v32
	v_bfe_u32 v22, v9, 2, 5
	v_lshlrev_b64 v[24:25], v24, v[20:21]
	v_sub_u32_e32 v21, 30, v32
	v_and_b32_e32 v24, 3, v24
	v_cmp_eq_u32_e32 vcc, 0, v22
	v_cndmask_b32_e32 v21, v22, v21, vcc
	v_cndmask_b32_e32 v22, v23, v24, vcc
	v_bfrev_b32_e32 v24, 28
	v_lshlrev_b32_e32 v23, 24, v9
	v_lshl_add_u32 v21, v21, 23, v24
	v_and_or_b32 v21, v23, s96, v21
	v_lshl_or_b32 v22, v22, 21, v21
                                        ; implicit-def: $vgpr23
.LBB4_2594:                             ;   in Loop: Header=BB4_2371 Depth=4
	s_andn2_saveexec_b64 s[72:73], s[72:73]
; %bb.2595:                             ;   in Loop: Header=BB4_2371 Depth=4
	v_mov_b32_e32 v21, -1
	v_cmp_gt_i16_sdwa vcc, sext(v9), v21 src0_sel:BYTE_0 src1_sel:DWORD
	v_cndmask_b32_e32 v21, v6, v1, vcc
	v_cmp_eq_u32_e32 vcc, 0, v23
	v_mov_b32_e32 v22, 0x7f800001
	v_cndmask_b32_e32 v22, v22, v21, vcc
; %bb.2596:                             ;   in Loop: Header=BB4_2371 Depth=4
	s_or_b64 exec, exec, s[72:73]
.LBB4_2597:                             ;   in Loop: Header=BB4_2371 Depth=4
	s_or_b64 exec, exec, s[70:71]
.LBB4_2598:                             ;   in Loop: Header=BB4_2371 Depth=4
	s_or_b64 exec, exec, s[30:31]
	v_max_f32_e32 v21, v22, v22
	v_max_f32_e32 v0, v0, v0
	v_min_f32_e32 v24, v0, v21
.LBB4_2599:                             ;   in Loop: Header=BB4_2371 Depth=4
	v_and_b32_sdwa v0, v24, s97 dst_sel:DWORD dst_unused:UNUSED_PAD src0_sel:BYTE_3 src1_sel:DWORD
	v_and_b32_e32 v32, 0x7f800000, v24
	v_mov_b32_e32 v33, v43
	v_and_b32_e32 v22, 0x7fffff, v24
	v_mov_b32_e32 v23, v43
	v_or_b32_e32 v40, 0x7b, v0
	v_cmp_ne_u64_e32 vcc, s[52:53], v[32:33]
	s_and_saveexec_b64 s[30:31], vcc
	s_xor_b64 s[70:71], exec, s[30:31]
	s_cbranch_execz .LBB4_2609
; %bb.2600:                             ;   in Loop: Header=BB4_2371 Depth=4
	v_and_b32_e32 v32, 0x7fffffff, v24
	v_mov_b32_e32 v33, v43
	v_cmp_gt_u64_e32 vcc, s[54:55], v[32:33]
	s_and_saveexec_b64 s[72:73], vcc
	s_cbranch_execz .LBB4_2608
; %bb.2601:                             ;   in Loop: Header=BB4_2371 Depth=4
	v_cmp_ne_u32_e32 vcc, 0, v24
	v_mov_b32_e32 v40, 0
	s_and_saveexec_b64 s[74:75], vcc
	s_cbranch_execz .LBB4_2607
; %bb.2602:                             ;   in Loop: Header=BB4_2371 Depth=4
	v_bfe_u32 v21, v24, 23, 8
	v_cmp_eq_u32_e32 vcc, 0, v21
	v_add_u32_e32 v24, 0xffffff81, v21
	v_cmp_gt_u32_e64 s[30:31], s38, v21
	v_sub_u32_e32 v21, 0x71, v21
	v_mov_b32_e32 v32, 0xffffff82
	v_cndmask_b32_e64 v21, 0, v21, s[30:31]
	v_cndmask_b32_e32 v36, v24, v32, vcc
	v_mov_b32_e32 v24, 0x70
	v_cndmask_b32_e32 v21, v21, v24, vcc
	v_or_b32_e32 v25, 0x800000, v22
	v_add_u32_e32 v24, 21, v21
	v_cndmask_b32_e32 v22, v25, v22, vcc
	v_lshlrev_b64 v[24:25], v24, -1
	v_not_b32_e32 v25, v25
	v_not_b32_e32 v24, v24
	v_add_u32_e32 v32, 20, v21
	v_and_b32_e32 v25, 0, v25
	v_and_b32_e32 v24, v22, v24
	v_lshlrev_b64 v[32:33], v32, 1
	v_lshrrev_b64 v[22:23], v21, v[22:23]
	v_cmp_eq_u64_e32 vcc, v[24:25], v[32:33]
	v_lshrrev_b32_e32 v24, 23, v22
	v_add3_u32 v25, v21, v36, v24
	v_bfe_u32 v21, v22, 21, 1
	v_add_u32_e32 v21, -1, v21
	v_cndmask_b32_e32 v21, 0, v21, vcc
	v_add_u32_e32 v21, v21, v22
	v_and_b32_e32 v21, 0x1fffff, v21
	v_add_co_u32_e32 v22, vcc, v21, v22
	v_add_u32_e32 v24, 14, v25
	v_addc_co_u32_e32 v23, vcc, 0, v23, vcc
	v_cmp_ne_u32_e32 vcc, 0, v24
                                        ; implicit-def: $vgpr21
	s_and_saveexec_b64 s[30:31], vcc
	s_xor_b64 s[30:31], exec, s[30:31]
; %bb.2603:                             ;   in Loop: Header=BB4_2371 Depth=4
	v_add_u32_e32 v21, 15, v25
	v_cmp_lt_u64_e32 vcc, s[56:57], v[22:23]
	v_cndmask_b32_e32 v21, v24, v21, vcc
	v_cndmask_b32_e64 v24, 0, 1, vcc
	v_lshrrev_b64 v[22:23], v24, v[22:23]
; %bb.2604:                             ;   in Loop: Header=BB4_2371 Depth=4
	s_andn2_saveexec_b64 vcc, s[30:31]
; %bb.2605:                             ;   in Loop: Header=BB4_2371 Depth=4
	v_bfe_u32 v21, v22, 23, 1
; %bb.2606:                             ;   in Loop: Header=BB4_2371 Depth=4
	s_or_b64 exec, exec, vcc
	v_lshrrev_b64 v[22:23], 21, v[22:23]
	v_cmp_gt_i32_e32 vcc, 32, v21
	v_cndmask_b32_e32 v23, 0, v23, vcc
	v_cndmask_b32_e32 v22, 3, v22, vcc
	v_cmp_eq_u32_e32 vcc, 0, v21
	v_min_i32_e32 v21, 31, v21
	v_cmp_eq_u64_e64 s[30:31], 0, v[22:23]
	v_lshlrev_b32_e32 v21, 2, v21
	v_and_or_b32 v21, v22, 3, v21
	s_and_b64 vcc, vcc, s[30:31]
	v_cndmask_b32_e64 v21, v21, 0, vcc
	v_or_b32_e32 v40, v21, v0
.LBB4_2607:                             ;   in Loop: Header=BB4_2371 Depth=4
	s_or_b64 exec, exec, s[74:75]
.LBB4_2608:                             ;   in Loop: Header=BB4_2371 Depth=4
	s_or_b64 exec, exec, s[72:73]
                                        ; implicit-def: $vgpr24
                                        ; implicit-def: $vgpr22_vgpr23
.LBB4_2609:                             ;   in Loop: Header=BB4_2371 Depth=4
	s_andn2_saveexec_b64 s[30:31], s[70:71]
; %bb.2610:                             ;   in Loop: Header=BB4_2371 Depth=4
	v_or_b32_sdwa v0, v24, s39 dst_sel:DWORD dst_unused:UNUSED_PAD src0_sel:BYTE_3 src1_sel:DWORD
	v_cmp_eq_u64_e32 vcc, 0, v[22:23]
	v_cndmask_b32_e32 v40, v0, v40, vcc
; %bb.2611:                             ;   in Loop: Header=BB4_2371 Depth=4
	s_or_b64 exec, exec, s[30:31]
	v_lshrrev_b16_e32 v24, 8, v42
	v_lshrrev_b16_e32 v22, 8, v20
	v_cmp_ne_u16_e64 s[30:31], 0, v24
	s_and_b64 vcc, exec, s[68:69]
	s_cbranch_vccz .LBB4_2629
; %bb.2612:                             ;   in Loop: Header=BB4_2371 Depth=4
	v_mov_b32_e32 v21, 0
	v_mov_b32_e32 v0, 0
	s_and_saveexec_b64 s[70:71], s[30:31]
	s_cbranch_execz .LBB4_2620
; %bb.2613:                             ;   in Loop: Header=BB4_2371 Depth=4
	v_cmp_ne_u16_e32 vcc, s97, v24
	v_bfrev_b32_e32 v0, 1
	s_and_saveexec_b64 s[72:73], vcc
	s_cbranch_execz .LBB4_2619
; %bb.2614:                             ;   in Loop: Header=BB4_2371 Depth=4
	v_and_b32_e32 v0, 0x7c, v24
	v_and_b32_e32 v23, 3, v24
	v_cmp_ne_u32_e32 vcc, s95, v0
                                        ; implicit-def: $vgpr0
	s_and_saveexec_b64 s[74:75], vcc
	s_xor_b64 s[74:75], exec, s[74:75]
	s_cbranch_execz .LBB4_2616
; %bb.2615:                             ;   in Loop: Header=BB4_2371 Depth=4
	v_ffbh_u32_e32 v32, v23
	v_min_u32_e32 v36, 32, v32
	v_mov_b32_e32 v25, v43
	v_subrev_u32_e32 v32, 29, v36
	v_bfe_u32 v0, v24, 2, 5
	v_lshlrev_b64 v[32:33], v32, v[24:25]
	v_sub_u32_e32 v25, 30, v36
	v_and_b32_e32 v32, 3, v32
	v_cmp_eq_u32_e32 vcc, 0, v0
	v_cndmask_b32_e32 v0, v0, v25, vcc
	v_cndmask_b32_e32 v23, v23, v32, vcc
	v_bfrev_b32_e32 v32, 28
	v_lshlrev_b32_e32 v25, 16, v42
	v_lshl_add_u32 v0, v0, 23, v32
	v_and_or_b32 v0, v25, s96, v0
	v_lshl_or_b32 v0, v23, 21, v0
                                        ; implicit-def: $vgpr23
.LBB4_2616:                             ;   in Loop: Header=BB4_2371 Depth=4
	s_andn2_saveexec_b64 s[74:75], s[74:75]
; %bb.2617:                             ;   in Loop: Header=BB4_2371 Depth=4
	v_cmp_lt_i16_e32 vcc, -1, v42
	v_cndmask_b32_e32 v0, v6, v1, vcc
	v_cmp_eq_u32_e32 vcc, 0, v23
	v_mov_b32_e32 v23, 0x7f800001
	v_cndmask_b32_e32 v0, v23, v0, vcc
; %bb.2618:                             ;   in Loop: Header=BB4_2371 Depth=4
	s_or_b64 exec, exec, s[74:75]
.LBB4_2619:                             ;   in Loop: Header=BB4_2371 Depth=4
	s_or_b64 exec, exec, s[72:73]
.LBB4_2620:                             ;   in Loop: Header=BB4_2371 Depth=4
	s_or_b64 exec, exec, s[70:71]
	v_cmp_ne_u16_e32 vcc, 0, v22
	s_and_saveexec_b64 s[70:71], vcc
	s_cbranch_execz .LBB4_2628
; %bb.2621:                             ;   in Loop: Header=BB4_2371 Depth=4
	v_cmp_ne_u16_e32 vcc, s97, v22
	v_bfrev_b32_e32 v21, 1
	s_and_saveexec_b64 s[72:73], vcc
	s_cbranch_execz .LBB4_2627
; %bb.2622:                             ;   in Loop: Header=BB4_2371 Depth=4
	v_and_b32_e32 v21, 0x7c, v22
	v_and_b32_e32 v25, 3, v22
	v_cmp_ne_u32_e32 vcc, s95, v21
                                        ; implicit-def: $vgpr21
	s_and_saveexec_b64 s[74:75], vcc
	s_xor_b64 s[74:75], exec, s[74:75]
	s_cbranch_execz .LBB4_2624
; %bb.2623:                             ;   in Loop: Header=BB4_2371 Depth=4
	v_ffbh_u32_e32 v32, v25
	v_min_u32_e32 v36, 32, v32
	v_mov_b32_e32 v23, v43
	v_subrev_u32_e32 v32, 29, v36
	v_bfe_u32 v21, v22, 2, 5
	v_lshlrev_b64 v[32:33], v32, v[22:23]
	v_sub_u32_e32 v23, 30, v36
	v_and_b32_e32 v32, 3, v32
	v_cmp_eq_u32_e32 vcc, 0, v21
	v_cndmask_b32_e32 v21, v21, v23, vcc
	v_cndmask_b32_e32 v23, v25, v32, vcc
	v_bfrev_b32_e32 v32, 28
	v_lshlrev_b32_e32 v25, 16, v20
	v_lshl_add_u32 v21, v21, 23, v32
	v_and_or_b32 v21, v25, s96, v21
	v_lshl_or_b32 v21, v23, 21, v21
                                        ; implicit-def: $vgpr25
.LBB4_2624:                             ;   in Loop: Header=BB4_2371 Depth=4
	s_andn2_saveexec_b64 s[74:75], s[74:75]
; %bb.2625:                             ;   in Loop: Header=BB4_2371 Depth=4
	v_cmp_lt_i16_e32 vcc, -1, v20
	v_cndmask_b32_e32 v21, v6, v1, vcc
	v_cmp_eq_u32_e32 vcc, 0, v25
	v_mov_b32_e32 v23, 0x7f800001
	v_cndmask_b32_e32 v21, v23, v21, vcc
; %bb.2626:                             ;   in Loop: Header=BB4_2371 Depth=4
	s_or_b64 exec, exec, s[74:75]
.LBB4_2627:                             ;   in Loop: Header=BB4_2371 Depth=4
	s_or_b64 exec, exec, s[72:73]
.LBB4_2628:                             ;   in Loop: Header=BB4_2371 Depth=4
	s_or_b64 exec, exec, s[70:71]
	v_max_f32_e32 v21, v21, v21
	v_max_f32_e32 v0, v0, v0
	;; [unrolled: 1-line block ×3, first 2 shown]
	s_branch .LBB4_2647
.LBB4_2629:                             ;   in Loop: Header=BB4_2371 Depth=4
                                        ; implicit-def: $vgpr21
	s_cbranch_execz .LBB4_2647
; %bb.2630:                             ;   in Loop: Header=BB4_2371 Depth=4
	v_mov_b32_e32 v23, 0
	v_mov_b32_e32 v0, 0
	s_and_saveexec_b64 s[70:71], s[30:31]
	s_cbranch_execz .LBB4_2638
; %bb.2631:                             ;   in Loop: Header=BB4_2371 Depth=4
	v_cmp_ne_u16_e32 vcc, s97, v24
	v_bfrev_b32_e32 v0, 1
	s_and_saveexec_b64 s[30:31], vcc
	s_cbranch_execz .LBB4_2637
; %bb.2632:                             ;   in Loop: Header=BB4_2371 Depth=4
	v_and_b32_e32 v0, 0x7c, v24
	v_and_b32_e32 v21, 3, v24
	v_cmp_ne_u32_e32 vcc, s95, v0
                                        ; implicit-def: $vgpr0
	s_and_saveexec_b64 s[72:73], vcc
	s_xor_b64 s[72:73], exec, s[72:73]
	s_cbranch_execz .LBB4_2634
; %bb.2633:                             ;   in Loop: Header=BB4_2371 Depth=4
	v_ffbh_u32_e32 v32, v21
	v_min_u32_e32 v32, 32, v32
	v_mov_b32_e32 v25, v43
	v_subrev_u32_e32 v33, 29, v32
	v_bfe_u32 v0, v24, 2, 5
	v_lshlrev_b64 v[24:25], v33, v[24:25]
	v_sub_u32_e32 v25, 30, v32
	v_cmp_eq_u32_e32 vcc, 0, v0
	v_and_b32_e32 v24, 3, v24
	v_cndmask_b32_e32 v0, v0, v25, vcc
	v_bfrev_b32_e32 v25, 28
	v_cndmask_b32_e32 v21, v21, v24, vcc
	v_lshlrev_b32_e32 v24, 16, v42
	v_lshl_add_u32 v0, v0, 23, v25
	v_and_or_b32 v0, v24, s96, v0
	v_lshl_or_b32 v0, v21, 21, v0
                                        ; implicit-def: $vgpr21
.LBB4_2634:                             ;   in Loop: Header=BB4_2371 Depth=4
	s_andn2_saveexec_b64 s[72:73], s[72:73]
; %bb.2635:                             ;   in Loop: Header=BB4_2371 Depth=4
	v_cmp_lt_i16_e32 vcc, -1, v42
	v_cndmask_b32_e32 v0, v6, v1, vcc
	v_cmp_eq_u32_e32 vcc, 0, v21
	v_mov_b32_e32 v21, 0x7f800001
	v_cndmask_b32_e32 v0, v21, v0, vcc
; %bb.2636:                             ;   in Loop: Header=BB4_2371 Depth=4
	s_or_b64 exec, exec, s[72:73]
.LBB4_2637:                             ;   in Loop: Header=BB4_2371 Depth=4
	s_or_b64 exec, exec, s[30:31]
.LBB4_2638:                             ;   in Loop: Header=BB4_2371 Depth=4
	s_or_b64 exec, exec, s[70:71]
	v_cmp_ne_u16_e32 vcc, 0, v22
	s_and_saveexec_b64 s[30:31], vcc
	s_cbranch_execz .LBB4_2646
; %bb.2639:                             ;   in Loop: Header=BB4_2371 Depth=4
	v_cmp_ne_u16_e32 vcc, s97, v22
	v_bfrev_b32_e32 v23, 1
	s_and_saveexec_b64 s[70:71], vcc
	s_cbranch_execz .LBB4_2645
; %bb.2640:                             ;   in Loop: Header=BB4_2371 Depth=4
	v_and_b32_e32 v21, 0x7c, v22
	v_and_b32_e32 v24, 3, v22
	v_cmp_ne_u32_e32 vcc, s95, v21
                                        ; implicit-def: $vgpr23
	s_and_saveexec_b64 s[72:73], vcc
	s_xor_b64 s[72:73], exec, s[72:73]
	s_cbranch_execz .LBB4_2642
; %bb.2641:                             ;   in Loop: Header=BB4_2371 Depth=4
	v_ffbh_u32_e32 v25, v24
	v_min_u32_e32 v25, 32, v25
	v_mov_b32_e32 v23, v43
	v_subrev_u32_e32 v32, 29, v25
	v_bfe_u32 v21, v22, 2, 5
	v_lshlrev_b64 v[22:23], v32, v[22:23]
	v_sub_u32_e32 v23, 30, v25
	v_cmp_eq_u32_e32 vcc, 0, v21
	v_cndmask_b32_e32 v21, v21, v23, vcc
	v_bfrev_b32_e32 v23, 28
	v_and_b32_e32 v22, 3, v22
	v_lshlrev_b32_e32 v20, 16, v20
	v_lshl_add_u32 v21, v21, 23, v23
	v_cndmask_b32_e32 v22, v24, v22, vcc
	v_and_or_b32 v20, v20, s96, v21
	v_lshl_or_b32 v23, v22, 21, v20
                                        ; implicit-def: $vgpr24
                                        ; implicit-def: $vgpr20_vgpr21
.LBB4_2642:                             ;   in Loop: Header=BB4_2371 Depth=4
	s_andn2_saveexec_b64 s[72:73], s[72:73]
; %bb.2643:                             ;   in Loop: Header=BB4_2371 Depth=4
	v_cmp_lt_i16_e32 vcc, -1, v20
	v_cndmask_b32_e32 v20, v6, v1, vcc
	v_cmp_eq_u32_e32 vcc, 0, v24
	v_mov_b32_e32 v21, 0x7f800001
	v_cndmask_b32_e32 v23, v21, v20, vcc
; %bb.2644:                             ;   in Loop: Header=BB4_2371 Depth=4
	s_or_b64 exec, exec, s[72:73]
.LBB4_2645:                             ;   in Loop: Header=BB4_2371 Depth=4
	s_or_b64 exec, exec, s[70:71]
.LBB4_2646:                             ;   in Loop: Header=BB4_2371 Depth=4
	s_or_b64 exec, exec, s[30:31]
	v_max_f32_e32 v20, v23, v23
	v_max_f32_e32 v0, v0, v0
	v_min_f32_e32 v21, v0, v20
.LBB4_2647:                             ;   in Loop: Header=BB4_2371 Depth=4
	v_and_b32_sdwa v22, v21, s97 dst_sel:DWORD dst_unused:UNUSED_PAD src0_sel:BYTE_3 src1_sel:DWORD
	v_and_b32_e32 v24, 0x7f800000, v21
	v_mov_b32_e32 v25, v43
	v_and_b32_e32 v42, 0x7fffff, v21
	v_or_b32_e32 v0, 0x7b, v22
	v_cmp_ne_u64_e32 vcc, s[52:53], v[24:25]
	s_and_saveexec_b64 s[30:31], vcc
	s_xor_b64 s[70:71], exec, s[30:31]
	s_cbranch_execz .LBB4_2657
; %bb.2648:                             ;   in Loop: Header=BB4_2371 Depth=4
	v_and_b32_e32 v24, 0x7fffffff, v21
	v_mov_b32_e32 v25, v43
	v_cmp_gt_u64_e32 vcc, s[54:55], v[24:25]
	s_and_saveexec_b64 s[72:73], vcc
	s_cbranch_execz .LBB4_2656
; %bb.2649:                             ;   in Loop: Header=BB4_2371 Depth=4
	v_cmp_ne_u32_e32 vcc, 0, v21
	v_mov_b32_e32 v0, 0
	s_and_saveexec_b64 s[74:75], vcc
	s_cbranch_execz .LBB4_2655
; %bb.2650:                             ;   in Loop: Header=BB4_2371 Depth=4
	v_bfe_u32 v0, v21, 23, 8
	v_cmp_eq_u32_e32 vcc, 0, v0
	v_add_u32_e32 v20, 0xffffff81, v0
	v_cmp_gt_u32_e64 s[30:31], s38, v0
	v_sub_u32_e32 v0, 0x71, v0
	v_mov_b32_e32 v23, 0xffffff82
	v_cndmask_b32_e64 v0, 0, v0, s[30:31]
	v_cndmask_b32_e32 v23, v20, v23, vcc
	v_mov_b32_e32 v20, 0x70
	v_cndmask_b32_e32 v0, v0, v20, vcc
	v_or_b32_e32 v21, 0x800000, v42
	v_add_u32_e32 v20, 21, v0
	v_cndmask_b32_e32 v42, v21, v42, vcc
	v_lshlrev_b64 v[20:21], v20, -1
	v_not_b32_e32 v21, v21
	v_not_b32_e32 v20, v20
	v_add_u32_e32 v24, 20, v0
	v_and_b32_e32 v21, 0, v21
	v_and_b32_e32 v20, v42, v20
	v_lshlrev_b64 v[24:25], v24, 1
	v_cmp_eq_u64_e32 vcc, v[20:21], v[24:25]
	v_lshrrev_b64 v[20:21], v0, v[42:43]
	v_lshrrev_b32_e32 v24, 23, v20
	v_add3_u32 v24, v0, v23, v24
	v_bfe_u32 v0, v20, 21, 1
	v_add_u32_e32 v0, -1, v0
	v_cndmask_b32_e32 v0, 0, v0, vcc
	v_add_u32_e32 v0, v0, v20
	v_and_b32_e32 v0, 0x1fffff, v0
	v_add_co_u32_e32 v20, vcc, v0, v20
	v_add_u32_e32 v23, 14, v24
	v_addc_co_u32_e32 v21, vcc, 0, v21, vcc
	v_cmp_ne_u32_e32 vcc, 0, v23
                                        ; implicit-def: $vgpr0
	s_and_saveexec_b64 s[30:31], vcc
	s_xor_b64 s[30:31], exec, s[30:31]
; %bb.2651:                             ;   in Loop: Header=BB4_2371 Depth=4
	v_add_u32_e32 v0, 15, v24
	v_cmp_lt_u64_e32 vcc, s[56:57], v[20:21]
	v_cndmask_b32_e32 v0, v23, v0, vcc
	v_cndmask_b32_e64 v23, 0, 1, vcc
	v_lshrrev_b64 v[20:21], v23, v[20:21]
; %bb.2652:                             ;   in Loop: Header=BB4_2371 Depth=4
	s_andn2_saveexec_b64 vcc, s[30:31]
; %bb.2653:                             ;   in Loop: Header=BB4_2371 Depth=4
	v_bfe_u32 v0, v20, 23, 1
; %bb.2654:                             ;   in Loop: Header=BB4_2371 Depth=4
	s_or_b64 exec, exec, vcc
	v_lshrrev_b64 v[20:21], 21, v[20:21]
	v_cmp_gt_i32_e32 vcc, 32, v0
	v_cndmask_b32_e32 v21, 0, v21, vcc
	v_cndmask_b32_e32 v20, 3, v20, vcc
	v_cmp_eq_u32_e32 vcc, 0, v0
	v_min_i32_e32 v0, 31, v0
	v_cmp_eq_u64_e64 s[30:31], 0, v[20:21]
	v_lshlrev_b32_e32 v0, 2, v0
	v_and_or_b32 v0, v20, 3, v0
	s_and_b64 vcc, vcc, s[30:31]
	v_cndmask_b32_e64 v0, v0, 0, vcc
	v_or_b32_e32 v0, v0, v22
.LBB4_2655:                             ;   in Loop: Header=BB4_2371 Depth=4
	s_or_b64 exec, exec, s[74:75]
.LBB4_2656:                             ;   in Loop: Header=BB4_2371 Depth=4
	s_or_b64 exec, exec, s[72:73]
                                        ; implicit-def: $vgpr21
.LBB4_2657:                             ;   in Loop: Header=BB4_2371 Depth=4
	s_andn2_saveexec_b64 s[30:31], s[70:71]
; %bb.2658:                             ;   in Loop: Header=BB4_2371 Depth=4
	v_or_b32_sdwa v20, v21, s39 dst_sel:DWORD dst_unused:UNUSED_PAD src0_sel:BYTE_3 src1_sel:DWORD
	v_cmp_eq_u64_e32 vcc, 0, v[42:43]
	v_cndmask_b32_e32 v0, v20, v0, vcc
; %bb.2659:                             ;   in Loop: Header=BB4_2371 Depth=4
	s_or_b64 exec, exec, s[30:31]
	v_lshrrev_b32_e32 v22, 16, v13
	v_lshrrev_b32_e32 v20, 16, v9
	v_cmp_ne_u16_sdwa s[30:31], v22, v43 src0_sel:BYTE_0 src1_sel:DWORD
	s_and_b64 vcc, exec, s[68:69]
	s_cbranch_vccz .LBB4_2677
; %bb.2660:                             ;   in Loop: Header=BB4_2371 Depth=4
	v_mov_b32_e32 v23, 0
	v_mov_b32_e32 v21, 0
	s_and_saveexec_b64 s[70:71], s[30:31]
	s_cbranch_execz .LBB4_2668
; %bb.2661:                             ;   in Loop: Header=BB4_2371 Depth=4
	v_cmp_ne_u16_sdwa vcc, v22, s97 src0_sel:BYTE_0 src1_sel:DWORD
	v_bfrev_b32_e32 v21, 1
	s_and_saveexec_b64 s[72:73], vcc
	s_cbranch_execz .LBB4_2667
; %bb.2662:                             ;   in Loop: Header=BB4_2371 Depth=4
	v_and_b32_e32 v21, 0x7c0000, v13
	v_bfe_u32 v24, v13, 16, 2
	v_cmp_ne_u32_e32 vcc, s36, v21
                                        ; implicit-def: $vgpr21
	s_and_saveexec_b64 s[74:75], vcc
	s_xor_b64 s[74:75], exec, s[74:75]
	s_cbranch_execz .LBB4_2664
; %bb.2663:                             ;   in Loop: Header=BB4_2371 Depth=4
	v_ffbh_u32_e32 v25, v24
	v_min_u32_e32 v25, 32, v25
	v_subrev_u32_e32 v32, 29, v25
	v_bfe_u32 v21, v13, 18, 5
	v_lshlrev_b64 v[32:33], v32, v[22:23]
	v_sub_u32_e32 v25, 30, v25
	v_and_b32_e32 v32, 3, v32
	v_cmp_eq_u32_e32 vcc, 0, v21
	v_cndmask_b32_e32 v21, v21, v25, vcc
	v_cndmask_b32_e32 v24, v24, v32, vcc
	v_bfrev_b32_e32 v32, 28
	v_lshlrev_b32_e32 v25, 24, v22
	v_lshl_add_u32 v21, v21, 23, v32
	v_and_or_b32 v21, v25, s96, v21
	v_lshl_or_b32 v21, v24, 21, v21
                                        ; implicit-def: $vgpr24
.LBB4_2664:                             ;   in Loop: Header=BB4_2371 Depth=4
	s_andn2_saveexec_b64 s[74:75], s[74:75]
; %bb.2665:                             ;   in Loop: Header=BB4_2371 Depth=4
	v_mov_b32_e32 v21, -1
	v_cmp_gt_i16_sdwa vcc, sext(v22), v21 src0_sel:BYTE_0 src1_sel:DWORD
	v_cndmask_b32_e32 v21, v6, v1, vcc
	v_cmp_eq_u32_e32 vcc, 0, v24
	v_mov_b32_e32 v24, 0x7f800001
	v_cndmask_b32_e32 v21, v24, v21, vcc
; %bb.2666:                             ;   in Loop: Header=BB4_2371 Depth=4
	s_or_b64 exec, exec, s[74:75]
.LBB4_2667:                             ;   in Loop: Header=BB4_2371 Depth=4
	s_or_b64 exec, exec, s[72:73]
.LBB4_2668:                             ;   in Loop: Header=BB4_2371 Depth=4
	s_or_b64 exec, exec, s[70:71]
	v_cmp_ne_u16_sdwa vcc, v20, v43 src0_sel:BYTE_0 src1_sel:DWORD
	s_and_saveexec_b64 s[70:71], vcc
	s_cbranch_execz .LBB4_2676
; %bb.2669:                             ;   in Loop: Header=BB4_2371 Depth=4
	v_cmp_ne_u16_sdwa vcc, v20, s97 src0_sel:BYTE_0 src1_sel:DWORD
	v_bfrev_b32_e32 v23, 1
	s_and_saveexec_b64 s[72:73], vcc
	s_cbranch_execz .LBB4_2675
; %bb.2670:                             ;   in Loop: Header=BB4_2371 Depth=4
	v_and_b32_e32 v23, 0x7c0000, v9
	v_bfe_u32 v24, v9, 16, 2
	v_cmp_ne_u32_e32 vcc, s36, v23
                                        ; implicit-def: $vgpr23
	s_and_saveexec_b64 s[74:75], vcc
	s_xor_b64 s[74:75], exec, s[74:75]
	s_cbranch_execz .LBB4_2672
; %bb.2671:                             ;   in Loop: Header=BB4_2371 Depth=4
	v_ffbh_u32_e32 v25, v24
	v_min_u32_e32 v25, 32, v25
	v_subrev_u32_e32 v32, 29, v25
	v_bfe_u32 v23, v9, 18, 5
	v_lshlrev_b64 v[32:33], v32, v[20:21]
	v_sub_u32_e32 v25, 30, v25
	v_and_b32_e32 v32, 3, v32
	v_cmp_eq_u32_e32 vcc, 0, v23
	v_cndmask_b32_e32 v23, v23, v25, vcc
	v_cndmask_b32_e32 v24, v24, v32, vcc
	v_bfrev_b32_e32 v32, 28
	v_lshlrev_b32_e32 v25, 24, v20
	v_lshl_add_u32 v23, v23, 23, v32
	v_and_or_b32 v23, v25, s96, v23
	v_lshl_or_b32 v23, v24, 21, v23
                                        ; implicit-def: $vgpr24
.LBB4_2672:                             ;   in Loop: Header=BB4_2371 Depth=4
	s_andn2_saveexec_b64 s[74:75], s[74:75]
; %bb.2673:                             ;   in Loop: Header=BB4_2371 Depth=4
	v_mov_b32_e32 v23, -1
	v_cmp_gt_i16_sdwa vcc, sext(v20), v23 src0_sel:BYTE_0 src1_sel:DWORD
	v_cndmask_b32_e32 v23, v6, v1, vcc
	v_cmp_eq_u32_e32 vcc, 0, v24
	v_mov_b32_e32 v24, 0x7f800001
	v_cndmask_b32_e32 v23, v24, v23, vcc
; %bb.2674:                             ;   in Loop: Header=BB4_2371 Depth=4
	s_or_b64 exec, exec, s[74:75]
.LBB4_2675:                             ;   in Loop: Header=BB4_2371 Depth=4
	s_or_b64 exec, exec, s[72:73]
.LBB4_2676:                             ;   in Loop: Header=BB4_2371 Depth=4
	s_or_b64 exec, exec, s[70:71]
	v_max_f32_e32 v23, v23, v23
	v_max_f32_e32 v21, v21, v21
	;; [unrolled: 1-line block ×3, first 2 shown]
	s_branch .LBB4_2695
.LBB4_2677:                             ;   in Loop: Header=BB4_2371 Depth=4
                                        ; implicit-def: $vgpr21
	s_cbranch_execz .LBB4_2695
; %bb.2678:                             ;   in Loop: Header=BB4_2371 Depth=4
	v_mov_b32_e32 v23, 0
	v_mov_b32_e32 v21, 0
	s_and_saveexec_b64 s[70:71], s[30:31]
	s_cbranch_execz .LBB4_2686
; %bb.2679:                             ;   in Loop: Header=BB4_2371 Depth=4
	v_cmp_ne_u16_sdwa vcc, v22, s97 src0_sel:BYTE_0 src1_sel:DWORD
	v_bfrev_b32_e32 v21, 1
	s_and_saveexec_b64 s[30:31], vcc
	s_cbranch_execz .LBB4_2685
; %bb.2680:                             ;   in Loop: Header=BB4_2371 Depth=4
	v_and_b32_e32 v21, 0x7c0000, v13
	v_bfe_u32 v24, v13, 16, 2
	v_cmp_ne_u32_e32 vcc, s36, v21
                                        ; implicit-def: $vgpr21
	s_and_saveexec_b64 s[72:73], vcc
	s_xor_b64 s[72:73], exec, s[72:73]
	s_cbranch_execz .LBB4_2682
; %bb.2681:                             ;   in Loop: Header=BB4_2371 Depth=4
	v_ffbh_u32_e32 v25, v24
	v_bfe_u32 v21, v13, 18, 5
	v_min_u32_e32 v25, 32, v25
	v_subrev_u32_e32 v32, 29, v25
	v_sub_u32_e32 v25, 30, v25
	v_cmp_eq_u32_e32 vcc, 0, v21
	v_lshlrev_b64 v[32:33], v32, v[22:23]
	v_cndmask_b32_e32 v21, v21, v25, vcc
	v_bfrev_b32_e32 v25, 28
	v_and_b32_e32 v32, 3, v32
	v_lshlrev_b32_e32 v22, 24, v22
	v_lshl_add_u32 v21, v21, 23, v25
	v_cndmask_b32_e32 v24, v24, v32, vcc
	v_and_or_b32 v21, v22, s96, v21
	v_lshl_or_b32 v21, v24, 21, v21
                                        ; implicit-def: $vgpr24
                                        ; implicit-def: $vgpr22
.LBB4_2682:                             ;   in Loop: Header=BB4_2371 Depth=4
	s_andn2_saveexec_b64 s[72:73], s[72:73]
; %bb.2683:                             ;   in Loop: Header=BB4_2371 Depth=4
	v_mov_b32_e32 v21, -1
	v_cmp_gt_i16_sdwa vcc, sext(v22), v21 src0_sel:BYTE_0 src1_sel:DWORD
	v_cndmask_b32_e32 v21, v6, v1, vcc
	v_cmp_eq_u32_e32 vcc, 0, v24
	v_mov_b32_e32 v22, 0x7f800001
	v_cndmask_b32_e32 v21, v22, v21, vcc
; %bb.2684:                             ;   in Loop: Header=BB4_2371 Depth=4
	s_or_b64 exec, exec, s[72:73]
.LBB4_2685:                             ;   in Loop: Header=BB4_2371 Depth=4
	s_or_b64 exec, exec, s[30:31]
.LBB4_2686:                             ;   in Loop: Header=BB4_2371 Depth=4
	s_or_b64 exec, exec, s[70:71]
	v_cmp_ne_u16_sdwa vcc, v20, v43 src0_sel:BYTE_0 src1_sel:DWORD
	s_and_saveexec_b64 s[30:31], vcc
	s_cbranch_execz .LBB4_2694
; %bb.2687:                             ;   in Loop: Header=BB4_2371 Depth=4
	v_cmp_ne_u16_sdwa vcc, v20, s97 src0_sel:BYTE_0 src1_sel:DWORD
	v_bfrev_b32_e32 v23, 1
	s_and_saveexec_b64 s[70:71], vcc
	s_cbranch_execz .LBB4_2693
; %bb.2688:                             ;   in Loop: Header=BB4_2371 Depth=4
	v_and_b32_e32 v23, 0x7c0000, v9
	v_bfe_u32 v22, v9, 16, 2
	v_cmp_ne_u32_e32 vcc, s36, v23
                                        ; implicit-def: $vgpr23
	s_and_saveexec_b64 s[72:73], vcc
	s_xor_b64 s[72:73], exec, s[72:73]
	s_cbranch_execz .LBB4_2690
; %bb.2689:                             ;   in Loop: Header=BB4_2371 Depth=4
	v_ffbh_u32_e32 v24, v22
	v_min_u32_e32 v32, 32, v24
	v_subrev_u32_e32 v24, 29, v32
	v_bfe_u32 v23, v9, 18, 5
	v_lshlrev_b64 v[24:25], v24, v[20:21]
	v_sub_u32_e32 v25, 30, v32
	v_and_b32_e32 v24, 3, v24
	v_cmp_eq_u32_e32 vcc, 0, v23
	v_cndmask_b32_e32 v23, v23, v25, vcc
	v_cndmask_b32_e32 v22, v22, v24, vcc
	v_bfrev_b32_e32 v24, 28
	v_lshlrev_b32_e32 v20, 24, v20
	v_lshl_add_u32 v23, v23, 23, v24
	v_and_or_b32 v20, v20, s96, v23
	v_lshl_or_b32 v23, v22, 21, v20
                                        ; implicit-def: $vgpr22
                                        ; implicit-def: $vgpr20
.LBB4_2690:                             ;   in Loop: Header=BB4_2371 Depth=4
	s_andn2_saveexec_b64 s[72:73], s[72:73]
; %bb.2691:                             ;   in Loop: Header=BB4_2371 Depth=4
	v_mov_b32_e32 v23, -1
	v_cmp_gt_i16_sdwa vcc, sext(v20), v23 src0_sel:BYTE_0 src1_sel:DWORD
	v_cndmask_b32_e32 v20, v6, v1, vcc
	v_cmp_eq_u32_e32 vcc, 0, v22
	v_mov_b32_e32 v22, 0x7f800001
	v_cndmask_b32_e32 v23, v22, v20, vcc
; %bb.2692:                             ;   in Loop: Header=BB4_2371 Depth=4
	s_or_b64 exec, exec, s[72:73]
.LBB4_2693:                             ;   in Loop: Header=BB4_2371 Depth=4
	s_or_b64 exec, exec, s[70:71]
.LBB4_2694:                             ;   in Loop: Header=BB4_2371 Depth=4
	s_or_b64 exec, exec, s[30:31]
	v_max_f32_e32 v20, v23, v23
	v_max_f32_e32 v21, v21, v21
	v_min_f32_e32 v21, v21, v20
.LBB4_2695:                             ;   in Loop: Header=BB4_2371 Depth=4
	v_and_b32_sdwa v22, v21, s97 dst_sel:DWORD dst_unused:UNUSED_PAD src0_sel:BYTE_3 src1_sel:DWORD
	v_and_b32_e32 v24, 0x7f800000, v21
	v_mov_b32_e32 v25, v43
	v_and_b32_e32 v42, 0x7fffff, v21
	v_or_b32_e32 v23, 0x7b, v22
	v_cmp_ne_u64_e32 vcc, s[52:53], v[24:25]
	s_and_saveexec_b64 s[30:31], vcc
	s_xor_b64 s[70:71], exec, s[30:31]
	s_cbranch_execz .LBB4_2705
; %bb.2696:                             ;   in Loop: Header=BB4_2371 Depth=4
	v_and_b32_e32 v24, 0x7fffffff, v21
	v_mov_b32_e32 v25, v43
	v_cmp_gt_u64_e32 vcc, s[54:55], v[24:25]
	s_and_saveexec_b64 s[72:73], vcc
	s_cbranch_execz .LBB4_2704
; %bb.2697:                             ;   in Loop: Header=BB4_2371 Depth=4
	v_cmp_ne_u32_e32 vcc, 0, v21
	v_mov_b32_e32 v23, 0
	s_and_saveexec_b64 s[74:75], vcc
	s_cbranch_execz .LBB4_2703
; %bb.2698:                             ;   in Loop: Header=BB4_2371 Depth=4
	v_bfe_u32 v20, v21, 23, 8
	v_cmp_eq_u32_e32 vcc, 0, v20
	v_add_u32_e32 v21, 0xffffff81, v20
	v_cmp_gt_u32_e64 s[30:31], s38, v20
	v_sub_u32_e32 v20, 0x71, v20
	v_mov_b32_e32 v24, 0xffffff82
	v_cndmask_b32_e64 v20, 0, v20, s[30:31]
	v_cndmask_b32_e32 v32, v21, v24, vcc
	v_mov_b32_e32 v21, 0x70
	v_cndmask_b32_e32 v33, v20, v21, vcc
	v_add_u32_e32 v20, 21, v33
	v_or_b32_e32 v23, 0x800000, v42
	v_lshlrev_b64 v[20:21], v20, -1
	v_cndmask_b32_e32 v42, v23, v42, vcc
	v_not_b32_e32 v21, v21
	v_not_b32_e32 v20, v20
	v_add_u32_e32 v23, 20, v33
	v_and_b32_e32 v21, 0, v21
	v_and_b32_e32 v20, v42, v20
	v_lshlrev_b64 v[24:25], v23, 1
	v_cmp_eq_u64_e32 vcc, v[20:21], v[24:25]
	v_lshrrev_b64 v[20:21], v33, v[42:43]
	v_lshrrev_b32_e32 v23, 23, v20
	v_add3_u32 v25, v33, v32, v23
	v_bfe_u32 v23, v20, 21, 1
	v_add_u32_e32 v23, -1, v23
	v_cndmask_b32_e32 v23, 0, v23, vcc
	v_add_u32_e32 v23, v23, v20
	v_and_b32_e32 v23, 0x1fffff, v23
	v_add_co_u32_e32 v20, vcc, v23, v20
	v_add_u32_e32 v24, 14, v25
	v_addc_co_u32_e32 v21, vcc, 0, v21, vcc
	v_cmp_ne_u32_e32 vcc, 0, v24
                                        ; implicit-def: $vgpr23
	s_and_saveexec_b64 s[30:31], vcc
	s_xor_b64 s[30:31], exec, s[30:31]
; %bb.2699:                             ;   in Loop: Header=BB4_2371 Depth=4
	v_add_u32_e32 v23, 15, v25
	v_cmp_lt_u64_e32 vcc, s[56:57], v[20:21]
	v_cndmask_b32_e32 v23, v24, v23, vcc
	v_cndmask_b32_e64 v24, 0, 1, vcc
	v_lshrrev_b64 v[20:21], v24, v[20:21]
; %bb.2700:                             ;   in Loop: Header=BB4_2371 Depth=4
	s_andn2_saveexec_b64 vcc, s[30:31]
; %bb.2701:                             ;   in Loop: Header=BB4_2371 Depth=4
	v_bfe_u32 v23, v20, 23, 1
; %bb.2702:                             ;   in Loop: Header=BB4_2371 Depth=4
	s_or_b64 exec, exec, vcc
	v_lshrrev_b64 v[20:21], 21, v[20:21]
	v_cmp_gt_i32_e32 vcc, 32, v23
	v_cndmask_b32_e32 v21, 0, v21, vcc
	v_cndmask_b32_e32 v20, 3, v20, vcc
	v_cmp_eq_u64_e64 s[30:31], 0, v[20:21]
	v_min_i32_e32 v21, 31, v23
	v_cmp_eq_u32_e32 vcc, 0, v23
	v_lshlrev_b32_e32 v21, 2, v21
	v_and_or_b32 v20, v20, 3, v21
	s_and_b64 vcc, vcc, s[30:31]
	v_cndmask_b32_e64 v20, v20, 0, vcc
	v_or_b32_e32 v23, v20, v22
.LBB4_2703:                             ;   in Loop: Header=BB4_2371 Depth=4
	s_or_b64 exec, exec, s[74:75]
.LBB4_2704:                             ;   in Loop: Header=BB4_2371 Depth=4
	s_or_b64 exec, exec, s[72:73]
                                        ; implicit-def: $vgpr21
.LBB4_2705:                             ;   in Loop: Header=BB4_2371 Depth=4
	s_andn2_saveexec_b64 s[30:31], s[70:71]
; %bb.2706:                             ;   in Loop: Header=BB4_2371 Depth=4
	v_or_b32_sdwa v20, v21, s39 dst_sel:DWORD dst_unused:UNUSED_PAD src0_sel:BYTE_3 src1_sel:DWORD
	v_cmp_eq_u64_e32 vcc, 0, v[42:43]
	v_cndmask_b32_e32 v23, v20, v23, vcc
; %bb.2707:                             ;   in Loop: Header=BB4_2371 Depth=4
	s_or_b64 exec, exec, s[30:31]
	v_lshrrev_b32_e32 v22, 24, v13
	v_lshrrev_b32_e32 v20, 24, v9
	v_cmp_lt_u64_e64 s[30:31], s[42:43], v[12:13]
	s_and_b64 vcc, exec, s[68:69]
	s_cbranch_vccz .LBB4_2725
; %bb.2708:                             ;   in Loop: Header=BB4_2371 Depth=4
	v_mov_b32_e32 v24, 0
	v_mov_b32_e32 v21, 0
	s_and_saveexec_b64 s[70:71], s[30:31]
	s_cbranch_execz .LBB4_2716
; %bb.2709:                             ;   in Loop: Header=BB4_2371 Depth=4
	v_cmp_ne_u32_e32 vcc, s97, v22
	v_bfrev_b32_e32 v21, 1
	s_and_saveexec_b64 s[72:73], vcc
	s_cbranch_execz .LBB4_2715
; %bb.2710:                             ;   in Loop: Header=BB4_2371 Depth=4
	v_and_b32_e32 v21, 0x7c000000, v13
	v_bfe_u32 v25, v13, 24, 2
	v_cmp_ne_u32_e32 vcc, s37, v21
                                        ; implicit-def: $vgpr21
	s_and_saveexec_b64 s[74:75], vcc
	s_xor_b64 s[74:75], exec, s[74:75]
	s_cbranch_execz .LBB4_2712
; %bb.2711:                             ;   in Loop: Header=BB4_2371 Depth=4
	v_ffbh_u32_e32 v32, v25
	v_min_u32_e32 v36, 32, v32
	v_subrev_u32_e32 v32, 29, v36
	v_bfe_u32 v21, v13, 26, 5
	v_lshlrev_b64 v[32:33], v32, v[22:23]
	v_sub_u32_e32 v33, 30, v36
	v_and_b32_e32 v32, 3, v32
	v_cmp_eq_u32_e32 vcc, 0, v21
	v_cndmask_b32_e32 v21, v21, v33, vcc
	v_cndmask_b32_e32 v25, v25, v32, vcc
	v_bfrev_b32_e32 v32, 28
	v_lshl_add_u32 v21, v21, 23, v32
	v_and_or_b32 v21, v13, s96, v21
	v_lshl_or_b32 v21, v25, 21, v21
                                        ; implicit-def: $vgpr25
.LBB4_2712:                             ;   in Loop: Header=BB4_2371 Depth=4
	s_andn2_saveexec_b64 s[74:75], s[74:75]
; %bb.2713:                             ;   in Loop: Header=BB4_2371 Depth=4
	v_cmp_lt_i64_e32 vcc, -1, v[12:13]
	v_cndmask_b32_e32 v21, v6, v1, vcc
	v_cmp_eq_u32_e32 vcc, 0, v25
	v_mov_b32_e32 v25, 0x7f800001
	v_cndmask_b32_e32 v21, v25, v21, vcc
; %bb.2714:                             ;   in Loop: Header=BB4_2371 Depth=4
	s_or_b64 exec, exec, s[74:75]
.LBB4_2715:                             ;   in Loop: Header=BB4_2371 Depth=4
	s_or_b64 exec, exec, s[72:73]
.LBB4_2716:                             ;   in Loop: Header=BB4_2371 Depth=4
	s_or_b64 exec, exec, s[70:71]
	v_cmp_lt_u64_e32 vcc, s[42:43], v[8:9]
	s_and_saveexec_b64 s[70:71], vcc
	s_cbranch_execz .LBB4_2724
; %bb.2717:                             ;   in Loop: Header=BB4_2371 Depth=4
	v_cmp_ne_u32_e32 vcc, s97, v20
	v_bfrev_b32_e32 v24, 1
	s_and_saveexec_b64 s[72:73], vcc
	s_cbranch_execz .LBB4_2723
; %bb.2718:                             ;   in Loop: Header=BB4_2371 Depth=4
	v_and_b32_e32 v24, 0x7c000000, v9
	v_bfe_u32 v25, v9, 24, 2
	v_cmp_ne_u32_e32 vcc, s37, v24
                                        ; implicit-def: $vgpr24
	s_and_saveexec_b64 s[74:75], vcc
	s_xor_b64 s[74:75], exec, s[74:75]
	s_cbranch_execz .LBB4_2720
; %bb.2719:                             ;   in Loop: Header=BB4_2371 Depth=4
	v_ffbh_u32_e32 v32, v25
	v_min_u32_e32 v36, 32, v32
	v_subrev_u32_e32 v32, 29, v36
	v_bfe_u32 v24, v9, 26, 5
	v_lshlrev_b64 v[32:33], v32, v[20:21]
	v_sub_u32_e32 v33, 30, v36
	v_and_b32_e32 v32, 3, v32
	v_cmp_eq_u32_e32 vcc, 0, v24
	v_cndmask_b32_e32 v24, v24, v33, vcc
	v_cndmask_b32_e32 v25, v25, v32, vcc
	v_bfrev_b32_e32 v32, 28
	v_lshl_add_u32 v24, v24, 23, v32
	v_and_or_b32 v24, v9, s96, v24
	v_lshl_or_b32 v24, v25, 21, v24
                                        ; implicit-def: $vgpr25
.LBB4_2720:                             ;   in Loop: Header=BB4_2371 Depth=4
	s_andn2_saveexec_b64 s[74:75], s[74:75]
; %bb.2721:                             ;   in Loop: Header=BB4_2371 Depth=4
	v_cmp_lt_i64_e32 vcc, -1, v[8:9]
	v_cndmask_b32_e32 v24, v6, v1, vcc
	v_cmp_eq_u32_e32 vcc, 0, v25
	v_mov_b32_e32 v25, 0x7f800001
	v_cndmask_b32_e32 v24, v25, v24, vcc
; %bb.2722:                             ;   in Loop: Header=BB4_2371 Depth=4
	s_or_b64 exec, exec, s[74:75]
.LBB4_2723:                             ;   in Loop: Header=BB4_2371 Depth=4
	s_or_b64 exec, exec, s[72:73]
.LBB4_2724:                             ;   in Loop: Header=BB4_2371 Depth=4
	s_or_b64 exec, exec, s[70:71]
	v_max_f32_e32 v24, v24, v24
	v_max_f32_e32 v21, v21, v21
	;; [unrolled: 1-line block ×3, first 2 shown]
	s_branch .LBB4_2743
.LBB4_2725:                             ;   in Loop: Header=BB4_2371 Depth=4
                                        ; implicit-def: $vgpr21
	s_cbranch_execz .LBB4_2743
; %bb.2726:                             ;   in Loop: Header=BB4_2371 Depth=4
	v_mov_b32_e32 v24, 0
	v_mov_b32_e32 v21, 0
	s_and_saveexec_b64 s[70:71], s[30:31]
	s_cbranch_execz .LBB4_2734
; %bb.2727:                             ;   in Loop: Header=BB4_2371 Depth=4
	v_cmp_ne_u32_e32 vcc, s97, v22
	v_bfrev_b32_e32 v21, 1
	s_and_saveexec_b64 s[30:31], vcc
	s_cbranch_execz .LBB4_2733
; %bb.2728:                             ;   in Loop: Header=BB4_2371 Depth=4
	v_and_b32_e32 v21, 0x7c000000, v13
	v_bfe_u32 v25, v13, 24, 2
	v_cmp_ne_u32_e32 vcc, s37, v21
                                        ; implicit-def: $vgpr21
	s_and_saveexec_b64 s[72:73], vcc
	s_xor_b64 s[72:73], exec, s[72:73]
	s_cbranch_execz .LBB4_2730
; %bb.2729:                             ;   in Loop: Header=BB4_2371 Depth=4
	v_ffbh_u32_e32 v21, v25
	v_min_u32_e32 v21, 32, v21
	v_subrev_u32_e32 v32, 29, v21
	v_bfe_u32 v12, v13, 26, 5
	v_lshlrev_b64 v[32:33], v32, v[22:23]
	v_sub_u32_e32 v21, 30, v21
	v_and_b32_e32 v22, 3, v32
	v_cmp_eq_u32_e32 vcc, 0, v12
	v_cndmask_b32_e32 v12, v12, v21, vcc
	v_cndmask_b32_e32 v21, v25, v22, vcc
	v_bfrev_b32_e32 v22, 28
	v_lshl_add_u32 v12, v12, 23, v22
	v_and_or_b32 v12, v13, s96, v12
	v_lshl_or_b32 v21, v21, 21, v12
                                        ; implicit-def: $vgpr25
.LBB4_2730:                             ;   in Loop: Header=BB4_2371 Depth=4
	s_andn2_saveexec_b64 s[72:73], s[72:73]
; %bb.2731:                             ;   in Loop: Header=BB4_2371 Depth=4
	v_cmp_lt_i64_e32 vcc, -1, v[12:13]
	v_cndmask_b32_e32 v12, v6, v1, vcc
	v_cmp_eq_u32_e32 vcc, 0, v25
	v_mov_b32_e32 v13, 0x7f800001
	v_cndmask_b32_e32 v21, v13, v12, vcc
; %bb.2732:                             ;   in Loop: Header=BB4_2371 Depth=4
	s_or_b64 exec, exec, s[72:73]
.LBB4_2733:                             ;   in Loop: Header=BB4_2371 Depth=4
	s_or_b64 exec, exec, s[30:31]
.LBB4_2734:                             ;   in Loop: Header=BB4_2371 Depth=4
	s_or_b64 exec, exec, s[70:71]
	v_cmp_lt_u64_e32 vcc, s[42:43], v[8:9]
	s_and_saveexec_b64 s[30:31], vcc
	s_cbranch_execz .LBB4_2742
; %bb.2735:                             ;   in Loop: Header=BB4_2371 Depth=4
	v_cmp_ne_u32_e32 vcc, s97, v20
	v_bfrev_b32_e32 v24, 1
	s_and_saveexec_b64 s[70:71], vcc
	s_cbranch_execz .LBB4_2741
; %bb.2736:                             ;   in Loop: Header=BB4_2371 Depth=4
	v_and_b32_e32 v13, 0x7c000000, v9
	v_bfe_u32 v12, v9, 24, 2
	v_cmp_ne_u32_e32 vcc, s37, v13
                                        ; implicit-def: $vgpr24
	s_and_saveexec_b64 s[72:73], vcc
	s_xor_b64 s[72:73], exec, s[72:73]
	s_cbranch_execz .LBB4_2738
; %bb.2737:                             ;   in Loop: Header=BB4_2371 Depth=4
	v_ffbh_u32_e32 v13, v12
	v_bfe_u32 v8, v9, 26, 5
	v_min_u32_e32 v13, 32, v13
	v_subrev_u32_e32 v22, 29, v13
	v_sub_u32_e32 v13, 30, v13
	v_cmp_eq_u32_e32 vcc, 0, v8
	v_lshlrev_b64 v[24:25], v22, v[20:21]
	v_cndmask_b32_e32 v8, v8, v13, vcc
	v_bfrev_b32_e32 v13, 28
	v_and_b32_e32 v20, 3, v24
	v_lshl_add_u32 v8, v8, 23, v13
	v_cndmask_b32_e32 v12, v12, v20, vcc
	v_and_or_b32 v8, v9, s96, v8
	v_lshl_or_b32 v24, v12, 21, v8
                                        ; implicit-def: $vgpr12
.LBB4_2738:                             ;   in Loop: Header=BB4_2371 Depth=4
	s_andn2_saveexec_b64 s[72:73], s[72:73]
; %bb.2739:                             ;   in Loop: Header=BB4_2371 Depth=4
	v_cmp_lt_i64_e32 vcc, -1, v[8:9]
	v_cndmask_b32_e32 v8, v6, v1, vcc
	v_cmp_eq_u32_e32 vcc, 0, v12
	v_mov_b32_e32 v9, 0x7f800001
	v_cndmask_b32_e32 v24, v9, v8, vcc
; %bb.2740:                             ;   in Loop: Header=BB4_2371 Depth=4
	s_or_b64 exec, exec, s[72:73]
.LBB4_2741:                             ;   in Loop: Header=BB4_2371 Depth=4
	s_or_b64 exec, exec, s[70:71]
.LBB4_2742:                             ;   in Loop: Header=BB4_2371 Depth=4
	s_or_b64 exec, exec, s[30:31]
	v_max_f32_e32 v8, v24, v24
	v_max_f32_e32 v9, v21, v21
	v_min_f32_e32 v21, v9, v8
.LBB4_2743:                             ;   in Loop: Header=BB4_2371 Depth=4
	v_and_b32_sdwa v12, v21, s97 dst_sel:DWORD dst_unused:UNUSED_PAD src0_sel:BYTE_3 src1_sel:DWORD
	v_and_b32_e32 v8, 0x7f800000, v21
	v_mov_b32_e32 v9, v43
	v_and_b32_e32 v42, 0x7fffff, v21
	v_or_b32_e32 v22, 0x7b, v12
	v_cmp_ne_u64_e32 vcc, s[52:53], v[8:9]
	s_and_saveexec_b64 s[30:31], vcc
	s_xor_b64 s[70:71], exec, s[30:31]
	s_cbranch_execz .LBB4_2771
; %bb.2744:                             ;   in Loop: Header=BB4_2371 Depth=4
	v_and_b32_e32 v8, 0x7fffffff, v21
	v_mov_b32_e32 v9, v43
	v_cmp_gt_u64_e32 vcc, s[54:55], v[8:9]
	s_and_saveexec_b64 s[72:73], vcc
	s_cbranch_execz .LBB4_2752
; %bb.2745:                             ;   in Loop: Header=BB4_2371 Depth=4
	v_cmp_ne_u32_e32 vcc, 0, v21
	v_mov_b32_e32 v22, 0
	s_and_saveexec_b64 s[74:75], vcc
	s_cbranch_execz .LBB4_2751
; %bb.2746:                             ;   in Loop: Header=BB4_2371 Depth=4
	v_bfe_u32 v8, v21, 23, 8
	v_cmp_eq_u32_e32 vcc, 0, v8
	v_add_u32_e32 v9, 0xffffff81, v8
	v_cmp_gt_u32_e64 s[30:31], s38, v8
	v_sub_u32_e32 v8, 0x71, v8
	v_mov_b32_e32 v20, 0xffffff82
	v_cndmask_b32_e64 v8, 0, v8, s[30:31]
	v_cndmask_b32_e32 v22, v9, v20, vcc
	v_mov_b32_e32 v9, 0x70
	v_cndmask_b32_e32 v24, v8, v9, vcc
	v_add_u32_e32 v8, 21, v24
	v_or_b32_e32 v13, 0x800000, v42
	v_lshlrev_b64 v[8:9], v8, -1
	v_cndmask_b32_e32 v42, v13, v42, vcc
	v_not_b32_e32 v9, v9
	v_not_b32_e32 v8, v8
	v_add_u32_e32 v13, 20, v24
	v_and_b32_e32 v9, 0, v9
	v_and_b32_e32 v8, v42, v8
	v_lshlrev_b64 v[20:21], v13, 1
	v_cmp_eq_u64_e32 vcc, v[8:9], v[20:21]
	v_lshrrev_b64 v[8:9], v24, v[42:43]
	v_lshrrev_b32_e32 v13, 23, v8
	v_add3_u32 v21, v24, v22, v13
	v_bfe_u32 v13, v8, 21, 1
	v_add_u32_e32 v13, -1, v13
	v_cndmask_b32_e32 v13, 0, v13, vcc
	v_add_u32_e32 v13, v13, v8
	v_and_b32_e32 v13, 0x1fffff, v13
	v_add_co_u32_e32 v8, vcc, v13, v8
	v_add_u32_e32 v20, 14, v21
	v_addc_co_u32_e32 v9, vcc, 0, v9, vcc
	v_cmp_ne_u32_e32 vcc, 0, v20
                                        ; implicit-def: $vgpr13
	s_and_saveexec_b64 s[30:31], vcc
	s_xor_b64 s[30:31], exec, s[30:31]
; %bb.2747:                             ;   in Loop: Header=BB4_2371 Depth=4
	v_add_u32_e32 v13, 15, v21
	v_cmp_lt_u64_e32 vcc, s[56:57], v[8:9]
	v_cndmask_b32_e32 v13, v20, v13, vcc
	v_cndmask_b32_e64 v20, 0, 1, vcc
	v_lshrrev_b64 v[8:9], v20, v[8:9]
; %bb.2748:                             ;   in Loop: Header=BB4_2371 Depth=4
	s_andn2_saveexec_b64 vcc, s[30:31]
; %bb.2749:                             ;   in Loop: Header=BB4_2371 Depth=4
	v_bfe_u32 v13, v8, 23, 1
; %bb.2750:                             ;   in Loop: Header=BB4_2371 Depth=4
	s_or_b64 exec, exec, vcc
	v_lshrrev_b64 v[8:9], 21, v[8:9]
	v_cmp_gt_i32_e32 vcc, 32, v13
	v_cndmask_b32_e32 v9, 0, v9, vcc
	v_cndmask_b32_e32 v8, 3, v8, vcc
	v_cmp_eq_u64_e64 s[30:31], 0, v[8:9]
	v_min_i32_e32 v9, 31, v13
	v_lshlrev_b32_e32 v9, 2, v9
	v_cmp_eq_u32_e32 vcc, 0, v13
	v_and_b32_e32 v9, 0xfc, v9
	v_and_or_b32 v8, v8, 3, v9
	s_and_b64 vcc, vcc, s[30:31]
	v_cndmask_b32_e64 v8, v8, 0, vcc
	v_or_b32_e32 v22, v8, v12
.LBB4_2751:                             ;   in Loop: Header=BB4_2371 Depth=4
	s_or_b64 exec, exec, s[74:75]
.LBB4_2752:                             ;   in Loop: Header=BB4_2371 Depth=4
	s_or_b64 exec, exec, s[72:73]
                                        ; implicit-def: $vgpr21
	s_andn2_saveexec_b64 s[30:31], s[70:71]
	s_cbranch_execnz .LBB4_2772
.LBB4_2753:                             ;   in Loop: Header=BB4_2371 Depth=4
	s_or_b64 exec, exec, s[30:31]
	v_cmp_ne_u16_sdwa s[30:31], v14, v43 src0_sel:BYTE_0 src1_sel:DWORD
	s_and_b64 vcc, exec, s[68:69]
	s_cbranch_vccz .LBB4_2773
.LBB4_2754:                             ;   in Loop: Header=BB4_2371 Depth=4
	v_mov_b32_e32 v9, 0
	v_mov_b32_e32 v8, 0
	s_and_saveexec_b64 s[70:71], s[30:31]
	s_cbranch_execz .LBB4_2762
; %bb.2755:                             ;   in Loop: Header=BB4_2371 Depth=4
	v_cmp_ne_u16_sdwa vcc, sext(v14), s94 src0_sel:BYTE_0 src1_sel:DWORD
	v_bfrev_b32_e32 v8, 1
	s_and_saveexec_b64 s[72:73], vcc
	s_cbranch_execz .LBB4_2761
; %bb.2756:                             ;   in Loop: Header=BB4_2371 Depth=4
	v_and_b32_e32 v8, 0x7c, v14
	v_and_b32_e32 v12, 3, v14
	v_cmp_ne_u32_e32 vcc, s95, v8
                                        ; implicit-def: $vgpr8
	s_and_saveexec_b64 s[74:75], vcc
	s_xor_b64 s[74:75], exec, s[74:75]
	s_cbranch_execz .LBB4_2758
; %bb.2757:                             ;   in Loop: Header=BB4_2371 Depth=4
	v_ffbh_u32_e32 v13, v12
	v_min_u32_e32 v13, 32, v13
	v_subrev_u32_e32 v20, 29, v13
	v_bfe_u32 v8, v14, 2, 5
	v_lshlrev_b64 v[20:21], v20, v[14:15]
	v_sub_u32_e32 v13, 30, v13
	v_and_b32_e32 v20, 3, v20
	v_cmp_eq_u32_e32 vcc, 0, v8
	v_cndmask_b32_e32 v8, v8, v13, vcc
	v_cndmask_b32_e32 v12, v12, v20, vcc
	v_bfrev_b32_e32 v20, 28
	v_lshlrev_b32_e32 v13, 24, v14
	v_lshl_add_u32 v8, v8, 23, v20
	v_and_or_b32 v8, v13, s96, v8
	v_lshl_or_b32 v8, v12, 21, v8
                                        ; implicit-def: $vgpr12
.LBB4_2758:                             ;   in Loop: Header=BB4_2371 Depth=4
	s_andn2_saveexec_b64 s[74:75], s[74:75]
; %bb.2759:                             ;   in Loop: Header=BB4_2371 Depth=4
	v_mov_b32_e32 v8, -1
	v_cmp_gt_i16_sdwa vcc, sext(v14), v8 src0_sel:BYTE_0 src1_sel:DWORD
	v_cndmask_b32_e32 v8, v6, v1, vcc
	v_cmp_eq_u32_e32 vcc, 0, v12
	v_mov_b32_e32 v12, 0x7f800001
	v_cndmask_b32_e32 v8, v12, v8, vcc
; %bb.2760:                             ;   in Loop: Header=BB4_2371 Depth=4
	s_or_b64 exec, exec, s[74:75]
.LBB4_2761:                             ;   in Loop: Header=BB4_2371 Depth=4
	s_or_b64 exec, exec, s[72:73]
.LBB4_2762:                             ;   in Loop: Header=BB4_2371 Depth=4
	s_or_b64 exec, exec, s[70:71]
	v_cmp_ne_u16_sdwa vcc, sext(v10), v43 src0_sel:BYTE_0 src1_sel:DWORD
	s_and_saveexec_b64 s[70:71], vcc
	s_cbranch_execz .LBB4_2770
; %bb.2763:                             ;   in Loop: Header=BB4_2371 Depth=4
	v_cmp_ne_u16_sdwa vcc, sext(v10), s94 src0_sel:BYTE_0 src1_sel:DWORD
	v_bfrev_b32_e32 v9, 1
	s_and_saveexec_b64 s[72:73], vcc
	s_cbranch_execz .LBB4_2769
; %bb.2764:                             ;   in Loop: Header=BB4_2371 Depth=4
	v_and_b32_e32 v9, 0x7c, v10
	v_and_b32_e32 v12, 3, v10
	v_cmp_ne_u32_e32 vcc, s95, v9
                                        ; implicit-def: $vgpr9
	s_and_saveexec_b64 s[74:75], vcc
	s_xor_b64 s[74:75], exec, s[74:75]
	s_cbranch_execz .LBB4_2766
; %bb.2765:                             ;   in Loop: Header=BB4_2371 Depth=4
	v_ffbh_u32_e32 v13, v12
	v_min_u32_e32 v13, 32, v13
	v_subrev_u32_e32 v20, 29, v13
	v_bfe_u32 v9, v10, 2, 5
	v_lshlrev_b64 v[20:21], v20, v[10:11]
	v_sub_u32_e32 v13, 30, v13
	v_and_b32_e32 v20, 3, v20
	v_cmp_eq_u32_e32 vcc, 0, v9
	v_cndmask_b32_e32 v9, v9, v13, vcc
	v_cndmask_b32_e32 v12, v12, v20, vcc
	v_bfrev_b32_e32 v20, 28
	v_lshlrev_b32_e32 v13, 24, v10
	v_lshl_add_u32 v9, v9, 23, v20
	v_and_or_b32 v9, v13, s96, v9
	v_lshl_or_b32 v9, v12, 21, v9
                                        ; implicit-def: $vgpr12
.LBB4_2766:                             ;   in Loop: Header=BB4_2371 Depth=4
	s_andn2_saveexec_b64 s[74:75], s[74:75]
; %bb.2767:                             ;   in Loop: Header=BB4_2371 Depth=4
	v_mov_b32_e32 v9, -1
	v_cmp_gt_i16_sdwa vcc, sext(v10), v9 src0_sel:BYTE_0 src1_sel:DWORD
	v_cndmask_b32_e32 v9, v6, v1, vcc
	v_cmp_eq_u32_e32 vcc, 0, v12
	v_mov_b32_e32 v12, 0x7f800001
	v_cndmask_b32_e32 v9, v12, v9, vcc
; %bb.2768:                             ;   in Loop: Header=BB4_2371 Depth=4
	s_or_b64 exec, exec, s[74:75]
.LBB4_2769:                             ;   in Loop: Header=BB4_2371 Depth=4
	s_or_b64 exec, exec, s[72:73]
.LBB4_2770:                             ;   in Loop: Header=BB4_2371 Depth=4
	s_or_b64 exec, exec, s[70:71]
	v_max_f32_e32 v9, v9, v9
	v_max_f32_e32 v8, v8, v8
	;; [unrolled: 1-line block ×3, first 2 shown]
	s_branch .LBB4_2791
.LBB4_2771:                             ;   in Loop: Header=BB4_2371 Depth=4
	s_andn2_saveexec_b64 s[30:31], s[70:71]
	s_cbranch_execz .LBB4_2753
.LBB4_2772:                             ;   in Loop: Header=BB4_2371 Depth=4
	v_or_b32_sdwa v8, v21, s39 dst_sel:DWORD dst_unused:UNUSED_PAD src0_sel:BYTE_3 src1_sel:DWORD
	v_cmp_eq_u64_e32 vcc, 0, v[42:43]
	v_cndmask_b32_e32 v22, v8, v22, vcc
	s_or_b64 exec, exec, s[30:31]
	v_cmp_ne_u16_sdwa s[30:31], v14, v43 src0_sel:BYTE_0 src1_sel:DWORD
	s_and_b64 vcc, exec, s[68:69]
	s_cbranch_vccnz .LBB4_2754
.LBB4_2773:                             ;   in Loop: Header=BB4_2371 Depth=4
                                        ; implicit-def: $vgpr8
	s_cbranch_execz .LBB4_2791
; %bb.2774:                             ;   in Loop: Header=BB4_2371 Depth=4
	v_mov_b32_e32 v9, 0
	v_mov_b32_e32 v8, 0
	s_and_saveexec_b64 s[70:71], s[30:31]
	s_cbranch_execz .LBB4_2782
; %bb.2775:                             ;   in Loop: Header=BB4_2371 Depth=4
	v_cmp_ne_u16_sdwa vcc, sext(v14), s94 src0_sel:BYTE_0 src1_sel:DWORD
	v_bfrev_b32_e32 v8, 1
	s_and_saveexec_b64 s[30:31], vcc
	s_cbranch_execz .LBB4_2781
; %bb.2776:                             ;   in Loop: Header=BB4_2371 Depth=4
	v_and_b32_e32 v8, 0x7c, v14
	v_and_b32_e32 v12, 3, v14
	v_cmp_ne_u32_e32 vcc, s95, v8
                                        ; implicit-def: $vgpr8
	s_and_saveexec_b64 s[72:73], vcc
	s_xor_b64 s[72:73], exec, s[72:73]
	s_cbranch_execz .LBB4_2778
; %bb.2777:                             ;   in Loop: Header=BB4_2371 Depth=4
	v_ffbh_u32_e32 v13, v12
	v_min_u32_e32 v13, 32, v13
	v_subrev_u32_e32 v20, 29, v13
	v_bfe_u32 v8, v14, 2, 5
	v_lshlrev_b64 v[20:21], v20, v[14:15]
	v_sub_u32_e32 v13, 30, v13
	v_and_b32_e32 v20, 3, v20
	v_cmp_eq_u32_e32 vcc, 0, v8
	v_cndmask_b32_e32 v8, v8, v13, vcc
	v_cndmask_b32_e32 v12, v12, v20, vcc
	v_bfrev_b32_e32 v20, 28
	v_lshlrev_b32_e32 v13, 24, v14
	v_lshl_add_u32 v8, v8, 23, v20
	v_and_or_b32 v8, v13, s96, v8
	v_lshl_or_b32 v8, v12, 21, v8
                                        ; implicit-def: $vgpr12
.LBB4_2778:                             ;   in Loop: Header=BB4_2371 Depth=4
	s_andn2_saveexec_b64 s[72:73], s[72:73]
; %bb.2779:                             ;   in Loop: Header=BB4_2371 Depth=4
	v_mov_b32_e32 v8, -1
	v_cmp_gt_i16_sdwa vcc, sext(v14), v8 src0_sel:BYTE_0 src1_sel:DWORD
	v_cndmask_b32_e32 v8, v6, v1, vcc
	v_cmp_eq_u32_e32 vcc, 0, v12
	v_mov_b32_e32 v12, 0x7f800001
	v_cndmask_b32_e32 v8, v12, v8, vcc
; %bb.2780:                             ;   in Loop: Header=BB4_2371 Depth=4
	s_or_b64 exec, exec, s[72:73]
.LBB4_2781:                             ;   in Loop: Header=BB4_2371 Depth=4
	s_or_b64 exec, exec, s[30:31]
.LBB4_2782:                             ;   in Loop: Header=BB4_2371 Depth=4
	s_or_b64 exec, exec, s[70:71]
	v_cmp_ne_u16_sdwa vcc, sext(v10), v43 src0_sel:BYTE_0 src1_sel:DWORD
	s_and_saveexec_b64 s[30:31], vcc
	s_cbranch_execz .LBB4_2790
; %bb.2783:                             ;   in Loop: Header=BB4_2371 Depth=4
	v_cmp_ne_u16_sdwa vcc, sext(v10), s94 src0_sel:BYTE_0 src1_sel:DWORD
	v_bfrev_b32_e32 v9, 1
	s_and_saveexec_b64 s[70:71], vcc
	s_cbranch_execz .LBB4_2789
; %bb.2784:                             ;   in Loop: Header=BB4_2371 Depth=4
	v_and_b32_e32 v9, 0x7c, v10
	v_and_b32_e32 v12, 3, v10
	v_cmp_ne_u32_e32 vcc, s95, v9
                                        ; implicit-def: $vgpr9
	s_and_saveexec_b64 s[72:73], vcc
	s_xor_b64 s[72:73], exec, s[72:73]
	s_cbranch_execz .LBB4_2786
; %bb.2785:                             ;   in Loop: Header=BB4_2371 Depth=4
	v_ffbh_u32_e32 v13, v12
	v_min_u32_e32 v13, 32, v13
	v_subrev_u32_e32 v20, 29, v13
	v_bfe_u32 v9, v10, 2, 5
	v_lshlrev_b64 v[20:21], v20, v[10:11]
	v_sub_u32_e32 v13, 30, v13
	v_and_b32_e32 v20, 3, v20
	v_cmp_eq_u32_e32 vcc, 0, v9
	v_cndmask_b32_e32 v9, v9, v13, vcc
	v_cndmask_b32_e32 v12, v12, v20, vcc
	v_bfrev_b32_e32 v20, 28
	v_lshlrev_b32_e32 v13, 24, v10
	v_lshl_add_u32 v9, v9, 23, v20
	v_and_or_b32 v9, v13, s96, v9
	v_lshl_or_b32 v9, v12, 21, v9
                                        ; implicit-def: $vgpr12
.LBB4_2786:                             ;   in Loop: Header=BB4_2371 Depth=4
	s_andn2_saveexec_b64 s[72:73], s[72:73]
; %bb.2787:                             ;   in Loop: Header=BB4_2371 Depth=4
	v_mov_b32_e32 v9, -1
	v_cmp_gt_i16_sdwa vcc, sext(v10), v9 src0_sel:BYTE_0 src1_sel:DWORD
	v_cndmask_b32_e32 v9, v6, v1, vcc
	v_cmp_eq_u32_e32 vcc, 0, v12
	v_mov_b32_e32 v12, 0x7f800001
	v_cndmask_b32_e32 v9, v12, v9, vcc
; %bb.2788:                             ;   in Loop: Header=BB4_2371 Depth=4
	s_or_b64 exec, exec, s[72:73]
.LBB4_2789:                             ;   in Loop: Header=BB4_2371 Depth=4
	s_or_b64 exec, exec, s[70:71]
.LBB4_2790:                             ;   in Loop: Header=BB4_2371 Depth=4
	s_or_b64 exec, exec, s[30:31]
	v_max_f32_e32 v9, v9, v9
	v_max_f32_e32 v8, v8, v8
	v_min_f32_e32 v8, v8, v9
.LBB4_2791:                             ;   in Loop: Header=BB4_2371 Depth=4
	v_and_b32_sdwa v12, v8, s97 dst_sel:DWORD dst_unused:UNUSED_PAD src0_sel:BYTE_3 src1_sel:DWORD
	v_and_b32_e32 v20, 0x7f800000, v8
	v_mov_b32_e32 v21, v43
	v_and_b32_e32 v42, 0x7fffff, v8
	v_or_b32_e32 v24, 0x7b, v12
	v_cmp_ne_u64_e32 vcc, s[52:53], v[20:21]
	s_and_saveexec_b64 s[30:31], vcc
	s_xor_b64 s[70:71], exec, s[30:31]
	s_cbranch_execz .LBB4_2801
; %bb.2792:                             ;   in Loop: Header=BB4_2371 Depth=4
	v_and_b32_e32 v20, 0x7fffffff, v8
	v_mov_b32_e32 v21, v43
	v_cmp_gt_u64_e32 vcc, s[54:55], v[20:21]
	s_and_saveexec_b64 s[72:73], vcc
	s_cbranch_execz .LBB4_2800
; %bb.2793:                             ;   in Loop: Header=BB4_2371 Depth=4
	v_cmp_ne_u32_e32 vcc, 0, v8
	v_mov_b32_e32 v24, 0
	s_and_saveexec_b64 s[74:75], vcc
	s_cbranch_execz .LBB4_2799
; %bb.2794:                             ;   in Loop: Header=BB4_2371 Depth=4
	v_bfe_u32 v8, v8, 23, 8
	v_cmp_eq_u32_e32 vcc, 0, v8
	v_add_u32_e32 v9, 0xffffff81, v8
	v_cmp_gt_u32_e64 s[30:31], s38, v8
	v_sub_u32_e32 v8, 0x71, v8
	v_mov_b32_e32 v20, 0xffffff82
	v_cndmask_b32_e64 v8, 0, v8, s[30:31]
	v_cndmask_b32_e32 v24, v9, v20, vcc
	v_mov_b32_e32 v9, 0x70
	v_cndmask_b32_e32 v25, v8, v9, vcc
	v_add_u32_e32 v8, 21, v25
	v_or_b32_e32 v13, 0x800000, v42
	v_lshlrev_b64 v[8:9], v8, -1
	v_cndmask_b32_e32 v42, v13, v42, vcc
	v_not_b32_e32 v9, v9
	v_not_b32_e32 v8, v8
	v_add_u32_e32 v13, 20, v25
	v_and_b32_e32 v9, 0, v9
	v_and_b32_e32 v8, v42, v8
	v_lshlrev_b64 v[20:21], v13, 1
	v_cmp_eq_u64_e32 vcc, v[8:9], v[20:21]
	v_lshrrev_b64 v[8:9], v25, v[42:43]
	v_lshrrev_b32_e32 v13, 23, v8
	v_add3_u32 v21, v25, v24, v13
	v_bfe_u32 v13, v8, 21, 1
	v_add_u32_e32 v13, -1, v13
	v_cndmask_b32_e32 v13, 0, v13, vcc
	v_add_u32_e32 v13, v13, v8
	v_and_b32_e32 v13, 0x1fffff, v13
	v_add_co_u32_e32 v8, vcc, v13, v8
	v_add_u32_e32 v20, 14, v21
	v_addc_co_u32_e32 v9, vcc, 0, v9, vcc
	v_cmp_ne_u32_e32 vcc, 0, v20
                                        ; implicit-def: $vgpr13
	s_and_saveexec_b64 s[30:31], vcc
	s_xor_b64 s[30:31], exec, s[30:31]
; %bb.2795:                             ;   in Loop: Header=BB4_2371 Depth=4
	v_add_u32_e32 v13, 15, v21
	v_cmp_lt_u64_e32 vcc, s[56:57], v[8:9]
	v_cndmask_b32_e32 v13, v20, v13, vcc
	v_cndmask_b32_e64 v20, 0, 1, vcc
	v_lshrrev_b64 v[8:9], v20, v[8:9]
; %bb.2796:                             ;   in Loop: Header=BB4_2371 Depth=4
	s_andn2_saveexec_b64 vcc, s[30:31]
; %bb.2797:                             ;   in Loop: Header=BB4_2371 Depth=4
	v_bfe_u32 v13, v8, 23, 1
; %bb.2798:                             ;   in Loop: Header=BB4_2371 Depth=4
	s_or_b64 exec, exec, vcc
	v_lshrrev_b64 v[8:9], 21, v[8:9]
	v_cmp_gt_i32_e32 vcc, 32, v13
	v_cndmask_b32_e32 v9, 0, v9, vcc
	v_cndmask_b32_e32 v8, 3, v8, vcc
	v_cmp_eq_u64_e64 s[30:31], 0, v[8:9]
	v_min_i32_e32 v9, 31, v13
	v_cmp_eq_u32_e32 vcc, 0, v13
	v_lshlrev_b32_e32 v9, 2, v9
	v_and_or_b32 v8, v8, 3, v9
	s_and_b64 vcc, vcc, s[30:31]
	v_cndmask_b32_e64 v8, v8, 0, vcc
	v_or_b32_e32 v24, v8, v12
.LBB4_2799:                             ;   in Loop: Header=BB4_2371 Depth=4
	s_or_b64 exec, exec, s[74:75]
.LBB4_2800:                             ;   in Loop: Header=BB4_2371 Depth=4
	s_or_b64 exec, exec, s[72:73]
                                        ; implicit-def: $vgpr8
.LBB4_2801:                             ;   in Loop: Header=BB4_2371 Depth=4
	s_andn2_saveexec_b64 s[30:31], s[70:71]
; %bb.2802:                             ;   in Loop: Header=BB4_2371 Depth=4
	v_or_b32_sdwa v8, v8, s39 dst_sel:DWORD dst_unused:UNUSED_PAD src0_sel:BYTE_3 src1_sel:DWORD
	v_cmp_eq_u64_e32 vcc, 0, v[42:43]
	v_cndmask_b32_e32 v24, v8, v24, vcc
; %bb.2803:                             ;   in Loop: Header=BB4_2371 Depth=4
	s_or_b64 exec, exec, s[30:31]
	v_lshrrev_b16_e32 v42, 8, v14
	v_lshrrev_b16_e32 v8, 8, v10
	v_cmp_ne_u16_e64 s[30:31], 0, v42
	s_and_b64 vcc, exec, s[68:69]
	s_cbranch_vccz .LBB4_2821
; %bb.2804:                             ;   in Loop: Header=BB4_2371 Depth=4
	v_mov_b32_e32 v9, 0
	v_mov_b32_e32 v12, 0
	s_and_saveexec_b64 s[70:71], s[30:31]
	s_cbranch_execz .LBB4_2812
; %bb.2805:                             ;   in Loop: Header=BB4_2371 Depth=4
	v_cmp_ne_u16_e32 vcc, s97, v42
	v_bfrev_b32_e32 v12, 1
	s_and_saveexec_b64 s[72:73], vcc
	s_cbranch_execz .LBB4_2811
; %bb.2806:                             ;   in Loop: Header=BB4_2371 Depth=4
	v_and_b32_e32 v12, 0x7c, v42
	v_and_b32_e32 v13, 3, v42
	v_cmp_ne_u32_e32 vcc, s95, v12
                                        ; implicit-def: $vgpr12
	s_and_saveexec_b64 s[74:75], vcc
	s_xor_b64 s[74:75], exec, s[74:75]
	s_cbranch_execz .LBB4_2808
; %bb.2807:                             ;   in Loop: Header=BB4_2371 Depth=4
	v_ffbh_u32_e32 v20, v13
	v_min_u32_e32 v25, 32, v20
	v_subrev_u32_e32 v20, 29, v25
	v_bfe_u32 v12, v42, 2, 5
	v_lshlrev_b64 v[20:21], v20, v[42:43]
	v_sub_u32_e32 v21, 30, v25
	v_cmp_eq_u32_e32 vcc, 0, v12
	v_and_b32_e32 v20, 3, v20
	v_cndmask_b32_e32 v12, v12, v21, vcc
	v_bfrev_b32_e32 v21, 28
	v_cndmask_b32_e32 v13, v13, v20, vcc
	v_lshlrev_b32_e32 v20, 16, v14
	v_lshl_add_u32 v12, v12, 23, v21
	v_and_or_b32 v12, v20, s96, v12
	v_lshl_or_b32 v12, v13, 21, v12
                                        ; implicit-def: $vgpr13
.LBB4_2808:                             ;   in Loop: Header=BB4_2371 Depth=4
	s_andn2_saveexec_b64 s[74:75], s[74:75]
; %bb.2809:                             ;   in Loop: Header=BB4_2371 Depth=4
	v_cmp_lt_i16_e32 vcc, -1, v14
	v_cndmask_b32_e32 v12, v6, v1, vcc
	v_cmp_eq_u32_e32 vcc, 0, v13
	v_mov_b32_e32 v13, 0x7f800001
	v_cndmask_b32_e32 v12, v13, v12, vcc
; %bb.2810:                             ;   in Loop: Header=BB4_2371 Depth=4
	s_or_b64 exec, exec, s[74:75]
.LBB4_2811:                             ;   in Loop: Header=BB4_2371 Depth=4
	s_or_b64 exec, exec, s[72:73]
.LBB4_2812:                             ;   in Loop: Header=BB4_2371 Depth=4
	s_or_b64 exec, exec, s[70:71]
	v_cmp_ne_u16_e32 vcc, 0, v8
	s_and_saveexec_b64 s[70:71], vcc
	s_cbranch_execz .LBB4_2820
; %bb.2813:                             ;   in Loop: Header=BB4_2371 Depth=4
	v_cmp_ne_u16_e32 vcc, s97, v8
	v_bfrev_b32_e32 v9, 1
	s_and_saveexec_b64 s[72:73], vcc
	s_cbranch_execz .LBB4_2819
; %bb.2814:                             ;   in Loop: Header=BB4_2371 Depth=4
	v_and_b32_e32 v9, 0x7c, v8
	v_and_b32_e32 v13, 3, v8
	v_cmp_ne_u32_e32 vcc, s95, v9
                                        ; implicit-def: $vgpr9
	s_and_saveexec_b64 s[74:75], vcc
	s_xor_b64 s[74:75], exec, s[74:75]
	s_cbranch_execz .LBB4_2816
; %bb.2815:                             ;   in Loop: Header=BB4_2371 Depth=4
	v_ffbh_u32_e32 v20, v13
	v_min_u32_e32 v32, 32, v20
	v_mov_b32_e32 v9, v43
	v_bfe_u32 v25, v8, 2, 5
	v_subrev_u32_e32 v20, 29, v32
	v_lshlrev_b64 v[20:21], v20, v[8:9]
	v_sub_u32_e32 v9, 30, v32
	v_cmp_eq_u32_e32 vcc, 0, v25
	v_and_b32_e32 v20, 3, v20
	v_cndmask_b32_e32 v9, v25, v9, vcc
	v_bfrev_b32_e32 v21, 28
	v_cndmask_b32_e32 v13, v13, v20, vcc
	v_lshlrev_b32_e32 v20, 16, v10
	v_lshl_add_u32 v9, v9, 23, v21
	v_and_or_b32 v9, v20, s96, v9
	v_lshl_or_b32 v9, v13, 21, v9
                                        ; implicit-def: $vgpr13
.LBB4_2816:                             ;   in Loop: Header=BB4_2371 Depth=4
	s_andn2_saveexec_b64 s[74:75], s[74:75]
; %bb.2817:                             ;   in Loop: Header=BB4_2371 Depth=4
	v_cmp_lt_i16_e32 vcc, -1, v10
	v_cndmask_b32_e32 v9, v6, v1, vcc
	v_cmp_eq_u32_e32 vcc, 0, v13
	v_mov_b32_e32 v13, 0x7f800001
	v_cndmask_b32_e32 v9, v13, v9, vcc
; %bb.2818:                             ;   in Loop: Header=BB4_2371 Depth=4
	s_or_b64 exec, exec, s[74:75]
.LBB4_2819:                             ;   in Loop: Header=BB4_2371 Depth=4
	s_or_b64 exec, exec, s[72:73]
.LBB4_2820:                             ;   in Loop: Header=BB4_2371 Depth=4
	s_or_b64 exec, exec, s[70:71]
	v_max_f32_e32 v9, v9, v9
	v_max_f32_e32 v12, v12, v12
	;; [unrolled: 1-line block ×3, first 2 shown]
	s_branch .LBB4_2839
.LBB4_2821:                             ;   in Loop: Header=BB4_2371 Depth=4
                                        ; implicit-def: $vgpr9
	s_cbranch_execz .LBB4_2839
; %bb.2822:                             ;   in Loop: Header=BB4_2371 Depth=4
	v_mov_b32_e32 v9, 0
	v_mov_b32_e32 v12, 0
	s_and_saveexec_b64 s[70:71], s[30:31]
	s_cbranch_execz .LBB4_2830
; %bb.2823:                             ;   in Loop: Header=BB4_2371 Depth=4
	v_cmp_ne_u16_e32 vcc, s97, v42
	v_bfrev_b32_e32 v12, 1
	s_and_saveexec_b64 s[30:31], vcc
	s_cbranch_execz .LBB4_2829
; %bb.2824:                             ;   in Loop: Header=BB4_2371 Depth=4
	v_and_b32_e32 v12, 0x7c, v42
	v_and_b32_e32 v13, 3, v42
	v_cmp_ne_u32_e32 vcc, s95, v12
                                        ; implicit-def: $vgpr12
	s_and_saveexec_b64 s[72:73], vcc
	s_xor_b64 s[72:73], exec, s[72:73]
	s_cbranch_execz .LBB4_2826
; %bb.2825:                             ;   in Loop: Header=BB4_2371 Depth=4
	v_ffbh_u32_e32 v20, v13
	v_min_u32_e32 v25, 32, v20
	v_subrev_u32_e32 v20, 29, v25
	v_bfe_u32 v12, v42, 2, 5
	v_lshlrev_b64 v[20:21], v20, v[42:43]
	v_sub_u32_e32 v21, 30, v25
	v_cmp_eq_u32_e32 vcc, 0, v12
	v_and_b32_e32 v20, 3, v20
	v_cndmask_b32_e32 v12, v12, v21, vcc
	v_bfrev_b32_e32 v21, 28
	v_cndmask_b32_e32 v13, v13, v20, vcc
	v_lshlrev_b32_e32 v20, 16, v14
	v_lshl_add_u32 v12, v12, 23, v21
	v_and_or_b32 v12, v20, s96, v12
	v_lshl_or_b32 v12, v13, 21, v12
                                        ; implicit-def: $vgpr13
.LBB4_2826:                             ;   in Loop: Header=BB4_2371 Depth=4
	s_andn2_saveexec_b64 s[72:73], s[72:73]
; %bb.2827:                             ;   in Loop: Header=BB4_2371 Depth=4
	v_cmp_lt_i16_e32 vcc, -1, v14
	v_cndmask_b32_e32 v12, v6, v1, vcc
	v_cmp_eq_u32_e32 vcc, 0, v13
	v_mov_b32_e32 v13, 0x7f800001
	v_cndmask_b32_e32 v12, v13, v12, vcc
; %bb.2828:                             ;   in Loop: Header=BB4_2371 Depth=4
	s_or_b64 exec, exec, s[72:73]
.LBB4_2829:                             ;   in Loop: Header=BB4_2371 Depth=4
	s_or_b64 exec, exec, s[30:31]
.LBB4_2830:                             ;   in Loop: Header=BB4_2371 Depth=4
	s_or_b64 exec, exec, s[70:71]
	v_cmp_ne_u16_e32 vcc, 0, v8
	s_and_saveexec_b64 s[30:31], vcc
	s_cbranch_execz .LBB4_2838
; %bb.2831:                             ;   in Loop: Header=BB4_2371 Depth=4
	v_cmp_ne_u16_e32 vcc, s97, v8
	v_bfrev_b32_e32 v9, 1
	s_and_saveexec_b64 s[70:71], vcc
	s_cbranch_execz .LBB4_2837
; %bb.2832:                             ;   in Loop: Header=BB4_2371 Depth=4
	v_and_b32_e32 v9, 0x7c, v8
	v_and_b32_e32 v13, 3, v8
	v_cmp_ne_u32_e32 vcc, s95, v9
                                        ; implicit-def: $vgpr9
	s_and_saveexec_b64 s[72:73], vcc
	s_xor_b64 s[72:73], exec, s[72:73]
	s_cbranch_execz .LBB4_2834
; %bb.2833:                             ;   in Loop: Header=BB4_2371 Depth=4
	v_ffbh_u32_e32 v21, v13
	v_min_u32_e32 v21, 32, v21
	v_mov_b32_e32 v9, v43
	v_subrev_u32_e32 v25, 29, v21
	v_bfe_u32 v20, v8, 2, 5
	v_lshlrev_b64 v[8:9], v25, v[8:9]
	v_sub_u32_e32 v9, 30, v21
	v_cmp_eq_u32_e32 vcc, 0, v20
	v_and_b32_e32 v8, 3, v8
	v_cndmask_b32_e32 v9, v20, v9, vcc
	v_bfrev_b32_e32 v20, 28
	v_cndmask_b32_e32 v8, v13, v8, vcc
	v_lshlrev_b32_e32 v13, 16, v10
	v_lshl_add_u32 v9, v9, 23, v20
	v_and_or_b32 v9, v13, s96, v9
	v_lshl_or_b32 v9, v8, 21, v9
                                        ; implicit-def: $vgpr13
.LBB4_2834:                             ;   in Loop: Header=BB4_2371 Depth=4
	s_andn2_saveexec_b64 s[72:73], s[72:73]
; %bb.2835:                             ;   in Loop: Header=BB4_2371 Depth=4
	v_cmp_lt_i16_e32 vcc, -1, v10
	v_cndmask_b32_e32 v8, v6, v1, vcc
	v_cmp_eq_u32_e32 vcc, 0, v13
	v_mov_b32_e32 v9, 0x7f800001
	v_cndmask_b32_e32 v9, v9, v8, vcc
; %bb.2836:                             ;   in Loop: Header=BB4_2371 Depth=4
	s_or_b64 exec, exec, s[72:73]
.LBB4_2837:                             ;   in Loop: Header=BB4_2371 Depth=4
	s_or_b64 exec, exec, s[70:71]
.LBB4_2838:                             ;   in Loop: Header=BB4_2371 Depth=4
	s_or_b64 exec, exec, s[30:31]
	v_max_f32_e32 v8, v9, v9
	v_max_f32_e32 v9, v12, v12
	v_min_f32_e32 v9, v9, v8
.LBB4_2839:                             ;   in Loop: Header=BB4_2371 Depth=4
	v_and_b32_sdwa v12, v9, s97 dst_sel:DWORD dst_unused:UNUSED_PAD src0_sel:BYTE_3 src1_sel:DWORD
	v_and_b32_e32 v20, 0x7f800000, v9
	v_mov_b32_e32 v21, v43
	v_and_b32_e32 v42, 0x7fffff, v9
	v_or_b32_e32 v25, 0x7b, v12
	v_cmp_ne_u64_e32 vcc, s[52:53], v[20:21]
	s_and_saveexec_b64 s[30:31], vcc
	s_xor_b64 s[70:71], exec, s[30:31]
	s_cbranch_execz .LBB4_2849
; %bb.2840:                             ;   in Loop: Header=BB4_2371 Depth=4
	v_and_b32_e32 v20, 0x7fffffff, v9
	v_mov_b32_e32 v21, v43
	v_cmp_gt_u64_e32 vcc, s[54:55], v[20:21]
	s_and_saveexec_b64 s[72:73], vcc
	s_cbranch_execz .LBB4_2848
; %bb.2841:                             ;   in Loop: Header=BB4_2371 Depth=4
	v_cmp_ne_u32_e32 vcc, 0, v9
	v_mov_b32_e32 v25, 0
	s_and_saveexec_b64 s[74:75], vcc
	s_cbranch_execz .LBB4_2847
; %bb.2842:                             ;   in Loop: Header=BB4_2371 Depth=4
	v_bfe_u32 v8, v9, 23, 8
	v_cmp_eq_u32_e32 vcc, 0, v8
	v_add_u32_e32 v9, 0xffffff81, v8
	v_cmp_gt_u32_e64 s[30:31], s38, v8
	v_sub_u32_e32 v8, 0x71, v8
	v_mov_b32_e32 v20, 0xffffff82
	v_cndmask_b32_e64 v8, 0, v8, s[30:31]
	v_cndmask_b32_e32 v25, v9, v20, vcc
	v_mov_b32_e32 v9, 0x70
	v_cndmask_b32_e32 v32, v8, v9, vcc
	v_add_u32_e32 v8, 21, v32
	v_or_b32_e32 v13, 0x800000, v42
	v_lshlrev_b64 v[8:9], v8, -1
	v_cndmask_b32_e32 v42, v13, v42, vcc
	v_not_b32_e32 v9, v9
	v_not_b32_e32 v8, v8
	v_add_u32_e32 v13, 20, v32
	v_and_b32_e32 v9, 0, v9
	v_and_b32_e32 v8, v42, v8
	v_lshlrev_b64 v[20:21], v13, 1
	v_cmp_eq_u64_e32 vcc, v[8:9], v[20:21]
	v_lshrrev_b64 v[8:9], v32, v[42:43]
	v_lshrrev_b32_e32 v13, 23, v8
	v_add3_u32 v21, v32, v25, v13
	v_bfe_u32 v13, v8, 21, 1
	v_add_u32_e32 v13, -1, v13
	v_cndmask_b32_e32 v13, 0, v13, vcc
	v_add_u32_e32 v13, v13, v8
	v_and_b32_e32 v13, 0x1fffff, v13
	v_add_co_u32_e32 v8, vcc, v13, v8
	v_add_u32_e32 v20, 14, v21
	v_addc_co_u32_e32 v9, vcc, 0, v9, vcc
	v_cmp_ne_u32_e32 vcc, 0, v20
                                        ; implicit-def: $vgpr13
	s_and_saveexec_b64 s[30:31], vcc
	s_xor_b64 s[30:31], exec, s[30:31]
; %bb.2843:                             ;   in Loop: Header=BB4_2371 Depth=4
	v_add_u32_e32 v13, 15, v21
	v_cmp_lt_u64_e32 vcc, s[56:57], v[8:9]
	v_cndmask_b32_e32 v13, v20, v13, vcc
	v_cndmask_b32_e64 v20, 0, 1, vcc
	v_lshrrev_b64 v[8:9], v20, v[8:9]
; %bb.2844:                             ;   in Loop: Header=BB4_2371 Depth=4
	s_andn2_saveexec_b64 vcc, s[30:31]
; %bb.2845:                             ;   in Loop: Header=BB4_2371 Depth=4
	v_bfe_u32 v13, v8, 23, 1
; %bb.2846:                             ;   in Loop: Header=BB4_2371 Depth=4
	s_or_b64 exec, exec, vcc
	v_lshrrev_b64 v[8:9], 21, v[8:9]
	v_cmp_gt_i32_e32 vcc, 32, v13
	v_cndmask_b32_e32 v9, 0, v9, vcc
	v_cndmask_b32_e32 v8, 3, v8, vcc
	v_cmp_eq_u64_e64 s[30:31], 0, v[8:9]
	v_min_i32_e32 v9, 31, v13
	v_cmp_eq_u32_e32 vcc, 0, v13
	v_lshlrev_b32_e32 v9, 2, v9
	v_and_or_b32 v8, v8, 3, v9
	s_and_b64 vcc, vcc, s[30:31]
	v_cndmask_b32_e64 v8, v8, 0, vcc
	v_or_b32_e32 v25, v8, v12
.LBB4_2847:                             ;   in Loop: Header=BB4_2371 Depth=4
	s_or_b64 exec, exec, s[74:75]
.LBB4_2848:                             ;   in Loop: Header=BB4_2371 Depth=4
	s_or_b64 exec, exec, s[72:73]
                                        ; implicit-def: $vgpr9
.LBB4_2849:                             ;   in Loop: Header=BB4_2371 Depth=4
	s_andn2_saveexec_b64 s[30:31], s[70:71]
; %bb.2850:                             ;   in Loop: Header=BB4_2371 Depth=4
	v_or_b32_sdwa v8, v9, s39 dst_sel:DWORD dst_unused:UNUSED_PAD src0_sel:BYTE_3 src1_sel:DWORD
	v_cmp_eq_u64_e32 vcc, 0, v[42:43]
	v_cndmask_b32_e32 v25, v8, v25, vcc
; %bb.2851:                             ;   in Loop: Header=BB4_2371 Depth=4
	s_or_b64 exec, exec, s[30:31]
	v_lshrrev_b32_e32 v12, 16, v14
	v_lshrrev_b32_e32 v8, 16, v10
	v_cmp_ne_u16_sdwa s[30:31], v12, v43 src0_sel:BYTE_0 src1_sel:DWORD
	s_and_b64 vcc, exec, s[68:69]
	s_cbranch_vccz .LBB4_2869
; %bb.2852:                             ;   in Loop: Header=BB4_2371 Depth=4
	v_mov_b32_e32 v13, 0
	v_mov_b32_e32 v9, 0
	s_and_saveexec_b64 s[70:71], s[30:31]
	s_cbranch_execz .LBB4_2860
; %bb.2853:                             ;   in Loop: Header=BB4_2371 Depth=4
	v_cmp_ne_u16_sdwa vcc, v12, s97 src0_sel:BYTE_0 src1_sel:DWORD
	v_bfrev_b32_e32 v9, 1
	s_and_saveexec_b64 s[72:73], vcc
	s_cbranch_execz .LBB4_2859
; %bb.2854:                             ;   in Loop: Header=BB4_2371 Depth=4
	v_and_b32_e32 v9, 0x7c0000, v14
	v_bfe_u32 v20, v14, 16, 2
	v_cmp_ne_u32_e32 vcc, s36, v9
                                        ; implicit-def: $vgpr9
	s_and_saveexec_b64 s[74:75], vcc
	s_xor_b64 s[74:75], exec, s[74:75]
	s_cbranch_execz .LBB4_2856
; %bb.2855:                             ;   in Loop: Header=BB4_2371 Depth=4
	v_ffbh_u32_e32 v21, v20
	v_min_u32_e32 v21, 32, v21
	v_subrev_u32_e32 v32, 29, v21
	v_bfe_u32 v9, v14, 18, 5
	v_lshlrev_b64 v[32:33], v32, v[12:13]
	v_sub_u32_e32 v21, 30, v21
	v_and_b32_e32 v32, 3, v32
	v_cmp_eq_u32_e32 vcc, 0, v9
	v_cndmask_b32_e32 v9, v9, v21, vcc
	v_cndmask_b32_e32 v20, v20, v32, vcc
	v_bfrev_b32_e32 v32, 28
	v_lshlrev_b32_e32 v21, 24, v12
	v_lshl_add_u32 v9, v9, 23, v32
	v_and_or_b32 v9, v21, s96, v9
	v_lshl_or_b32 v9, v20, 21, v9
                                        ; implicit-def: $vgpr20
.LBB4_2856:                             ;   in Loop: Header=BB4_2371 Depth=4
	s_andn2_saveexec_b64 s[74:75], s[74:75]
; %bb.2857:                             ;   in Loop: Header=BB4_2371 Depth=4
	v_mov_b32_e32 v9, -1
	v_cmp_gt_i16_sdwa vcc, sext(v12), v9 src0_sel:BYTE_0 src1_sel:DWORD
	v_cndmask_b32_e32 v9, v6, v1, vcc
	v_cmp_eq_u32_e32 vcc, 0, v20
	v_mov_b32_e32 v20, 0x7f800001
	v_cndmask_b32_e32 v9, v20, v9, vcc
; %bb.2858:                             ;   in Loop: Header=BB4_2371 Depth=4
	s_or_b64 exec, exec, s[74:75]
.LBB4_2859:                             ;   in Loop: Header=BB4_2371 Depth=4
	s_or_b64 exec, exec, s[72:73]
.LBB4_2860:                             ;   in Loop: Header=BB4_2371 Depth=4
	s_or_b64 exec, exec, s[70:71]
	v_cmp_ne_u16_sdwa vcc, v8, v43 src0_sel:BYTE_0 src1_sel:DWORD
	s_and_saveexec_b64 s[70:71], vcc
	s_cbranch_execz .LBB4_2868
; %bb.2861:                             ;   in Loop: Header=BB4_2371 Depth=4
	v_cmp_ne_u16_sdwa vcc, v8, s97 src0_sel:BYTE_0 src1_sel:DWORD
	v_bfrev_b32_e32 v13, 1
	s_and_saveexec_b64 s[72:73], vcc
	s_cbranch_execz .LBB4_2867
; %bb.2862:                             ;   in Loop: Header=BB4_2371 Depth=4
	v_and_b32_e32 v13, 0x7c0000, v10
	v_bfe_u32 v20, v10, 16, 2
	v_cmp_ne_u32_e32 vcc, s36, v13
                                        ; implicit-def: $vgpr13
	s_and_saveexec_b64 s[74:75], vcc
	s_xor_b64 s[74:75], exec, s[74:75]
	s_cbranch_execz .LBB4_2864
; %bb.2863:                             ;   in Loop: Header=BB4_2371 Depth=4
	v_ffbh_u32_e32 v21, v20
	v_min_u32_e32 v21, 32, v21
	v_subrev_u32_e32 v32, 29, v21
	v_bfe_u32 v13, v10, 18, 5
	v_lshlrev_b64 v[32:33], v32, v[8:9]
	v_sub_u32_e32 v21, 30, v21
	v_and_b32_e32 v32, 3, v32
	v_cmp_eq_u32_e32 vcc, 0, v13
	v_cndmask_b32_e32 v13, v13, v21, vcc
	v_cndmask_b32_e32 v20, v20, v32, vcc
	v_bfrev_b32_e32 v32, 28
	v_lshlrev_b32_e32 v21, 24, v8
	v_lshl_add_u32 v13, v13, 23, v32
	v_and_or_b32 v13, v21, s96, v13
	v_lshl_or_b32 v13, v20, 21, v13
                                        ; implicit-def: $vgpr20
.LBB4_2864:                             ;   in Loop: Header=BB4_2371 Depth=4
	s_andn2_saveexec_b64 s[74:75], s[74:75]
; %bb.2865:                             ;   in Loop: Header=BB4_2371 Depth=4
	v_mov_b32_e32 v13, -1
	v_cmp_gt_i16_sdwa vcc, sext(v8), v13 src0_sel:BYTE_0 src1_sel:DWORD
	v_cndmask_b32_e32 v13, v6, v1, vcc
	v_cmp_eq_u32_e32 vcc, 0, v20
	v_mov_b32_e32 v20, 0x7f800001
	v_cndmask_b32_e32 v13, v20, v13, vcc
; %bb.2866:                             ;   in Loop: Header=BB4_2371 Depth=4
	s_or_b64 exec, exec, s[74:75]
.LBB4_2867:                             ;   in Loop: Header=BB4_2371 Depth=4
	s_or_b64 exec, exec, s[72:73]
.LBB4_2868:                             ;   in Loop: Header=BB4_2371 Depth=4
	s_or_b64 exec, exec, s[70:71]
	v_max_f32_e32 v13, v13, v13
	v_max_f32_e32 v9, v9, v9
	;; [unrolled: 1-line block ×3, first 2 shown]
	s_branch .LBB4_2887
.LBB4_2869:                             ;   in Loop: Header=BB4_2371 Depth=4
                                        ; implicit-def: $vgpr9
	s_cbranch_execz .LBB4_2887
; %bb.2870:                             ;   in Loop: Header=BB4_2371 Depth=4
	v_mov_b32_e32 v13, 0
	v_mov_b32_e32 v9, 0
	s_and_saveexec_b64 s[70:71], s[30:31]
	s_cbranch_execz .LBB4_2878
; %bb.2871:                             ;   in Loop: Header=BB4_2371 Depth=4
	v_cmp_ne_u16_sdwa vcc, v12, s97 src0_sel:BYTE_0 src1_sel:DWORD
	v_bfrev_b32_e32 v9, 1
	s_and_saveexec_b64 s[30:31], vcc
	s_cbranch_execz .LBB4_2877
; %bb.2872:                             ;   in Loop: Header=BB4_2371 Depth=4
	v_and_b32_e32 v9, 0x7c0000, v14
	v_bfe_u32 v20, v14, 16, 2
	v_cmp_ne_u32_e32 vcc, s36, v9
                                        ; implicit-def: $vgpr9
	s_and_saveexec_b64 s[72:73], vcc
	s_xor_b64 s[72:73], exec, s[72:73]
	s_cbranch_execz .LBB4_2874
; %bb.2873:                             ;   in Loop: Header=BB4_2371 Depth=4
	v_ffbh_u32_e32 v21, v20
	v_bfe_u32 v9, v14, 18, 5
	v_min_u32_e32 v21, 32, v21
	v_subrev_u32_e32 v32, 29, v21
	v_sub_u32_e32 v21, 30, v21
	v_cmp_eq_u32_e32 vcc, 0, v9
	v_lshlrev_b64 v[32:33], v32, v[12:13]
	v_cndmask_b32_e32 v9, v9, v21, vcc
	v_bfrev_b32_e32 v21, 28
	v_and_b32_e32 v32, 3, v32
	v_lshlrev_b32_e32 v12, 24, v12
	v_lshl_add_u32 v9, v9, 23, v21
	v_cndmask_b32_e32 v20, v20, v32, vcc
	v_and_or_b32 v9, v12, s96, v9
	v_lshl_or_b32 v9, v20, 21, v9
                                        ; implicit-def: $vgpr20
                                        ; implicit-def: $vgpr12
.LBB4_2874:                             ;   in Loop: Header=BB4_2371 Depth=4
	s_andn2_saveexec_b64 s[72:73], s[72:73]
; %bb.2875:                             ;   in Loop: Header=BB4_2371 Depth=4
	v_mov_b32_e32 v9, -1
	v_cmp_gt_i16_sdwa vcc, sext(v12), v9 src0_sel:BYTE_0 src1_sel:DWORD
	v_cndmask_b32_e32 v9, v6, v1, vcc
	v_cmp_eq_u32_e32 vcc, 0, v20
	v_mov_b32_e32 v12, 0x7f800001
	v_cndmask_b32_e32 v9, v12, v9, vcc
; %bb.2876:                             ;   in Loop: Header=BB4_2371 Depth=4
	s_or_b64 exec, exec, s[72:73]
.LBB4_2877:                             ;   in Loop: Header=BB4_2371 Depth=4
	s_or_b64 exec, exec, s[30:31]
.LBB4_2878:                             ;   in Loop: Header=BB4_2371 Depth=4
	s_or_b64 exec, exec, s[70:71]
	v_cmp_ne_u16_sdwa vcc, v8, v43 src0_sel:BYTE_0 src1_sel:DWORD
	s_and_saveexec_b64 s[30:31], vcc
	s_cbranch_execz .LBB4_2886
; %bb.2879:                             ;   in Loop: Header=BB4_2371 Depth=4
	v_cmp_ne_u16_sdwa vcc, v8, s97 src0_sel:BYTE_0 src1_sel:DWORD
	v_bfrev_b32_e32 v13, 1
	s_and_saveexec_b64 s[70:71], vcc
	s_cbranch_execz .LBB4_2885
; %bb.2880:                             ;   in Loop: Header=BB4_2371 Depth=4
	v_and_b32_e32 v13, 0x7c0000, v10
	v_bfe_u32 v12, v10, 16, 2
	v_cmp_ne_u32_e32 vcc, s36, v13
                                        ; implicit-def: $vgpr13
	s_and_saveexec_b64 s[72:73], vcc
	s_xor_b64 s[72:73], exec, s[72:73]
	s_cbranch_execz .LBB4_2882
; %bb.2881:                             ;   in Loop: Header=BB4_2371 Depth=4
	v_ffbh_u32_e32 v20, v12
	v_min_u32_e32 v32, 32, v20
	v_subrev_u32_e32 v20, 29, v32
	v_bfe_u32 v13, v10, 18, 5
	v_lshlrev_b64 v[20:21], v20, v[8:9]
	v_sub_u32_e32 v21, 30, v32
	v_and_b32_e32 v20, 3, v20
	v_cmp_eq_u32_e32 vcc, 0, v13
	v_cndmask_b32_e32 v13, v13, v21, vcc
	v_cndmask_b32_e32 v12, v12, v20, vcc
	v_bfrev_b32_e32 v20, 28
	v_lshlrev_b32_e32 v8, 24, v8
	v_lshl_add_u32 v13, v13, 23, v20
	v_and_or_b32 v8, v8, s96, v13
	v_lshl_or_b32 v13, v12, 21, v8
                                        ; implicit-def: $vgpr12
                                        ; implicit-def: $vgpr8
.LBB4_2882:                             ;   in Loop: Header=BB4_2371 Depth=4
	s_andn2_saveexec_b64 s[72:73], s[72:73]
; %bb.2883:                             ;   in Loop: Header=BB4_2371 Depth=4
	v_mov_b32_e32 v13, -1
	v_cmp_gt_i16_sdwa vcc, sext(v8), v13 src0_sel:BYTE_0 src1_sel:DWORD
	v_cndmask_b32_e32 v8, v6, v1, vcc
	v_cmp_eq_u32_e32 vcc, 0, v12
	v_mov_b32_e32 v12, 0x7f800001
	v_cndmask_b32_e32 v13, v12, v8, vcc
; %bb.2884:                             ;   in Loop: Header=BB4_2371 Depth=4
	s_or_b64 exec, exec, s[72:73]
.LBB4_2885:                             ;   in Loop: Header=BB4_2371 Depth=4
	s_or_b64 exec, exec, s[70:71]
.LBB4_2886:                             ;   in Loop: Header=BB4_2371 Depth=4
	s_or_b64 exec, exec, s[30:31]
	v_max_f32_e32 v8, v13, v13
	v_max_f32_e32 v9, v9, v9
	v_min_f32_e32 v9, v9, v8
.LBB4_2887:                             ;   in Loop: Header=BB4_2371 Depth=4
	v_and_b32_sdwa v12, v9, s97 dst_sel:DWORD dst_unused:UNUSED_PAD src0_sel:BYTE_3 src1_sel:DWORD
	v_and_b32_e32 v20, 0x7f800000, v9
	v_mov_b32_e32 v21, v43
	v_and_b32_e32 v42, 0x7fffff, v9
	v_or_b32_e32 v55, 0x7b, v12
	v_cmp_ne_u64_e32 vcc, s[52:53], v[20:21]
	s_and_saveexec_b64 s[30:31], vcc
	s_xor_b64 s[70:71], exec, s[30:31]
	s_cbranch_execz .LBB4_2897
; %bb.2888:                             ;   in Loop: Header=BB4_2371 Depth=4
	v_and_b32_e32 v20, 0x7fffffff, v9
	v_mov_b32_e32 v21, v43
	v_cmp_gt_u64_e32 vcc, s[54:55], v[20:21]
	s_and_saveexec_b64 s[72:73], vcc
	s_cbranch_execz .LBB4_2896
; %bb.2889:                             ;   in Loop: Header=BB4_2371 Depth=4
	v_cmp_ne_u32_e32 vcc, 0, v9
	v_mov_b32_e32 v55, 0
	s_and_saveexec_b64 s[74:75], vcc
	s_cbranch_execz .LBB4_2895
; %bb.2890:                             ;   in Loop: Header=BB4_2371 Depth=4
	v_bfe_u32 v8, v9, 23, 8
	v_cmp_eq_u32_e32 vcc, 0, v8
	v_add_u32_e32 v9, 0xffffff81, v8
	v_cmp_gt_u32_e64 s[30:31], s38, v8
	v_sub_u32_e32 v8, 0x71, v8
	v_mov_b32_e32 v20, 0xffffff82
	v_cndmask_b32_e64 v8, 0, v8, s[30:31]
	v_cndmask_b32_e32 v32, v9, v20, vcc
	v_mov_b32_e32 v9, 0x70
	v_cndmask_b32_e32 v33, v8, v9, vcc
	v_add_u32_e32 v8, 21, v33
	v_or_b32_e32 v13, 0x800000, v42
	v_lshlrev_b64 v[8:9], v8, -1
	v_cndmask_b32_e32 v42, v13, v42, vcc
	v_not_b32_e32 v9, v9
	v_not_b32_e32 v8, v8
	v_add_u32_e32 v13, 20, v33
	v_and_b32_e32 v9, 0, v9
	v_and_b32_e32 v8, v42, v8
	v_lshlrev_b64 v[20:21], v13, 1
	v_cmp_eq_u64_e32 vcc, v[8:9], v[20:21]
	v_lshrrev_b64 v[8:9], v33, v[42:43]
	v_lshrrev_b32_e32 v13, 23, v8
	v_add3_u32 v21, v33, v32, v13
	v_bfe_u32 v13, v8, 21, 1
	v_add_u32_e32 v13, -1, v13
	v_cndmask_b32_e32 v13, 0, v13, vcc
	v_add_u32_e32 v13, v13, v8
	v_and_b32_e32 v13, 0x1fffff, v13
	v_add_co_u32_e32 v8, vcc, v13, v8
	v_add_u32_e32 v20, 14, v21
	v_addc_co_u32_e32 v9, vcc, 0, v9, vcc
	v_cmp_ne_u32_e32 vcc, 0, v20
                                        ; implicit-def: $vgpr13
	s_and_saveexec_b64 s[30:31], vcc
	s_xor_b64 s[30:31], exec, s[30:31]
; %bb.2891:                             ;   in Loop: Header=BB4_2371 Depth=4
	v_add_u32_e32 v13, 15, v21
	v_cmp_lt_u64_e32 vcc, s[56:57], v[8:9]
	v_cndmask_b32_e32 v13, v20, v13, vcc
	v_cndmask_b32_e64 v20, 0, 1, vcc
	v_lshrrev_b64 v[8:9], v20, v[8:9]
; %bb.2892:                             ;   in Loop: Header=BB4_2371 Depth=4
	s_andn2_saveexec_b64 vcc, s[30:31]
; %bb.2893:                             ;   in Loop: Header=BB4_2371 Depth=4
	v_bfe_u32 v13, v8, 23, 1
; %bb.2894:                             ;   in Loop: Header=BB4_2371 Depth=4
	s_or_b64 exec, exec, vcc
	v_lshrrev_b64 v[8:9], 21, v[8:9]
	v_cmp_gt_i32_e32 vcc, 32, v13
	v_cndmask_b32_e32 v9, 0, v9, vcc
	v_cndmask_b32_e32 v8, 3, v8, vcc
	v_cmp_eq_u64_e64 s[30:31], 0, v[8:9]
	v_min_i32_e32 v9, 31, v13
	v_cmp_eq_u32_e32 vcc, 0, v13
	v_lshlrev_b32_e32 v9, 2, v9
	v_and_or_b32 v8, v8, 3, v9
	s_and_b64 vcc, vcc, s[30:31]
	v_cndmask_b32_e64 v8, v8, 0, vcc
	v_or_b32_e32 v55, v8, v12
.LBB4_2895:                             ;   in Loop: Header=BB4_2371 Depth=4
	s_or_b64 exec, exec, s[74:75]
.LBB4_2896:                             ;   in Loop: Header=BB4_2371 Depth=4
	s_or_b64 exec, exec, s[72:73]
                                        ; implicit-def: $vgpr9
.LBB4_2897:                             ;   in Loop: Header=BB4_2371 Depth=4
	s_andn2_saveexec_b64 s[30:31], s[70:71]
; %bb.2898:                             ;   in Loop: Header=BB4_2371 Depth=4
	v_or_b32_sdwa v8, v9, s39 dst_sel:DWORD dst_unused:UNUSED_PAD src0_sel:BYTE_3 src1_sel:DWORD
	v_cmp_eq_u64_e32 vcc, 0, v[42:43]
	v_cndmask_b32_e32 v55, v8, v55, vcc
; %bb.2899:                             ;   in Loop: Header=BB4_2371 Depth=4
	s_or_b64 exec, exec, s[30:31]
	v_lshrrev_b32_e32 v12, 24, v14
	v_lshrrev_b32_e32 v8, 24, v10
	v_cmp_lt_u32_e64 s[30:31], s43, v14
	s_and_b64 vcc, exec, s[68:69]
	s_cbranch_vccz .LBB4_2917
; %bb.2900:                             ;   in Loop: Header=BB4_2371 Depth=4
	v_mov_b32_e32 v13, 0
	v_mov_b32_e32 v9, 0
	s_and_saveexec_b64 s[70:71], s[30:31]
	s_cbranch_execz .LBB4_2908
; %bb.2901:                             ;   in Loop: Header=BB4_2371 Depth=4
	v_cmp_ne_u32_e32 vcc, s97, v12
	v_bfrev_b32_e32 v9, 1
	s_and_saveexec_b64 s[72:73], vcc
	s_cbranch_execz .LBB4_2907
; %bb.2902:                             ;   in Loop: Header=BB4_2371 Depth=4
	v_and_b32_e32 v9, 0x7c000000, v14
	v_bfe_u32 v20, v14, 24, 2
	v_cmp_ne_u32_e32 vcc, s37, v9
                                        ; implicit-def: $vgpr9
	s_and_saveexec_b64 s[74:75], vcc
	s_xor_b64 s[74:75], exec, s[74:75]
	s_cbranch_execz .LBB4_2904
; %bb.2903:                             ;   in Loop: Header=BB4_2371 Depth=4
	v_ffbh_u32_e32 v21, v20
	v_bfe_u32 v9, v14, 26, 5
	v_min_u32_e32 v21, 32, v21
	v_subrev_u32_e32 v32, 29, v21
	v_sub_u32_e32 v21, 30, v21
	v_cmp_eq_u32_e32 vcc, 0, v9
	v_lshlrev_b64 v[32:33], v32, v[12:13]
	v_cndmask_b32_e32 v9, v9, v21, vcc
	v_bfrev_b32_e32 v21, 28
	v_and_b32_e32 v32, 3, v32
	v_lshl_add_u32 v9, v9, 23, v21
	v_cndmask_b32_e32 v20, v20, v32, vcc
	v_and_or_b32 v9, v14, s96, v9
	v_lshl_or_b32 v9, v20, 21, v9
                                        ; implicit-def: $vgpr20
.LBB4_2904:                             ;   in Loop: Header=BB4_2371 Depth=4
	s_andn2_saveexec_b64 s[74:75], s[74:75]
; %bb.2905:                             ;   in Loop: Header=BB4_2371 Depth=4
	v_cmp_lt_i32_e32 vcc, -1, v14
	v_cndmask_b32_e32 v9, v6, v1, vcc
	v_cmp_eq_u32_e32 vcc, 0, v20
	v_mov_b32_e32 v20, 0x7f800001
	v_cndmask_b32_e32 v9, v20, v9, vcc
; %bb.2906:                             ;   in Loop: Header=BB4_2371 Depth=4
	s_or_b64 exec, exec, s[74:75]
.LBB4_2907:                             ;   in Loop: Header=BB4_2371 Depth=4
	s_or_b64 exec, exec, s[72:73]
.LBB4_2908:                             ;   in Loop: Header=BB4_2371 Depth=4
	s_or_b64 exec, exec, s[70:71]
	v_cmp_lt_u32_e32 vcc, s43, v10
	s_and_saveexec_b64 s[70:71], vcc
	s_cbranch_execz .LBB4_2916
; %bb.2909:                             ;   in Loop: Header=BB4_2371 Depth=4
	v_cmp_ne_u32_e32 vcc, s97, v8
	v_bfrev_b32_e32 v13, 1
	s_and_saveexec_b64 s[72:73], vcc
	s_cbranch_execz .LBB4_2915
; %bb.2910:                             ;   in Loop: Header=BB4_2371 Depth=4
	v_and_b32_e32 v13, 0x7c000000, v10
	v_bfe_u32 v20, v10, 24, 2
	v_cmp_ne_u32_e32 vcc, s37, v13
                                        ; implicit-def: $vgpr13
	s_and_saveexec_b64 s[74:75], vcc
	s_xor_b64 s[74:75], exec, s[74:75]
	s_cbranch_execz .LBB4_2912
; %bb.2911:                             ;   in Loop: Header=BB4_2371 Depth=4
	v_ffbh_u32_e32 v21, v20
	v_bfe_u32 v13, v10, 26, 5
	v_min_u32_e32 v21, 32, v21
	v_subrev_u32_e32 v32, 29, v21
	v_sub_u32_e32 v21, 30, v21
	v_cmp_eq_u32_e32 vcc, 0, v13
	v_lshlrev_b64 v[32:33], v32, v[8:9]
	v_cndmask_b32_e32 v13, v13, v21, vcc
	v_bfrev_b32_e32 v21, 28
	v_and_b32_e32 v32, 3, v32
	v_lshl_add_u32 v13, v13, 23, v21
	v_cndmask_b32_e32 v20, v20, v32, vcc
	v_and_or_b32 v13, v10, s96, v13
	v_lshl_or_b32 v13, v20, 21, v13
                                        ; implicit-def: $vgpr20
.LBB4_2912:                             ;   in Loop: Header=BB4_2371 Depth=4
	s_andn2_saveexec_b64 s[74:75], s[74:75]
; %bb.2913:                             ;   in Loop: Header=BB4_2371 Depth=4
	v_cmp_lt_i32_e32 vcc, -1, v10
	v_cndmask_b32_e32 v13, v6, v1, vcc
	v_cmp_eq_u32_e32 vcc, 0, v20
	v_mov_b32_e32 v20, 0x7f800001
	v_cndmask_b32_e32 v13, v20, v13, vcc
; %bb.2914:                             ;   in Loop: Header=BB4_2371 Depth=4
	s_or_b64 exec, exec, s[74:75]
.LBB4_2915:                             ;   in Loop: Header=BB4_2371 Depth=4
	s_or_b64 exec, exec, s[72:73]
.LBB4_2916:                             ;   in Loop: Header=BB4_2371 Depth=4
	s_or_b64 exec, exec, s[70:71]
	v_max_f32_e32 v13, v13, v13
	v_max_f32_e32 v9, v9, v9
	;; [unrolled: 1-line block ×3, first 2 shown]
	s_branch .LBB4_2935
.LBB4_2917:                             ;   in Loop: Header=BB4_2371 Depth=4
                                        ; implicit-def: $vgpr9
	s_cbranch_execz .LBB4_2935
; %bb.2918:                             ;   in Loop: Header=BB4_2371 Depth=4
	v_mov_b32_e32 v13, 0
	v_mov_b32_e32 v9, 0
	s_and_saveexec_b64 s[70:71], s[30:31]
	s_cbranch_execz .LBB4_2926
; %bb.2919:                             ;   in Loop: Header=BB4_2371 Depth=4
	v_cmp_ne_u32_e32 vcc, s97, v12
	v_bfrev_b32_e32 v9, 1
	s_and_saveexec_b64 s[30:31], vcc
	s_cbranch_execz .LBB4_2925
; %bb.2920:                             ;   in Loop: Header=BB4_2371 Depth=4
	v_and_b32_e32 v9, 0x7c000000, v14
	v_bfe_u32 v20, v14, 24, 2
	v_cmp_ne_u32_e32 vcc, s37, v9
                                        ; implicit-def: $vgpr9
	s_and_saveexec_b64 s[72:73], vcc
	s_xor_b64 s[72:73], exec, s[72:73]
	s_cbranch_execz .LBB4_2922
; %bb.2921:                             ;   in Loop: Header=BB4_2371 Depth=4
	v_ffbh_u32_e32 v21, v20
	v_min_u32_e32 v21, 32, v21
	v_subrev_u32_e32 v32, 29, v21
	v_bfe_u32 v9, v14, 26, 5
	v_lshlrev_b64 v[32:33], v32, v[12:13]
	v_sub_u32_e32 v12, 30, v21
	v_and_b32_e32 v21, 3, v32
	v_cmp_eq_u32_e32 vcc, 0, v9
	v_cndmask_b32_e32 v9, v9, v12, vcc
	v_cndmask_b32_e32 v12, v20, v21, vcc
	v_bfrev_b32_e32 v20, 28
	v_lshl_add_u32 v9, v9, 23, v20
	v_and_or_b32 v9, v14, s96, v9
	v_lshl_or_b32 v9, v12, 21, v9
                                        ; implicit-def: $vgpr20
.LBB4_2922:                             ;   in Loop: Header=BB4_2371 Depth=4
	s_andn2_saveexec_b64 s[72:73], s[72:73]
; %bb.2923:                             ;   in Loop: Header=BB4_2371 Depth=4
	v_cmp_lt_i32_e32 vcc, -1, v14
	v_cndmask_b32_e32 v9, v6, v1, vcc
	v_cmp_eq_u32_e32 vcc, 0, v20
	v_mov_b32_e32 v12, 0x7f800001
	v_cndmask_b32_e32 v9, v12, v9, vcc
; %bb.2924:                             ;   in Loop: Header=BB4_2371 Depth=4
	s_or_b64 exec, exec, s[72:73]
.LBB4_2925:                             ;   in Loop: Header=BB4_2371 Depth=4
	s_or_b64 exec, exec, s[30:31]
.LBB4_2926:                             ;   in Loop: Header=BB4_2371 Depth=4
	s_or_b64 exec, exec, s[70:71]
	v_cmp_lt_u32_e32 vcc, s43, v10
	s_and_saveexec_b64 s[30:31], vcc
	s_cbranch_execz .LBB4_2934
; %bb.2927:                             ;   in Loop: Header=BB4_2371 Depth=4
	v_cmp_ne_u32_e32 vcc, s97, v8
	v_bfrev_b32_e32 v13, 1
	s_and_saveexec_b64 s[70:71], vcc
	s_cbranch_execz .LBB4_2933
; %bb.2928:                             ;   in Loop: Header=BB4_2371 Depth=4
	v_and_b32_e32 v13, 0x7c000000, v10
	v_bfe_u32 v12, v10, 24, 2
	v_cmp_ne_u32_e32 vcc, s37, v13
                                        ; implicit-def: $vgpr13
	s_and_saveexec_b64 s[72:73], vcc
	s_xor_b64 s[72:73], exec, s[72:73]
	s_cbranch_execz .LBB4_2930
; %bb.2929:                             ;   in Loop: Header=BB4_2371 Depth=4
	v_ffbh_u32_e32 v20, v12
	v_min_u32_e32 v32, 32, v20
	v_bfe_u32 v13, v10, 26, 5
	v_subrev_u32_e32 v20, 29, v32
	v_lshlrev_b64 v[20:21], v20, v[8:9]
	v_sub_u32_e32 v8, 30, v32
	v_cmp_eq_u32_e32 vcc, 0, v13
	v_cndmask_b32_e32 v8, v13, v8, vcc
	v_bfrev_b32_e32 v13, 28
	v_and_b32_e32 v20, 3, v20
	v_lshl_add_u32 v8, v8, 23, v13
	v_cndmask_b32_e32 v12, v12, v20, vcc
	v_and_or_b32 v8, v10, s96, v8
	v_lshl_or_b32 v13, v12, 21, v8
                                        ; implicit-def: $vgpr12
.LBB4_2930:                             ;   in Loop: Header=BB4_2371 Depth=4
	s_andn2_saveexec_b64 s[72:73], s[72:73]
; %bb.2931:                             ;   in Loop: Header=BB4_2371 Depth=4
	v_cmp_lt_i32_e32 vcc, -1, v10
	v_cndmask_b32_e32 v8, v6, v1, vcc
	v_cmp_eq_u32_e32 vcc, 0, v12
	v_mov_b32_e32 v12, 0x7f800001
	v_cndmask_b32_e32 v13, v12, v8, vcc
; %bb.2932:                             ;   in Loop: Header=BB4_2371 Depth=4
	s_or_b64 exec, exec, s[72:73]
.LBB4_2933:                             ;   in Loop: Header=BB4_2371 Depth=4
	s_or_b64 exec, exec, s[70:71]
.LBB4_2934:                             ;   in Loop: Header=BB4_2371 Depth=4
	s_or_b64 exec, exec, s[30:31]
	v_max_f32_e32 v8, v13, v13
	v_max_f32_e32 v9, v9, v9
	v_min_f32_e32 v9, v9, v8
.LBB4_2935:                             ;   in Loop: Header=BB4_2371 Depth=4
	v_and_b32_sdwa v12, v9, s97 dst_sel:DWORD dst_unused:UNUSED_PAD src0_sel:BYTE_3 src1_sel:DWORD
	v_and_b32_e32 v20, 0x7f800000, v9
	v_mov_b32_e32 v21, v43
	v_and_b32_e32 v42, 0x7fffff, v9
	v_or_b32_e32 v36, 0x7b, v12
	v_cmp_ne_u64_e32 vcc, s[52:53], v[20:21]
	s_and_saveexec_b64 s[30:31], vcc
	s_xor_b64 s[70:71], exec, s[30:31]
	s_cbranch_execz .LBB4_2945
; %bb.2936:                             ;   in Loop: Header=BB4_2371 Depth=4
	v_and_b32_e32 v20, 0x7fffffff, v9
	v_mov_b32_e32 v21, v43
	v_cmp_gt_u64_e32 vcc, s[54:55], v[20:21]
	s_and_saveexec_b64 s[72:73], vcc
	s_cbranch_execz .LBB4_2944
; %bb.2937:                             ;   in Loop: Header=BB4_2371 Depth=4
	v_cmp_ne_u32_e32 vcc, 0, v9
	v_mov_b32_e32 v36, 0
	s_and_saveexec_b64 s[74:75], vcc
	s_cbranch_execz .LBB4_2943
; %bb.2938:                             ;   in Loop: Header=BB4_2371 Depth=4
	v_bfe_u32 v8, v9, 23, 8
	v_cmp_eq_u32_e32 vcc, 0, v8
	v_add_u32_e32 v9, 0xffffff81, v8
	v_cmp_gt_u32_e64 s[30:31], s38, v8
	v_sub_u32_e32 v8, 0x71, v8
	v_mov_b32_e32 v20, 0xffffff82
	v_cndmask_b32_e64 v8, 0, v8, s[30:31]
	v_cndmask_b32_e32 v32, v9, v20, vcc
	v_mov_b32_e32 v9, 0x70
	v_cndmask_b32_e32 v33, v8, v9, vcc
	v_add_u32_e32 v8, 21, v33
	v_or_b32_e32 v13, 0x800000, v42
	v_lshlrev_b64 v[8:9], v8, -1
	v_cndmask_b32_e32 v42, v13, v42, vcc
	v_not_b32_e32 v9, v9
	v_not_b32_e32 v8, v8
	v_add_u32_e32 v13, 20, v33
	v_and_b32_e32 v9, 0, v9
	v_and_b32_e32 v8, v42, v8
	v_lshlrev_b64 v[20:21], v13, 1
	v_cmp_eq_u64_e32 vcc, v[8:9], v[20:21]
	v_lshrrev_b64 v[8:9], v33, v[42:43]
	v_lshrrev_b32_e32 v13, 23, v8
	v_add3_u32 v21, v33, v32, v13
	v_bfe_u32 v13, v8, 21, 1
	v_add_u32_e32 v13, -1, v13
	v_cndmask_b32_e32 v13, 0, v13, vcc
	v_add_u32_e32 v13, v13, v8
	v_and_b32_e32 v13, 0x1fffff, v13
	v_add_co_u32_e32 v8, vcc, v13, v8
	v_add_u32_e32 v20, 14, v21
	v_addc_co_u32_e32 v9, vcc, 0, v9, vcc
	v_cmp_ne_u32_e32 vcc, 0, v20
                                        ; implicit-def: $vgpr13
	s_and_saveexec_b64 s[30:31], vcc
	s_xor_b64 s[30:31], exec, s[30:31]
; %bb.2939:                             ;   in Loop: Header=BB4_2371 Depth=4
	v_add_u32_e32 v13, 15, v21
	v_cmp_lt_u64_e32 vcc, s[56:57], v[8:9]
	v_cndmask_b32_e32 v13, v20, v13, vcc
	v_cndmask_b32_e64 v20, 0, 1, vcc
	v_lshrrev_b64 v[8:9], v20, v[8:9]
; %bb.2940:                             ;   in Loop: Header=BB4_2371 Depth=4
	s_andn2_saveexec_b64 vcc, s[30:31]
; %bb.2941:                             ;   in Loop: Header=BB4_2371 Depth=4
	v_bfe_u32 v13, v8, 23, 1
; %bb.2942:                             ;   in Loop: Header=BB4_2371 Depth=4
	s_or_b64 exec, exec, vcc
	v_lshrrev_b64 v[8:9], 21, v[8:9]
	v_cmp_gt_i32_e32 vcc, 32, v13
	v_cndmask_b32_e32 v9, 0, v9, vcc
	v_cndmask_b32_e32 v8, 3, v8, vcc
	v_cmp_eq_u64_e64 s[30:31], 0, v[8:9]
	v_min_i32_e32 v9, 31, v13
	v_cmp_eq_u32_e32 vcc, 0, v13
	v_lshlrev_b32_e32 v9, 2, v9
	v_and_or_b32 v8, v8, 3, v9
	s_and_b64 vcc, vcc, s[30:31]
	v_cndmask_b32_e64 v8, v8, 0, vcc
	v_or_b32_e32 v36, v8, v12
.LBB4_2943:                             ;   in Loop: Header=BB4_2371 Depth=4
	s_or_b64 exec, exec, s[74:75]
.LBB4_2944:                             ;   in Loop: Header=BB4_2371 Depth=4
	s_or_b64 exec, exec, s[72:73]
                                        ; implicit-def: $vgpr9
.LBB4_2945:                             ;   in Loop: Header=BB4_2371 Depth=4
	s_andn2_saveexec_b64 s[30:31], s[70:71]
; %bb.2946:                             ;   in Loop: Header=BB4_2371 Depth=4
	v_or_b32_sdwa v8, v9, s39 dst_sel:DWORD dst_unused:UNUSED_PAD src0_sel:BYTE_3 src1_sel:DWORD
	v_cmp_eq_u64_e32 vcc, 0, v[42:43]
	v_cndmask_b32_e32 v36, v8, v36, vcc
; %bb.2947:                             ;   in Loop: Header=BB4_2371 Depth=4
	s_or_b64 exec, exec, s[30:31]
	v_mov_b32_e32 v42, v15
	v_mov_b32_e32 v8, v11
	;; [unrolled: 1-line block ×3, first 2 shown]
	v_cmp_ne_u16_sdwa s[30:31], v15, v43 src0_sel:BYTE_0 src1_sel:DWORD
	s_and_b64 vcc, exec, s[68:69]
	s_cbranch_vccz .LBB4_2965
; %bb.2948:                             ;   in Loop: Header=BB4_2371 Depth=4
	v_mov_b32_e32 v13, 0
	v_mov_b32_e32 v12, 0
	s_and_saveexec_b64 s[70:71], s[30:31]
	s_cbranch_execz .LBB4_2956
; %bb.2949:                             ;   in Loop: Header=BB4_2371 Depth=4
	v_cmp_ne_u16_sdwa vcc, v15, s97 src0_sel:BYTE_0 src1_sel:DWORD
	v_bfrev_b32_e32 v12, 1
	s_and_saveexec_b64 s[72:73], vcc
	s_cbranch_execz .LBB4_2955
; %bb.2950:                             ;   in Loop: Header=BB4_2371 Depth=4
	v_and_b32_e32 v12, 0x7c, v15
	v_and_b32_e32 v20, 3, v15
	v_cmp_ne_u32_e32 vcc, s95, v12
                                        ; implicit-def: $vgpr12
	s_and_saveexec_b64 s[74:75], vcc
	s_xor_b64 s[74:75], exec, s[74:75]
	s_cbranch_execz .LBB4_2952
; %bb.2951:                             ;   in Loop: Header=BB4_2371 Depth=4
	v_ffbh_u32_e32 v21, v20
	v_min_u32_e32 v21, 32, v21
	v_subrev_u32_e32 v32, 29, v21
	v_bfe_u32 v12, v15, 2, 5
	v_lshlrev_b64 v[32:33], v32, v[42:43]
	v_sub_u32_e32 v21, 30, v21
	v_and_b32_e32 v32, 3, v32
	v_cmp_eq_u32_e32 vcc, 0, v12
	v_cndmask_b32_e32 v12, v12, v21, vcc
	v_cndmask_b32_e32 v20, v20, v32, vcc
	v_bfrev_b32_e32 v32, 28
	v_lshlrev_b32_e32 v21, 24, v15
	v_lshl_add_u32 v12, v12, 23, v32
	v_and_or_b32 v12, v21, s96, v12
	v_lshl_or_b32 v12, v20, 21, v12
                                        ; implicit-def: $vgpr20
.LBB4_2952:                             ;   in Loop: Header=BB4_2371 Depth=4
	s_andn2_saveexec_b64 s[74:75], s[74:75]
; %bb.2953:                             ;   in Loop: Header=BB4_2371 Depth=4
	v_mov_b32_e32 v12, -1
	v_cmp_gt_i16_sdwa vcc, sext(v15), v12 src0_sel:BYTE_0 src1_sel:DWORD
	v_cndmask_b32_e32 v12, v6, v1, vcc
	v_cmp_eq_u32_e32 vcc, 0, v20
	v_mov_b32_e32 v20, 0x7f800001
	v_cndmask_b32_e32 v12, v20, v12, vcc
; %bb.2954:                             ;   in Loop: Header=BB4_2371 Depth=4
	s_or_b64 exec, exec, s[74:75]
.LBB4_2955:                             ;   in Loop: Header=BB4_2371 Depth=4
	s_or_b64 exec, exec, s[72:73]
.LBB4_2956:                             ;   in Loop: Header=BB4_2371 Depth=4
	s_or_b64 exec, exec, s[70:71]
	v_cmp_ne_u16_sdwa vcc, v11, v43 src0_sel:BYTE_0 src1_sel:DWORD
	s_and_saveexec_b64 s[70:71], vcc
	s_cbranch_execz .LBB4_2964
; %bb.2957:                             ;   in Loop: Header=BB4_2371 Depth=4
	v_cmp_ne_u16_sdwa vcc, v11, s97 src0_sel:BYTE_0 src1_sel:DWORD
	v_bfrev_b32_e32 v13, 1
	s_and_saveexec_b64 s[72:73], vcc
	s_cbranch_execz .LBB4_2963
; %bb.2958:                             ;   in Loop: Header=BB4_2371 Depth=4
	v_and_b32_e32 v13, 0x7c, v11
	v_and_b32_e32 v20, 3, v11
	v_cmp_ne_u32_e32 vcc, s95, v13
                                        ; implicit-def: $vgpr13
	s_and_saveexec_b64 s[74:75], vcc
	s_xor_b64 s[74:75], exec, s[74:75]
	s_cbranch_execz .LBB4_2960
; %bb.2959:                             ;   in Loop: Header=BB4_2371 Depth=4
	v_ffbh_u32_e32 v21, v20
	v_min_u32_e32 v21, 32, v21
	v_subrev_u32_e32 v32, 29, v21
	v_bfe_u32 v13, v11, 2, 5
	v_lshlrev_b64 v[32:33], v32, v[8:9]
	v_sub_u32_e32 v21, 30, v21
	v_and_b32_e32 v32, 3, v32
	v_cmp_eq_u32_e32 vcc, 0, v13
	v_cndmask_b32_e32 v13, v13, v21, vcc
	v_cndmask_b32_e32 v20, v20, v32, vcc
	v_bfrev_b32_e32 v32, 28
	v_lshlrev_b32_e32 v21, 24, v11
	v_lshl_add_u32 v13, v13, 23, v32
	v_and_or_b32 v13, v21, s96, v13
	v_lshl_or_b32 v13, v20, 21, v13
                                        ; implicit-def: $vgpr20
.LBB4_2960:                             ;   in Loop: Header=BB4_2371 Depth=4
	s_andn2_saveexec_b64 s[74:75], s[74:75]
; %bb.2961:                             ;   in Loop: Header=BB4_2371 Depth=4
	v_mov_b32_e32 v13, -1
	v_cmp_gt_i16_sdwa vcc, sext(v11), v13 src0_sel:BYTE_0 src1_sel:DWORD
	v_cndmask_b32_e32 v13, v6, v1, vcc
	v_cmp_eq_u32_e32 vcc, 0, v20
	v_mov_b32_e32 v20, 0x7f800001
	v_cndmask_b32_e32 v13, v20, v13, vcc
; %bb.2962:                             ;   in Loop: Header=BB4_2371 Depth=4
	s_or_b64 exec, exec, s[74:75]
.LBB4_2963:                             ;   in Loop: Header=BB4_2371 Depth=4
	s_or_b64 exec, exec, s[72:73]
.LBB4_2964:                             ;   in Loop: Header=BB4_2371 Depth=4
	s_or_b64 exec, exec, s[70:71]
	v_max_f32_e32 v13, v13, v13
	v_max_f32_e32 v12, v12, v12
	;; [unrolled: 1-line block ×3, first 2 shown]
	s_branch .LBB4_2983
.LBB4_2965:                             ;   in Loop: Header=BB4_2371 Depth=4
                                        ; implicit-def: $vgpr20
	s_cbranch_execz .LBB4_2983
; %bb.2966:                             ;   in Loop: Header=BB4_2371 Depth=4
	v_mov_b32_e32 v13, 0
	v_mov_b32_e32 v12, 0
	s_and_saveexec_b64 s[70:71], s[30:31]
	s_cbranch_execz .LBB4_2974
; %bb.2967:                             ;   in Loop: Header=BB4_2371 Depth=4
	v_cmp_ne_u16_sdwa vcc, v15, s97 src0_sel:BYTE_0 src1_sel:DWORD
	v_bfrev_b32_e32 v12, 1
	s_and_saveexec_b64 s[30:31], vcc
	s_cbranch_execz .LBB4_2973
; %bb.2968:                             ;   in Loop: Header=BB4_2371 Depth=4
	v_and_b32_e32 v12, 0x7c, v15
	v_and_b32_e32 v20, 3, v15
	v_cmp_ne_u32_e32 vcc, s95, v12
                                        ; implicit-def: $vgpr12
	s_and_saveexec_b64 s[72:73], vcc
	s_xor_b64 s[72:73], exec, s[72:73]
	s_cbranch_execz .LBB4_2970
; %bb.2969:                             ;   in Loop: Header=BB4_2371 Depth=4
	v_ffbh_u32_e32 v21, v20
	v_min_u32_e32 v21, 32, v21
	v_subrev_u32_e32 v32, 29, v21
	v_bfe_u32 v12, v15, 2, 5
	v_lshlrev_b64 v[32:33], v32, v[42:43]
	v_sub_u32_e32 v21, 30, v21
	v_and_b32_e32 v32, 3, v32
	v_cmp_eq_u32_e32 vcc, 0, v12
	v_cndmask_b32_e32 v12, v12, v21, vcc
	v_cndmask_b32_e32 v20, v20, v32, vcc
	v_bfrev_b32_e32 v32, 28
	v_lshlrev_b32_e32 v21, 24, v15
	v_lshl_add_u32 v12, v12, 23, v32
	v_and_or_b32 v12, v21, s96, v12
	v_lshl_or_b32 v12, v20, 21, v12
                                        ; implicit-def: $vgpr20
.LBB4_2970:                             ;   in Loop: Header=BB4_2371 Depth=4
	s_andn2_saveexec_b64 s[72:73], s[72:73]
; %bb.2971:                             ;   in Loop: Header=BB4_2371 Depth=4
	v_mov_b32_e32 v12, -1
	v_cmp_gt_i16_sdwa vcc, sext(v15), v12 src0_sel:BYTE_0 src1_sel:DWORD
	v_cndmask_b32_e32 v12, v6, v1, vcc
	v_cmp_eq_u32_e32 vcc, 0, v20
	v_mov_b32_e32 v20, 0x7f800001
	v_cndmask_b32_e32 v12, v20, v12, vcc
; %bb.2972:                             ;   in Loop: Header=BB4_2371 Depth=4
	s_or_b64 exec, exec, s[72:73]
.LBB4_2973:                             ;   in Loop: Header=BB4_2371 Depth=4
	s_or_b64 exec, exec, s[30:31]
.LBB4_2974:                             ;   in Loop: Header=BB4_2371 Depth=4
	s_or_b64 exec, exec, s[70:71]
	v_cmp_ne_u16_sdwa vcc, v11, v43 src0_sel:BYTE_0 src1_sel:DWORD
	s_and_saveexec_b64 s[30:31], vcc
	s_cbranch_execz .LBB4_2982
; %bb.2975:                             ;   in Loop: Header=BB4_2371 Depth=4
	v_cmp_ne_u16_sdwa vcc, v11, s97 src0_sel:BYTE_0 src1_sel:DWORD
	v_bfrev_b32_e32 v13, 1
	s_and_saveexec_b64 s[70:71], vcc
	s_cbranch_execz .LBB4_2981
; %bb.2976:                             ;   in Loop: Header=BB4_2371 Depth=4
	v_and_b32_e32 v13, 0x7c, v11
	v_and_b32_e32 v20, 3, v11
	v_cmp_ne_u32_e32 vcc, s95, v13
                                        ; implicit-def: $vgpr13
	s_and_saveexec_b64 s[72:73], vcc
	s_xor_b64 s[72:73], exec, s[72:73]
	s_cbranch_execz .LBB4_2978
; %bb.2977:                             ;   in Loop: Header=BB4_2371 Depth=4
	v_ffbh_u32_e32 v21, v20
	v_min_u32_e32 v21, 32, v21
	v_subrev_u32_e32 v32, 29, v21
	v_bfe_u32 v13, v11, 2, 5
	v_lshlrev_b64 v[32:33], v32, v[8:9]
	v_sub_u32_e32 v9, 30, v21
	v_and_b32_e32 v21, 3, v32
	v_cmp_eq_u32_e32 vcc, 0, v13
	v_cndmask_b32_e32 v9, v13, v9, vcc
	v_cndmask_b32_e32 v13, v20, v21, vcc
	v_bfrev_b32_e32 v21, 28
	v_lshlrev_b32_e32 v20, 24, v11
	v_lshl_add_u32 v9, v9, 23, v21
	v_and_or_b32 v9, v20, s96, v9
	v_lshl_or_b32 v13, v13, 21, v9
                                        ; implicit-def: $vgpr20
.LBB4_2978:                             ;   in Loop: Header=BB4_2371 Depth=4
	s_andn2_saveexec_b64 s[72:73], s[72:73]
; %bb.2979:                             ;   in Loop: Header=BB4_2371 Depth=4
	v_mov_b32_e32 v9, -1
	v_cmp_gt_i16_sdwa vcc, sext(v11), v9 src0_sel:BYTE_0 src1_sel:DWORD
	v_cndmask_b32_e32 v9, v6, v1, vcc
	v_cmp_eq_u32_e32 vcc, 0, v20
	v_mov_b32_e32 v13, 0x7f800001
	v_cndmask_b32_e32 v13, v13, v9, vcc
; %bb.2980:                             ;   in Loop: Header=BB4_2371 Depth=4
	s_or_b64 exec, exec, s[72:73]
.LBB4_2981:                             ;   in Loop: Header=BB4_2371 Depth=4
	s_or_b64 exec, exec, s[70:71]
.LBB4_2982:                             ;   in Loop: Header=BB4_2371 Depth=4
	s_or_b64 exec, exec, s[30:31]
	v_max_f32_e32 v9, v13, v13
	v_max_f32_e32 v12, v12, v12
	v_min_f32_e32 v20, v12, v9
.LBB4_2983:                             ;   in Loop: Header=BB4_2371 Depth=4
	v_and_b32_sdwa v9, v20, s97 dst_sel:DWORD dst_unused:UNUSED_PAD src0_sel:BYTE_3 src1_sel:DWORD
	v_and_b32_e32 v32, 0x7f800000, v20
	v_mov_b32_e32 v33, v43
	v_and_b32_e32 v12, 0x7fffff, v20
	v_mov_b32_e32 v13, v43
	v_or_b32_e32 v37, 0x7b, v9
	v_cmp_ne_u64_e32 vcc, s[52:53], v[32:33]
	s_and_saveexec_b64 s[30:31], vcc
	s_xor_b64 s[70:71], exec, s[30:31]
	s_cbranch_execz .LBB4_2993
; %bb.2984:                             ;   in Loop: Header=BB4_2371 Depth=4
	v_and_b32_e32 v32, 0x7fffffff, v20
	v_mov_b32_e32 v33, v43
	v_cmp_gt_u64_e32 vcc, s[54:55], v[32:33]
	s_and_saveexec_b64 s[72:73], vcc
	s_cbranch_execz .LBB4_2992
; %bb.2985:                             ;   in Loop: Header=BB4_2371 Depth=4
	v_cmp_ne_u32_e32 vcc, 0, v20
	v_mov_b32_e32 v37, 0
	s_and_saveexec_b64 s[74:75], vcc
	s_cbranch_execz .LBB4_2991
; %bb.2986:                             ;   in Loop: Header=BB4_2371 Depth=4
	v_bfe_u32 v20, v20, 23, 8
	v_cmp_eq_u32_e32 vcc, 0, v20
	v_add_u32_e32 v21, 0xffffff81, v20
	v_cmp_gt_u32_e64 s[30:31], s38, v20
	v_sub_u32_e32 v20, 0x71, v20
	v_mov_b32_e32 v33, 0xffffff82
	v_cndmask_b32_e64 v20, 0, v20, s[30:31]
	v_cndmask_b32_e32 v37, v21, v33, vcc
	v_mov_b32_e32 v21, 0x70
	v_cndmask_b32_e32 v50, v20, v21, vcc
	v_add_u32_e32 v20, 21, v50
	v_or_b32_e32 v32, 0x800000, v12
	v_lshlrev_b64 v[20:21], v20, -1
	v_cndmask_b32_e32 v12, v32, v12, vcc
	v_not_b32_e32 v21, v21
	v_not_b32_e32 v20, v20
	v_add_u32_e32 v32, 20, v50
	v_and_b32_e32 v21, 0, v21
	v_and_b32_e32 v20, v12, v20
	v_lshlrev_b64 v[32:33], v32, 1
	v_lshrrev_b64 v[12:13], v50, v[12:13]
	v_cmp_eq_u64_e32 vcc, v[20:21], v[32:33]
	v_lshrrev_b32_e32 v20, 23, v12
	v_add3_u32 v37, v50, v37, v20
	v_bfe_u32 v20, v12, 21, 1
	v_add_u32_e32 v20, -1, v20
	v_cndmask_b32_e32 v20, 0, v20, vcc
	v_add_u32_e32 v20, v20, v12
	v_and_b32_e32 v20, 0x1fffff, v20
	v_add_co_u32_e32 v12, vcc, v20, v12
	v_add_u32_e32 v21, 14, v37
	v_addc_co_u32_e32 v13, vcc, 0, v13, vcc
	v_cmp_ne_u32_e32 vcc, 0, v21
                                        ; implicit-def: $vgpr20
	s_and_saveexec_b64 s[30:31], vcc
	s_xor_b64 s[30:31], exec, s[30:31]
; %bb.2987:                             ;   in Loop: Header=BB4_2371 Depth=4
	v_add_u32_e32 v20, 15, v37
	v_cmp_lt_u64_e32 vcc, s[56:57], v[12:13]
	v_cndmask_b32_e32 v20, v21, v20, vcc
	v_cndmask_b32_e64 v21, 0, 1, vcc
	v_lshrrev_b64 v[12:13], v21, v[12:13]
; %bb.2988:                             ;   in Loop: Header=BB4_2371 Depth=4
	s_andn2_saveexec_b64 vcc, s[30:31]
; %bb.2989:                             ;   in Loop: Header=BB4_2371 Depth=4
	v_bfe_u32 v20, v12, 23, 1
; %bb.2990:                             ;   in Loop: Header=BB4_2371 Depth=4
	s_or_b64 exec, exec, vcc
	v_lshrrev_b64 v[12:13], 21, v[12:13]
	v_cmp_gt_i32_e32 vcc, 32, v20
	v_cndmask_b32_e32 v13, 0, v13, vcc
	v_cndmask_b32_e32 v12, 3, v12, vcc
	v_cmp_eq_u64_e64 s[30:31], 0, v[12:13]
	v_min_i32_e32 v13, 31, v20
	v_cmp_eq_u32_e32 vcc, 0, v20
	v_lshlrev_b32_e32 v13, 2, v13
	v_and_or_b32 v12, v12, 3, v13
	s_and_b64 vcc, vcc, s[30:31]
	v_cndmask_b32_e64 v12, v12, 0, vcc
	v_or_b32_e32 v37, v12, v9
.LBB4_2991:                             ;   in Loop: Header=BB4_2371 Depth=4
	s_or_b64 exec, exec, s[74:75]
.LBB4_2992:                             ;   in Loop: Header=BB4_2371 Depth=4
	s_or_b64 exec, exec, s[72:73]
                                        ; implicit-def: $vgpr20
                                        ; implicit-def: $vgpr12_vgpr13
.LBB4_2993:                             ;   in Loop: Header=BB4_2371 Depth=4
	s_andn2_saveexec_b64 s[30:31], s[70:71]
; %bb.2994:                             ;   in Loop: Header=BB4_2371 Depth=4
	v_or_b32_sdwa v9, v20, s39 dst_sel:DWORD dst_unused:UNUSED_PAD src0_sel:BYTE_3 src1_sel:DWORD
	v_cmp_eq_u64_e32 vcc, 0, v[12:13]
	v_cndmask_b32_e32 v37, v9, v37, vcc
; %bb.2995:                             ;   in Loop: Header=BB4_2371 Depth=4
	s_or_b64 exec, exec, s[30:31]
	v_lshrrev_b16_e32 v20, 8, v42
	v_lshrrev_b16_e32 v12, 8, v8
	v_cmp_ne_u16_e64 s[30:31], 0, v20
	s_and_b64 vcc, exec, s[68:69]
	s_cbranch_vccz .LBB4_3013
; %bb.2996:                             ;   in Loop: Header=BB4_2371 Depth=4
	v_mov_b32_e32 v13, 0
	v_mov_b32_e32 v9, 0
	s_and_saveexec_b64 s[70:71], s[30:31]
	s_cbranch_execz .LBB4_3004
; %bb.2997:                             ;   in Loop: Header=BB4_2371 Depth=4
	v_cmp_ne_u16_e32 vcc, s97, v20
	v_bfrev_b32_e32 v9, 1
	s_and_saveexec_b64 s[72:73], vcc
	s_cbranch_execz .LBB4_3003
; %bb.2998:                             ;   in Loop: Header=BB4_2371 Depth=4
	v_and_b32_e32 v9, 0x7c, v20
	v_and_b32_e32 v54, 3, v20
	v_cmp_ne_u32_e32 vcc, s95, v9
                                        ; implicit-def: $vgpr9
	s_and_saveexec_b64 s[74:75], vcc
	s_xor_b64 s[74:75], exec, s[74:75]
	s_cbranch_execz .LBB4_3000
; %bb.2999:                             ;   in Loop: Header=BB4_2371 Depth=4
	v_ffbh_u32_e32 v32, v54
	v_min_u32_e32 v50, 32, v32
	v_mov_b32_e32 v21, v43
	v_bfe_u32 v9, v20, 2, 5
	v_subrev_u32_e32 v32, 29, v50
	v_lshlrev_b64 v[32:33], v32, v[20:21]
	v_sub_u32_e32 v21, 30, v50
	v_cmp_eq_u32_e32 vcc, 0, v9
	v_and_b32_e32 v32, 3, v32
	v_cndmask_b32_e32 v9, v9, v21, vcc
	v_bfrev_b32_e32 v33, 28
	v_cndmask_b32_e32 v21, v54, v32, vcc
	v_lshlrev_b32_e32 v32, 16, v42
	v_lshl_add_u32 v9, v9, 23, v33
	v_and_or_b32 v9, v32, s96, v9
	v_lshl_or_b32 v9, v21, 21, v9
                                        ; implicit-def: $vgpr54
.LBB4_3000:                             ;   in Loop: Header=BB4_2371 Depth=4
	s_andn2_saveexec_b64 s[74:75], s[74:75]
; %bb.3001:                             ;   in Loop: Header=BB4_2371 Depth=4
	v_cmp_lt_i16_e32 vcc, -1, v42
	v_cndmask_b32_e32 v9, v6, v1, vcc
	v_cmp_eq_u32_e32 vcc, 0, v54
	v_mov_b32_e32 v21, 0x7f800001
	v_cndmask_b32_e32 v9, v21, v9, vcc
; %bb.3002:                             ;   in Loop: Header=BB4_2371 Depth=4
	s_or_b64 exec, exec, s[74:75]
.LBB4_3003:                             ;   in Loop: Header=BB4_2371 Depth=4
	s_or_b64 exec, exec, s[72:73]
.LBB4_3004:                             ;   in Loop: Header=BB4_2371 Depth=4
	s_or_b64 exec, exec, s[70:71]
	v_cmp_ne_u16_e32 vcc, 0, v12
	s_and_saveexec_b64 s[70:71], vcc
	s_cbranch_execz .LBB4_3012
; %bb.3005:                             ;   in Loop: Header=BB4_2371 Depth=4
	v_cmp_ne_u16_e32 vcc, s97, v12
	v_bfrev_b32_e32 v13, 1
	s_and_saveexec_b64 s[72:73], vcc
	s_cbranch_execz .LBB4_3011
; %bb.3006:                             ;   in Loop: Header=BB4_2371 Depth=4
	v_and_b32_e32 v13, 0x7c, v12
	v_and_b32_e32 v21, 3, v12
	v_cmp_ne_u32_e32 vcc, s95, v13
                                        ; implicit-def: $vgpr13
	s_and_saveexec_b64 s[74:75], vcc
	s_xor_b64 s[74:75], exec, s[74:75]
	s_cbranch_execz .LBB4_3008
; %bb.3007:                             ;   in Loop: Header=BB4_2371 Depth=4
	v_ffbh_u32_e32 v32, v21
	v_min_u32_e32 v51, 32, v32
	v_mov_b32_e32 v13, v43
	v_bfe_u32 v50, v12, 2, 5
	v_subrev_u32_e32 v32, 29, v51
	v_lshlrev_b64 v[32:33], v32, v[12:13]
	v_sub_u32_e32 v13, 30, v51
	v_cmp_eq_u32_e32 vcc, 0, v50
	v_and_b32_e32 v32, 3, v32
	v_cndmask_b32_e32 v13, v50, v13, vcc
	v_bfrev_b32_e32 v33, 28
	v_cndmask_b32_e32 v21, v21, v32, vcc
	v_lshlrev_b32_e32 v32, 16, v8
	v_lshl_add_u32 v13, v13, 23, v33
	v_and_or_b32 v13, v32, s96, v13
	v_lshl_or_b32 v13, v21, 21, v13
                                        ; implicit-def: $vgpr21
.LBB4_3008:                             ;   in Loop: Header=BB4_2371 Depth=4
	s_andn2_saveexec_b64 s[74:75], s[74:75]
; %bb.3009:                             ;   in Loop: Header=BB4_2371 Depth=4
	v_cmp_lt_i16_e32 vcc, -1, v8
	v_cndmask_b32_e32 v13, v6, v1, vcc
	v_cmp_eq_u32_e32 vcc, 0, v21
	v_mov_b32_e32 v21, 0x7f800001
	v_cndmask_b32_e32 v13, v21, v13, vcc
; %bb.3010:                             ;   in Loop: Header=BB4_2371 Depth=4
	s_or_b64 exec, exec, s[74:75]
.LBB4_3011:                             ;   in Loop: Header=BB4_2371 Depth=4
	s_or_b64 exec, exec, s[72:73]
.LBB4_3012:                             ;   in Loop: Header=BB4_2371 Depth=4
	s_or_b64 exec, exec, s[70:71]
	v_max_f32_e32 v13, v13, v13
	v_max_f32_e32 v9, v9, v9
	;; [unrolled: 1-line block ×3, first 2 shown]
	s_branch .LBB4_3031
.LBB4_3013:                             ;   in Loop: Header=BB4_2371 Depth=4
                                        ; implicit-def: $vgpr9
	s_cbranch_execz .LBB4_3031
; %bb.3014:                             ;   in Loop: Header=BB4_2371 Depth=4
	v_mov_b32_e32 v13, 0
	v_mov_b32_e32 v21, 0
	s_and_saveexec_b64 s[70:71], s[30:31]
	s_cbranch_execz .LBB4_3022
; %bb.3015:                             ;   in Loop: Header=BB4_2371 Depth=4
	v_cmp_ne_u16_e32 vcc, s97, v20
	v_bfrev_b32_e32 v21, 1
	s_and_saveexec_b64 s[30:31], vcc
	s_cbranch_execz .LBB4_3021
; %bb.3016:                             ;   in Loop: Header=BB4_2371 Depth=4
	v_and_b32_e32 v21, 0x7c, v20
	v_and_b32_e32 v9, 3, v20
	v_cmp_ne_u32_e32 vcc, s95, v21
                                        ; implicit-def: $vgpr21
	s_and_saveexec_b64 s[72:73], vcc
	s_xor_b64 s[72:73], exec, s[72:73]
	s_cbranch_execz .LBB4_3018
; %bb.3017:                             ;   in Loop: Header=BB4_2371 Depth=4
	v_ffbh_u32_e32 v33, v9
	v_min_u32_e32 v33, 32, v33
	v_mov_b32_e32 v21, v43
	v_subrev_u32_e32 v50, 29, v33
	v_bfe_u32 v32, v20, 2, 5
	v_lshlrev_b64 v[20:21], v50, v[20:21]
	v_sub_u32_e32 v21, 30, v33
	v_cmp_eq_u32_e32 vcc, 0, v32
	v_and_b32_e32 v20, 3, v20
	v_cndmask_b32_e32 v21, v32, v21, vcc
	v_bfrev_b32_e32 v32, 28
	v_cndmask_b32_e32 v9, v9, v20, vcc
	v_lshlrev_b32_e32 v20, 16, v42
	v_lshl_add_u32 v21, v21, 23, v32
	v_and_or_b32 v20, v20, s96, v21
	v_lshl_or_b32 v21, v9, 21, v20
                                        ; implicit-def: $vgpr9
.LBB4_3018:                             ;   in Loop: Header=BB4_2371 Depth=4
	s_andn2_saveexec_b64 s[72:73], s[72:73]
; %bb.3019:                             ;   in Loop: Header=BB4_2371 Depth=4
	v_cmp_lt_i16_e32 vcc, -1, v42
	v_cndmask_b32_e32 v20, v6, v1, vcc
	v_cmp_eq_u32_e32 vcc, 0, v9
	v_mov_b32_e32 v9, 0x7f800001
	v_cndmask_b32_e32 v21, v9, v20, vcc
; %bb.3020:                             ;   in Loop: Header=BB4_2371 Depth=4
	s_or_b64 exec, exec, s[72:73]
.LBB4_3021:                             ;   in Loop: Header=BB4_2371 Depth=4
	s_or_b64 exec, exec, s[30:31]
.LBB4_3022:                             ;   in Loop: Header=BB4_2371 Depth=4
	s_or_b64 exec, exec, s[70:71]
	v_cmp_ne_u16_e32 vcc, 0, v12
	s_and_saveexec_b64 s[30:31], vcc
	s_cbranch_execz .LBB4_3030
; %bb.3023:                             ;   in Loop: Header=BB4_2371 Depth=4
	v_cmp_ne_u16_e32 vcc, s97, v12
	v_bfrev_b32_e32 v13, 1
	s_and_saveexec_b64 s[70:71], vcc
	s_cbranch_execz .LBB4_3029
; %bb.3024:                             ;   in Loop: Header=BB4_2371 Depth=4
	v_and_b32_e32 v9, 0x7c, v12
	v_and_b32_e32 v20, 3, v12
	v_cmp_ne_u32_e32 vcc, s95, v9
                                        ; implicit-def: $vgpr13
	s_and_saveexec_b64 s[72:73], vcc
	s_xor_b64 s[72:73], exec, s[72:73]
	s_cbranch_execz .LBB4_3026
; %bb.3025:                             ;   in Loop: Header=BB4_2371 Depth=4
	v_ffbh_u32_e32 v32, v20
	v_min_u32_e32 v32, 32, v32
	v_mov_b32_e32 v13, v43
	v_subrev_u32_e32 v33, 29, v32
	v_bfe_u32 v9, v12, 2, 5
	v_lshlrev_b64 v[12:13], v33, v[12:13]
	v_sub_u32_e32 v13, 30, v32
	v_cmp_eq_u32_e32 vcc, 0, v9
	v_cndmask_b32_e32 v9, v9, v13, vcc
	v_bfrev_b32_e32 v13, 28
	v_and_b32_e32 v12, 3, v12
	v_lshlrev_b32_e32 v8, 16, v8
	v_lshl_add_u32 v9, v9, 23, v13
	v_cndmask_b32_e32 v12, v20, v12, vcc
	v_and_or_b32 v8, v8, s96, v9
	v_lshl_or_b32 v13, v12, 21, v8
                                        ; implicit-def: $vgpr20
                                        ; implicit-def: $vgpr8_vgpr9
.LBB4_3026:                             ;   in Loop: Header=BB4_2371 Depth=4
	s_andn2_saveexec_b64 s[72:73], s[72:73]
; %bb.3027:                             ;   in Loop: Header=BB4_2371 Depth=4
	v_cmp_lt_i16_e32 vcc, -1, v8
	v_cndmask_b32_e32 v8, v6, v1, vcc
	v_cmp_eq_u32_e32 vcc, 0, v20
	v_mov_b32_e32 v9, 0x7f800001
	v_cndmask_b32_e32 v13, v9, v8, vcc
; %bb.3028:                             ;   in Loop: Header=BB4_2371 Depth=4
	s_or_b64 exec, exec, s[72:73]
.LBB4_3029:                             ;   in Loop: Header=BB4_2371 Depth=4
	s_or_b64 exec, exec, s[70:71]
.LBB4_3030:                             ;   in Loop: Header=BB4_2371 Depth=4
	s_or_b64 exec, exec, s[30:31]
	v_max_f32_e32 v8, v13, v13
	v_max_f32_e32 v9, v21, v21
	v_min_f32_e32 v9, v9, v8
.LBB4_3031:                             ;   in Loop: Header=BB4_2371 Depth=4
	v_and_b32_sdwa v12, v9, s97 dst_sel:DWORD dst_unused:UNUSED_PAD src0_sel:BYTE_3 src1_sel:DWORD
	v_and_b32_e32 v20, 0x7f800000, v9
	v_mov_b32_e32 v21, v43
	v_and_b32_e32 v42, 0x7fffff, v9
	v_or_b32_e32 v13, 0x7b, v12
	v_cmp_ne_u64_e32 vcc, s[52:53], v[20:21]
	s_and_saveexec_b64 s[30:31], vcc
	s_xor_b64 s[70:71], exec, s[30:31]
	s_cbranch_execz .LBB4_3041
; %bb.3032:                             ;   in Loop: Header=BB4_2371 Depth=4
	v_and_b32_e32 v20, 0x7fffffff, v9
	v_mov_b32_e32 v21, v43
	v_cmp_gt_u64_e32 vcc, s[54:55], v[20:21]
	s_and_saveexec_b64 s[72:73], vcc
	s_cbranch_execz .LBB4_3040
; %bb.3033:                             ;   in Loop: Header=BB4_2371 Depth=4
	v_cmp_ne_u32_e32 vcc, 0, v9
	v_mov_b32_e32 v13, 0
	s_and_saveexec_b64 s[74:75], vcc
	s_cbranch_execz .LBB4_3039
; %bb.3034:                             ;   in Loop: Header=BB4_2371 Depth=4
	v_bfe_u32 v8, v9, 23, 8
	v_cmp_eq_u32_e32 vcc, 0, v8
	v_add_u32_e32 v9, 0xffffff81, v8
	v_cmp_gt_u32_e64 s[30:31], s38, v8
	v_sub_u32_e32 v8, 0x71, v8
	v_mov_b32_e32 v20, 0xffffff82
	v_cndmask_b32_e64 v8, 0, v8, s[30:31]
	v_cndmask_b32_e32 v32, v9, v20, vcc
	v_mov_b32_e32 v9, 0x70
	v_cndmask_b32_e32 v33, v8, v9, vcc
	v_add_u32_e32 v8, 21, v33
	v_or_b32_e32 v13, 0x800000, v42
	v_lshlrev_b64 v[8:9], v8, -1
	v_cndmask_b32_e32 v42, v13, v42, vcc
	v_not_b32_e32 v9, v9
	v_not_b32_e32 v8, v8
	v_add_u32_e32 v13, 20, v33
	v_and_b32_e32 v9, 0, v9
	v_and_b32_e32 v8, v42, v8
	v_lshlrev_b64 v[20:21], v13, 1
	v_cmp_eq_u64_e32 vcc, v[8:9], v[20:21]
	v_lshrrev_b64 v[8:9], v33, v[42:43]
	v_lshrrev_b32_e32 v13, 23, v8
	v_add3_u32 v21, v33, v32, v13
	v_bfe_u32 v13, v8, 21, 1
	v_add_u32_e32 v13, -1, v13
	v_cndmask_b32_e32 v13, 0, v13, vcc
	v_add_u32_e32 v13, v13, v8
	v_and_b32_e32 v13, 0x1fffff, v13
	v_add_co_u32_e32 v8, vcc, v13, v8
	v_add_u32_e32 v20, 14, v21
	v_addc_co_u32_e32 v9, vcc, 0, v9, vcc
	v_cmp_ne_u32_e32 vcc, 0, v20
                                        ; implicit-def: $vgpr13
	s_and_saveexec_b64 s[30:31], vcc
	s_xor_b64 s[30:31], exec, s[30:31]
; %bb.3035:                             ;   in Loop: Header=BB4_2371 Depth=4
	v_add_u32_e32 v13, 15, v21
	v_cmp_lt_u64_e32 vcc, s[56:57], v[8:9]
	v_cndmask_b32_e32 v13, v20, v13, vcc
	v_cndmask_b32_e64 v20, 0, 1, vcc
	v_lshrrev_b64 v[8:9], v20, v[8:9]
; %bb.3036:                             ;   in Loop: Header=BB4_2371 Depth=4
	s_andn2_saveexec_b64 vcc, s[30:31]
; %bb.3037:                             ;   in Loop: Header=BB4_2371 Depth=4
	v_bfe_u32 v13, v8, 23, 1
; %bb.3038:                             ;   in Loop: Header=BB4_2371 Depth=4
	s_or_b64 exec, exec, vcc
	v_lshrrev_b64 v[8:9], 21, v[8:9]
	v_cmp_gt_i32_e32 vcc, 32, v13
	v_cndmask_b32_e32 v9, 0, v9, vcc
	v_cndmask_b32_e32 v8, 3, v8, vcc
	v_cmp_eq_u64_e64 s[30:31], 0, v[8:9]
	v_min_i32_e32 v9, 31, v13
	v_cmp_eq_u32_e32 vcc, 0, v13
	v_lshlrev_b32_e32 v9, 2, v9
	v_and_or_b32 v8, v8, 3, v9
	s_and_b64 vcc, vcc, s[30:31]
	v_cndmask_b32_e64 v8, v8, 0, vcc
	v_or_b32_e32 v13, v8, v12
.LBB4_3039:                             ;   in Loop: Header=BB4_2371 Depth=4
	s_or_b64 exec, exec, s[74:75]
.LBB4_3040:                             ;   in Loop: Header=BB4_2371 Depth=4
	s_or_b64 exec, exec, s[72:73]
                                        ; implicit-def: $vgpr9
.LBB4_3041:                             ;   in Loop: Header=BB4_2371 Depth=4
	s_andn2_saveexec_b64 s[30:31], s[70:71]
; %bb.3042:                             ;   in Loop: Header=BB4_2371 Depth=4
	v_or_b32_sdwa v8, v9, s39 dst_sel:DWORD dst_unused:UNUSED_PAD src0_sel:BYTE_3 src1_sel:DWORD
	v_cmp_eq_u64_e32 vcc, 0, v[42:43]
	v_cndmask_b32_e32 v13, v8, v13, vcc
; %bb.3043:                             ;   in Loop: Header=BB4_2371 Depth=4
	s_or_b64 exec, exec, s[30:31]
	v_lshrrev_b32_e32 v12, 16, v15
	v_lshrrev_b32_e32 v8, 16, v11
	v_cmp_ne_u16_sdwa s[30:31], v12, v43 src0_sel:BYTE_0 src1_sel:DWORD
	s_and_b64 vcc, exec, s[68:69]
	s_cbranch_vccz .LBB4_3061
; %bb.3044:                             ;   in Loop: Header=BB4_2371 Depth=4
	v_mov_b32_e32 v20, 0
	v_mov_b32_e32 v9, 0
	s_and_saveexec_b64 s[70:71], s[30:31]
	s_cbranch_execz .LBB4_3052
; %bb.3045:                             ;   in Loop: Header=BB4_2371 Depth=4
	v_cmp_ne_u16_sdwa vcc, v12, s97 src0_sel:BYTE_0 src1_sel:DWORD
	v_bfrev_b32_e32 v9, 1
	s_and_saveexec_b64 s[72:73], vcc
	s_cbranch_execz .LBB4_3051
; %bb.3046:                             ;   in Loop: Header=BB4_2371 Depth=4
	v_and_b32_e32 v9, 0x7c0000, v15
	v_bfe_u32 v21, v15, 16, 2
	v_cmp_ne_u32_e32 vcc, s36, v9
                                        ; implicit-def: $vgpr9
	s_and_saveexec_b64 s[74:75], vcc
	s_xor_b64 s[74:75], exec, s[74:75]
	s_cbranch_execz .LBB4_3048
; %bb.3047:                             ;   in Loop: Header=BB4_2371 Depth=4
	v_ffbh_u32_e32 v32, v21
	v_min_u32_e32 v50, 32, v32
	v_subrev_u32_e32 v32, 29, v50
	v_bfe_u32 v9, v15, 18, 5
	v_lshlrev_b64 v[32:33], v32, v[12:13]
	v_sub_u32_e32 v33, 30, v50
	v_cmp_eq_u32_e32 vcc, 0, v9
	v_and_b32_e32 v32, 3, v32
	v_cndmask_b32_e32 v9, v9, v33, vcc
	v_bfrev_b32_e32 v33, 28
	v_cndmask_b32_e32 v21, v21, v32, vcc
	v_lshlrev_b32_e32 v32, 24, v12
	v_lshl_add_u32 v9, v9, 23, v33
	v_and_or_b32 v9, v32, s96, v9
	v_lshl_or_b32 v9, v21, 21, v9
                                        ; implicit-def: $vgpr21
.LBB4_3048:                             ;   in Loop: Header=BB4_2371 Depth=4
	s_andn2_saveexec_b64 s[74:75], s[74:75]
; %bb.3049:                             ;   in Loop: Header=BB4_2371 Depth=4
	v_mov_b32_e32 v9, -1
	v_cmp_gt_i16_sdwa vcc, sext(v12), v9 src0_sel:BYTE_0 src1_sel:DWORD
	v_cndmask_b32_e32 v9, v6, v1, vcc
	v_cmp_eq_u32_e32 vcc, 0, v21
	v_mov_b32_e32 v21, 0x7f800001
	v_cndmask_b32_e32 v9, v21, v9, vcc
; %bb.3050:                             ;   in Loop: Header=BB4_2371 Depth=4
	s_or_b64 exec, exec, s[74:75]
.LBB4_3051:                             ;   in Loop: Header=BB4_2371 Depth=4
	s_or_b64 exec, exec, s[72:73]
.LBB4_3052:                             ;   in Loop: Header=BB4_2371 Depth=4
	s_or_b64 exec, exec, s[70:71]
	v_cmp_ne_u16_sdwa vcc, v8, v43 src0_sel:BYTE_0 src1_sel:DWORD
	s_and_saveexec_b64 s[70:71], vcc
	s_cbranch_execz .LBB4_3060
; %bb.3053:                             ;   in Loop: Header=BB4_2371 Depth=4
	v_cmp_ne_u16_sdwa vcc, v8, s97 src0_sel:BYTE_0 src1_sel:DWORD
	v_bfrev_b32_e32 v20, 1
	s_and_saveexec_b64 s[72:73], vcc
	s_cbranch_execz .LBB4_3059
; %bb.3054:                             ;   in Loop: Header=BB4_2371 Depth=4
	v_and_b32_e32 v20, 0x7c0000, v11
	v_bfe_u32 v21, v11, 16, 2
	v_cmp_ne_u32_e32 vcc, s36, v20
                                        ; implicit-def: $vgpr20
	s_and_saveexec_b64 s[74:75], vcc
	s_xor_b64 s[74:75], exec, s[74:75]
	s_cbranch_execz .LBB4_3056
; %bb.3055:                             ;   in Loop: Header=BB4_2371 Depth=4
	v_ffbh_u32_e32 v32, v21
	v_min_u32_e32 v50, 32, v32
	v_subrev_u32_e32 v32, 29, v50
	v_bfe_u32 v20, v11, 18, 5
	v_lshlrev_b64 v[32:33], v32, v[8:9]
	v_sub_u32_e32 v33, 30, v50
	v_cmp_eq_u32_e32 vcc, 0, v20
	v_and_b32_e32 v32, 3, v32
	v_cndmask_b32_e32 v20, v20, v33, vcc
	v_bfrev_b32_e32 v33, 28
	v_cndmask_b32_e32 v21, v21, v32, vcc
	v_lshlrev_b32_e32 v32, 24, v8
	v_lshl_add_u32 v20, v20, 23, v33
	v_and_or_b32 v20, v32, s96, v20
	v_lshl_or_b32 v20, v21, 21, v20
                                        ; implicit-def: $vgpr21
.LBB4_3056:                             ;   in Loop: Header=BB4_2371 Depth=4
	s_andn2_saveexec_b64 s[74:75], s[74:75]
; %bb.3057:                             ;   in Loop: Header=BB4_2371 Depth=4
	v_mov_b32_e32 v20, -1
	v_cmp_gt_i16_sdwa vcc, sext(v8), v20 src0_sel:BYTE_0 src1_sel:DWORD
	v_cndmask_b32_e32 v20, v6, v1, vcc
	v_cmp_eq_u32_e32 vcc, 0, v21
	v_mov_b32_e32 v21, 0x7f800001
	v_cndmask_b32_e32 v20, v21, v20, vcc
; %bb.3058:                             ;   in Loop: Header=BB4_2371 Depth=4
	s_or_b64 exec, exec, s[74:75]
.LBB4_3059:                             ;   in Loop: Header=BB4_2371 Depth=4
	s_or_b64 exec, exec, s[72:73]
.LBB4_3060:                             ;   in Loop: Header=BB4_2371 Depth=4
	s_or_b64 exec, exec, s[70:71]
	v_max_f32_e32 v20, v20, v20
	v_max_f32_e32 v9, v9, v9
	v_max_f32_e32 v9, v9, v20
	s_branch .LBB4_3079
.LBB4_3061:                             ;   in Loop: Header=BB4_2371 Depth=4
                                        ; implicit-def: $vgpr9
	s_cbranch_execz .LBB4_3079
; %bb.3062:                             ;   in Loop: Header=BB4_2371 Depth=4
	v_mov_b32_e32 v20, 0
	v_mov_b32_e32 v9, 0
	s_and_saveexec_b64 s[70:71], s[30:31]
	s_cbranch_execz .LBB4_3070
; %bb.3063:                             ;   in Loop: Header=BB4_2371 Depth=4
	v_cmp_ne_u16_sdwa vcc, v12, s97 src0_sel:BYTE_0 src1_sel:DWORD
	v_bfrev_b32_e32 v9, 1
	s_and_saveexec_b64 s[30:31], vcc
	s_cbranch_execz .LBB4_3069
; %bb.3064:                             ;   in Loop: Header=BB4_2371 Depth=4
	v_and_b32_e32 v9, 0x7c0000, v15
	v_bfe_u32 v21, v15, 16, 2
	v_cmp_ne_u32_e32 vcc, s36, v9
                                        ; implicit-def: $vgpr9
	s_and_saveexec_b64 s[72:73], vcc
	s_xor_b64 s[72:73], exec, s[72:73]
	s_cbranch_execz .LBB4_3066
; %bb.3065:                             ;   in Loop: Header=BB4_2371 Depth=4
	v_ffbh_u32_e32 v32, v21
	v_min_u32_e32 v50, 32, v32
	v_subrev_u32_e32 v32, 29, v50
	v_bfe_u32 v9, v15, 18, 5
	v_lshlrev_b64 v[32:33], v32, v[12:13]
	v_sub_u32_e32 v33, 30, v50
	v_and_b32_e32 v32, 3, v32
	v_cmp_eq_u32_e32 vcc, 0, v9
	v_cndmask_b32_e32 v9, v9, v33, vcc
	v_cndmask_b32_e32 v21, v21, v32, vcc
	v_bfrev_b32_e32 v32, 28
	v_lshlrev_b32_e32 v12, 24, v12
	v_lshl_add_u32 v9, v9, 23, v32
	v_and_or_b32 v9, v12, s96, v9
	v_lshl_or_b32 v9, v21, 21, v9
                                        ; implicit-def: $vgpr21
                                        ; implicit-def: $vgpr12
.LBB4_3066:                             ;   in Loop: Header=BB4_2371 Depth=4
	s_andn2_saveexec_b64 s[72:73], s[72:73]
; %bb.3067:                             ;   in Loop: Header=BB4_2371 Depth=4
	v_mov_b32_e32 v9, -1
	v_cmp_gt_i16_sdwa vcc, sext(v12), v9 src0_sel:BYTE_0 src1_sel:DWORD
	v_cndmask_b32_e32 v9, v6, v1, vcc
	v_cmp_eq_u32_e32 vcc, 0, v21
	v_mov_b32_e32 v12, 0x7f800001
	v_cndmask_b32_e32 v9, v12, v9, vcc
; %bb.3068:                             ;   in Loop: Header=BB4_2371 Depth=4
	s_or_b64 exec, exec, s[72:73]
.LBB4_3069:                             ;   in Loop: Header=BB4_2371 Depth=4
	s_or_b64 exec, exec, s[30:31]
.LBB4_3070:                             ;   in Loop: Header=BB4_2371 Depth=4
	s_or_b64 exec, exec, s[70:71]
	v_cmp_ne_u16_sdwa vcc, v8, v43 src0_sel:BYTE_0 src1_sel:DWORD
	s_and_saveexec_b64 s[30:31], vcc
	s_cbranch_execz .LBB4_3078
; %bb.3071:                             ;   in Loop: Header=BB4_2371 Depth=4
	v_cmp_ne_u16_sdwa vcc, v8, s97 src0_sel:BYTE_0 src1_sel:DWORD
	v_bfrev_b32_e32 v20, 1
	s_and_saveexec_b64 s[70:71], vcc
	s_cbranch_execz .LBB4_3077
; %bb.3072:                             ;   in Loop: Header=BB4_2371 Depth=4
	v_and_b32_e32 v20, 0x7c0000, v11
	v_bfe_u32 v12, v11, 16, 2
	v_cmp_ne_u32_e32 vcc, s36, v20
                                        ; implicit-def: $vgpr20
	s_and_saveexec_b64 s[72:73], vcc
	s_xor_b64 s[72:73], exec, s[72:73]
	s_cbranch_execz .LBB4_3074
; %bb.3073:                             ;   in Loop: Header=BB4_2371 Depth=4
	v_ffbh_u32_e32 v20, v12
	v_min_u32_e32 v33, 32, v20
	v_subrev_u32_e32 v20, 29, v33
	v_bfe_u32 v32, v11, 18, 5
	v_lshlrev_b64 v[20:21], v20, v[8:9]
	v_sub_u32_e32 v21, 30, v33
	v_and_b32_e32 v20, 3, v20
	v_cmp_eq_u32_e32 vcc, 0, v32
	v_cndmask_b32_e32 v21, v32, v21, vcc
	v_cndmask_b32_e32 v12, v12, v20, vcc
	v_bfrev_b32_e32 v20, 28
	v_lshlrev_b32_e32 v8, 24, v8
	v_lshl_add_u32 v20, v21, 23, v20
	v_and_or_b32 v8, v8, s96, v20
	v_lshl_or_b32 v20, v12, 21, v8
                                        ; implicit-def: $vgpr12
                                        ; implicit-def: $vgpr8
.LBB4_3074:                             ;   in Loop: Header=BB4_2371 Depth=4
	s_andn2_saveexec_b64 s[72:73], s[72:73]
; %bb.3075:                             ;   in Loop: Header=BB4_2371 Depth=4
	v_mov_b32_e32 v20, -1
	v_cmp_gt_i16_sdwa vcc, sext(v8), v20 src0_sel:BYTE_0 src1_sel:DWORD
	v_cndmask_b32_e32 v8, v6, v1, vcc
	v_cmp_eq_u32_e32 vcc, 0, v12
	v_mov_b32_e32 v12, 0x7f800001
	v_cndmask_b32_e32 v20, v12, v8, vcc
; %bb.3076:                             ;   in Loop: Header=BB4_2371 Depth=4
	s_or_b64 exec, exec, s[72:73]
.LBB4_3077:                             ;   in Loop: Header=BB4_2371 Depth=4
	s_or_b64 exec, exec, s[70:71]
.LBB4_3078:                             ;   in Loop: Header=BB4_2371 Depth=4
	s_or_b64 exec, exec, s[30:31]
	v_max_f32_e32 v8, v20, v20
	v_max_f32_e32 v9, v9, v9
	v_min_f32_e32 v9, v9, v8
.LBB4_3079:                             ;   in Loop: Header=BB4_2371 Depth=4
	v_and_b32_sdwa v12, v9, s97 dst_sel:DWORD dst_unused:UNUSED_PAD src0_sel:BYTE_3 src1_sel:DWORD
	v_and_b32_e32 v32, 0x7f800000, v9
	v_mov_b32_e32 v33, v43
	v_and_b32_e32 v42, 0x7fffff, v9
	v_or_b32_e32 v20, 0x7b, v12
	v_cmp_ne_u64_e32 vcc, s[52:53], v[32:33]
	s_and_saveexec_b64 s[30:31], vcc
	s_xor_b64 s[70:71], exec, s[30:31]
	s_cbranch_execz .LBB4_3089
; %bb.3080:                             ;   in Loop: Header=BB4_2371 Depth=4
	v_and_b32_e32 v32, 0x7fffffff, v9
	v_mov_b32_e32 v33, v43
	v_cmp_gt_u64_e32 vcc, s[54:55], v[32:33]
	s_and_saveexec_b64 s[72:73], vcc
	s_cbranch_execz .LBB4_3088
; %bb.3081:                             ;   in Loop: Header=BB4_2371 Depth=4
	v_cmp_ne_u32_e32 vcc, 0, v9
	v_mov_b32_e32 v20, 0
	s_and_saveexec_b64 s[74:75], vcc
	s_cbranch_execz .LBB4_3087
; %bb.3082:                             ;   in Loop: Header=BB4_2371 Depth=4
	v_bfe_u32 v8, v9, 23, 8
	v_cmp_eq_u32_e32 vcc, 0, v8
	v_add_u32_e32 v9, 0xffffff81, v8
	v_cmp_gt_u32_e64 s[30:31], s38, v8
	v_sub_u32_e32 v8, 0x71, v8
	v_mov_b32_e32 v21, 0xffffff82
	v_cndmask_b32_e64 v8, 0, v8, s[30:31]
	v_cndmask_b32_e32 v32, v9, v21, vcc
	v_mov_b32_e32 v9, 0x70
	v_cndmask_b32_e32 v33, v8, v9, vcc
	v_add_u32_e32 v8, 21, v33
	v_or_b32_e32 v20, 0x800000, v42
	v_lshlrev_b64 v[8:9], v8, -1
	v_cndmask_b32_e32 v42, v20, v42, vcc
	v_not_b32_e32 v9, v9
	v_not_b32_e32 v8, v8
	v_add_u32_e32 v20, 20, v33
	v_and_b32_e32 v9, 0, v9
	v_and_b32_e32 v8, v42, v8
	v_lshlrev_b64 v[20:21], v20, 1
	v_cmp_eq_u64_e32 vcc, v[8:9], v[20:21]
	v_lshrrev_b64 v[8:9], v33, v[42:43]
	v_lshrrev_b32_e32 v20, 23, v8
	v_add3_u32 v50, v33, v32, v20
	v_bfe_u32 v20, v8, 21, 1
	v_add_u32_e32 v20, -1, v20
	v_cndmask_b32_e32 v20, 0, v20, vcc
	v_add_u32_e32 v20, v20, v8
	v_and_b32_e32 v20, 0x1fffff, v20
	v_add_co_u32_e32 v8, vcc, v20, v8
	v_add_u32_e32 v21, 14, v50
	v_addc_co_u32_e32 v9, vcc, 0, v9, vcc
	v_cmp_ne_u32_e32 vcc, 0, v21
                                        ; implicit-def: $vgpr20
	s_and_saveexec_b64 s[30:31], vcc
	s_xor_b64 s[30:31], exec, s[30:31]
; %bb.3083:                             ;   in Loop: Header=BB4_2371 Depth=4
	v_add_u32_e32 v20, 15, v50
	v_cmp_lt_u64_e32 vcc, s[56:57], v[8:9]
	v_cndmask_b32_e32 v20, v21, v20, vcc
	v_cndmask_b32_e64 v21, 0, 1, vcc
	v_lshrrev_b64 v[8:9], v21, v[8:9]
; %bb.3084:                             ;   in Loop: Header=BB4_2371 Depth=4
	s_andn2_saveexec_b64 vcc, s[30:31]
; %bb.3085:                             ;   in Loop: Header=BB4_2371 Depth=4
	v_bfe_u32 v20, v8, 23, 1
; %bb.3086:                             ;   in Loop: Header=BB4_2371 Depth=4
	s_or_b64 exec, exec, vcc
	v_lshrrev_b64 v[8:9], 21, v[8:9]
	v_cmp_gt_i32_e32 vcc, 32, v20
	v_cndmask_b32_e32 v9, 0, v9, vcc
	v_cndmask_b32_e32 v8, 3, v8, vcc
	v_cmp_eq_u64_e64 s[30:31], 0, v[8:9]
	v_min_i32_e32 v9, 31, v20
	v_cmp_eq_u32_e32 vcc, 0, v20
	v_lshlrev_b32_e32 v9, 2, v9
	v_and_or_b32 v8, v8, 3, v9
	s_and_b64 vcc, vcc, s[30:31]
	v_cndmask_b32_e64 v8, v8, 0, vcc
	v_or_b32_e32 v20, v8, v12
.LBB4_3087:                             ;   in Loop: Header=BB4_2371 Depth=4
	s_or_b64 exec, exec, s[74:75]
.LBB4_3088:                             ;   in Loop: Header=BB4_2371 Depth=4
	s_or_b64 exec, exec, s[72:73]
                                        ; implicit-def: $vgpr9
.LBB4_3089:                             ;   in Loop: Header=BB4_2371 Depth=4
	s_andn2_saveexec_b64 s[30:31], s[70:71]
; %bb.3090:                             ;   in Loop: Header=BB4_2371 Depth=4
	v_or_b32_sdwa v8, v9, s39 dst_sel:DWORD dst_unused:UNUSED_PAD src0_sel:BYTE_3 src1_sel:DWORD
	v_cmp_eq_u64_e32 vcc, 0, v[42:43]
	v_cndmask_b32_e32 v20, v8, v20, vcc
; %bb.3091:                             ;   in Loop: Header=BB4_2371 Depth=4
	s_or_b64 exec, exec, s[30:31]
	v_lshrrev_b32_e32 v12, 24, v15
	v_lshrrev_b32_e32 v8, 24, v11
	v_cmp_lt_u64_e64 s[30:31], s[42:43], v[14:15]
	s_and_b64 vcc, exec, s[68:69]
	s_cbranch_vccz .LBB4_3109
; %bb.3092:                             ;   in Loop: Header=BB4_2371 Depth=4
	v_mov_b32_e32 v21, 0
	v_mov_b32_e32 v9, 0
	s_and_saveexec_b64 s[70:71], s[30:31]
	s_cbranch_execz .LBB4_3100
; %bb.3093:                             ;   in Loop: Header=BB4_2371 Depth=4
	v_cmp_ne_u32_e32 vcc, s97, v12
	v_bfrev_b32_e32 v9, 1
	s_and_saveexec_b64 s[72:73], vcc
	s_cbranch_execz .LBB4_3099
; %bb.3094:                             ;   in Loop: Header=BB4_2371 Depth=4
	v_and_b32_e32 v9, 0x7c000000, v15
	v_bfe_u32 v50, v15, 24, 2
	v_cmp_ne_u32_e32 vcc, s37, v9
                                        ; implicit-def: $vgpr9
	s_and_saveexec_b64 s[74:75], vcc
	s_xor_b64 s[74:75], exec, s[74:75]
	s_cbranch_execz .LBB4_3096
; %bb.3095:                             ;   in Loop: Header=BB4_2371 Depth=4
	v_ffbh_u32_e32 v32, v50
	v_min_u32_e32 v51, 32, v32
	v_subrev_u32_e32 v32, 29, v51
	v_bfe_u32 v9, v15, 26, 5
	v_lshlrev_b64 v[32:33], v32, v[12:13]
	v_sub_u32_e32 v33, 30, v51
	v_cmp_eq_u32_e32 vcc, 0, v9
	v_cndmask_b32_e32 v9, v9, v33, vcc
	v_bfrev_b32_e32 v33, 28
	v_and_b32_e32 v32, 3, v32
	v_lshl_add_u32 v9, v9, 23, v33
	v_cndmask_b32_e32 v32, v50, v32, vcc
	v_and_or_b32 v9, v15, s96, v9
	v_lshl_or_b32 v9, v32, 21, v9
                                        ; implicit-def: $vgpr50
.LBB4_3096:                             ;   in Loop: Header=BB4_2371 Depth=4
	s_andn2_saveexec_b64 s[74:75], s[74:75]
; %bb.3097:                             ;   in Loop: Header=BB4_2371 Depth=4
	v_cmp_lt_i64_e32 vcc, -1, v[14:15]
	v_cndmask_b32_e32 v9, v6, v1, vcc
	v_cmp_eq_u32_e32 vcc, 0, v50
	v_mov_b32_e32 v32, 0x7f800001
	v_cndmask_b32_e32 v9, v32, v9, vcc
; %bb.3098:                             ;   in Loop: Header=BB4_2371 Depth=4
	s_or_b64 exec, exec, s[74:75]
.LBB4_3099:                             ;   in Loop: Header=BB4_2371 Depth=4
	s_or_b64 exec, exec, s[72:73]
.LBB4_3100:                             ;   in Loop: Header=BB4_2371 Depth=4
	s_or_b64 exec, exec, s[70:71]
	v_cmp_lt_u64_e32 vcc, s[42:43], v[10:11]
	s_and_saveexec_b64 s[70:71], vcc
	s_cbranch_execz .LBB4_3108
; %bb.3101:                             ;   in Loop: Header=BB4_2371 Depth=4
	v_cmp_ne_u32_e32 vcc, s97, v8
	v_bfrev_b32_e32 v21, 1
	s_and_saveexec_b64 s[72:73], vcc
	s_cbranch_execz .LBB4_3107
; %bb.3102:                             ;   in Loop: Header=BB4_2371 Depth=4
	v_and_b32_e32 v21, 0x7c000000, v11
	v_bfe_u32 v50, v11, 24, 2
	v_cmp_ne_u32_e32 vcc, s37, v21
                                        ; implicit-def: $vgpr21
	s_and_saveexec_b64 s[74:75], vcc
	s_xor_b64 s[74:75], exec, s[74:75]
	s_cbranch_execz .LBB4_3104
; %bb.3103:                             ;   in Loop: Header=BB4_2371 Depth=4
	v_ffbh_u32_e32 v32, v50
	v_min_u32_e32 v51, 32, v32
	v_subrev_u32_e32 v32, 29, v51
	v_bfe_u32 v21, v11, 26, 5
	v_lshlrev_b64 v[32:33], v32, v[8:9]
	v_sub_u32_e32 v33, 30, v51
	v_cmp_eq_u32_e32 vcc, 0, v21
	v_cndmask_b32_e32 v21, v21, v33, vcc
	v_bfrev_b32_e32 v33, 28
	v_and_b32_e32 v32, 3, v32
	v_lshl_add_u32 v21, v21, 23, v33
	v_cndmask_b32_e32 v32, v50, v32, vcc
	v_and_or_b32 v21, v11, s96, v21
	v_lshl_or_b32 v21, v32, 21, v21
                                        ; implicit-def: $vgpr50
.LBB4_3104:                             ;   in Loop: Header=BB4_2371 Depth=4
	s_andn2_saveexec_b64 s[74:75], s[74:75]
; %bb.3105:                             ;   in Loop: Header=BB4_2371 Depth=4
	v_cmp_lt_i64_e32 vcc, -1, v[10:11]
	v_cndmask_b32_e32 v21, v6, v1, vcc
	v_cmp_eq_u32_e32 vcc, 0, v50
	v_mov_b32_e32 v32, 0x7f800001
	v_cndmask_b32_e32 v21, v32, v21, vcc
; %bb.3106:                             ;   in Loop: Header=BB4_2371 Depth=4
	s_or_b64 exec, exec, s[74:75]
.LBB4_3107:                             ;   in Loop: Header=BB4_2371 Depth=4
	s_or_b64 exec, exec, s[72:73]
.LBB4_3108:                             ;   in Loop: Header=BB4_2371 Depth=4
	s_or_b64 exec, exec, s[70:71]
	v_max_f32_e32 v21, v21, v21
	v_max_f32_e32 v9, v9, v9
	;; [unrolled: 1-line block ×3, first 2 shown]
	s_branch .LBB4_3127
.LBB4_3109:                             ;   in Loop: Header=BB4_2371 Depth=4
                                        ; implicit-def: $vgpr9
	s_cbranch_execz .LBB4_3127
; %bb.3110:                             ;   in Loop: Header=BB4_2371 Depth=4
	v_mov_b32_e32 v21, 0
	v_mov_b32_e32 v9, 0
	s_and_saveexec_b64 s[70:71], s[30:31]
	s_cbranch_execz .LBB4_3118
; %bb.3111:                             ;   in Loop: Header=BB4_2371 Depth=4
	v_cmp_ne_u32_e32 vcc, s97, v12
	v_bfrev_b32_e32 v9, 1
	s_and_saveexec_b64 s[30:31], vcc
	s_cbranch_execz .LBB4_3117
; %bb.3112:                             ;   in Loop: Header=BB4_2371 Depth=4
	v_and_b32_e32 v9, 0x7c000000, v15
	v_bfe_u32 v54, v15, 24, 2
	v_cmp_ne_u32_e32 vcc, s37, v9
                                        ; implicit-def: $vgpr9
	s_and_saveexec_b64 s[72:73], vcc
	s_xor_b64 s[72:73], exec, s[72:73]
	s_cbranch_execz .LBB4_3114
; %bb.3113:                             ;   in Loop: Header=BB4_2371 Depth=4
	v_ffbh_u32_e32 v14, v54
	v_min_u32_e32 v14, 32, v14
	v_subrev_u32_e32 v32, 29, v14
	v_bfe_u32 v9, v15, 26, 5
	v_lshlrev_b64 v[32:33], v32, v[12:13]
	v_sub_u32_e32 v12, 30, v14
	v_and_b32_e32 v14, 3, v32
	v_cmp_eq_u32_e32 vcc, 0, v9
	v_cndmask_b32_e32 v9, v9, v12, vcc
	v_cndmask_b32_e32 v12, v54, v14, vcc
	v_bfrev_b32_e32 v14, 28
	v_lshl_add_u32 v9, v9, 23, v14
	v_and_or_b32 v9, v15, s96, v9
	v_lshl_or_b32 v9, v12, 21, v9
                                        ; implicit-def: $vgpr54
                                        ; implicit-def: $vgpr14_vgpr15
.LBB4_3114:                             ;   in Loop: Header=BB4_2371 Depth=4
	s_andn2_saveexec_b64 s[72:73], s[72:73]
; %bb.3115:                             ;   in Loop: Header=BB4_2371 Depth=4
	v_cmp_lt_i64_e32 vcc, -1, v[14:15]
	v_cndmask_b32_e32 v9, v6, v1, vcc
	v_cmp_eq_u32_e32 vcc, 0, v54
	v_mov_b32_e32 v12, 0x7f800001
	v_cndmask_b32_e32 v9, v12, v9, vcc
; %bb.3116:                             ;   in Loop: Header=BB4_2371 Depth=4
	s_or_b64 exec, exec, s[72:73]
.LBB4_3117:                             ;   in Loop: Header=BB4_2371 Depth=4
	s_or_b64 exec, exec, s[30:31]
.LBB4_3118:                             ;   in Loop: Header=BB4_2371 Depth=4
	s_or_b64 exec, exec, s[70:71]
	v_cmp_lt_u64_e32 vcc, s[42:43], v[10:11]
	s_and_saveexec_b64 s[30:31], vcc
	s_cbranch_execz .LBB4_3126
; %bb.3119:                             ;   in Loop: Header=BB4_2371 Depth=4
	v_cmp_ne_u32_e32 vcc, s97, v8
	v_bfrev_b32_e32 v21, 1
	s_and_saveexec_b64 s[70:71], vcc
	s_cbranch_execz .LBB4_3125
; %bb.3120:                             ;   in Loop: Header=BB4_2371 Depth=4
	v_and_b32_e32 v14, 0x7c000000, v11
	v_bfe_u32 v12, v11, 24, 2
	v_cmp_ne_u32_e32 vcc, s37, v14
                                        ; implicit-def: $vgpr21
	s_and_saveexec_b64 s[72:73], vcc
	s_xor_b64 s[72:73], exec, s[72:73]
	s_cbranch_execz .LBB4_3122
; %bb.3121:                             ;   in Loop: Header=BB4_2371 Depth=4
	v_ffbh_u32_e32 v14, v12
	v_min_u32_e32 v21, 32, v14
	v_subrev_u32_e32 v14, 29, v21
	v_bfe_u32 v10, v11, 26, 5
	v_lshlrev_b64 v[14:15], v14, v[8:9]
	v_sub_u32_e32 v8, 30, v21
	v_and_b32_e32 v14, 3, v14
	v_cmp_eq_u32_e32 vcc, 0, v10
	v_cndmask_b32_e32 v8, v10, v8, vcc
	v_cndmask_b32_e32 v10, v12, v14, vcc
	v_bfrev_b32_e32 v12, 28
	v_lshl_add_u32 v8, v8, 23, v12
	v_and_or_b32 v8, v11, s96, v8
	v_lshl_or_b32 v21, v10, 21, v8
                                        ; implicit-def: $vgpr12
                                        ; implicit-def: $vgpr10_vgpr11
.LBB4_3122:                             ;   in Loop: Header=BB4_2371 Depth=4
	s_andn2_saveexec_b64 s[72:73], s[72:73]
; %bb.3123:                             ;   in Loop: Header=BB4_2371 Depth=4
	v_cmp_lt_i64_e32 vcc, -1, v[10:11]
	v_cndmask_b32_e32 v8, v6, v1, vcc
	v_cmp_eq_u32_e32 vcc, 0, v12
	v_mov_b32_e32 v10, 0x7f800001
	v_cndmask_b32_e32 v21, v10, v8, vcc
; %bb.3124:                             ;   in Loop: Header=BB4_2371 Depth=4
	s_or_b64 exec, exec, s[72:73]
.LBB4_3125:                             ;   in Loop: Header=BB4_2371 Depth=4
	s_or_b64 exec, exec, s[70:71]
.LBB4_3126:                             ;   in Loop: Header=BB4_2371 Depth=4
	s_or_b64 exec, exec, s[30:31]
	v_max_f32_e32 v8, v21, v21
	v_max_f32_e32 v9, v9, v9
	v_min_f32_e32 v9, v9, v8
.LBB4_3127:                             ;   in Loop: Header=BB4_2371 Depth=4
	v_and_b32_sdwa v10, v9, s97 dst_sel:DWORD dst_unused:UNUSED_PAD src0_sel:BYTE_3 src1_sel:DWORD
	v_and_b32_e32 v14, 0x7f800000, v9
	v_mov_b32_e32 v15, v43
	v_and_b32_e32 v42, 0x7fffff, v9
	v_or_b32_e32 v8, 0x7b, v10
	v_cmp_ne_u64_e32 vcc, s[52:53], v[14:15]
	s_and_saveexec_b64 s[30:31], vcc
	s_xor_b64 s[70:71], exec, s[30:31]
	s_cbranch_execz .LBB4_3137
; %bb.3128:                             ;   in Loop: Header=BB4_2371 Depth=4
	v_and_b32_e32 v14, 0x7fffffff, v9
	v_mov_b32_e32 v15, v43
	v_cmp_gt_u64_e32 vcc, s[54:55], v[14:15]
	s_and_saveexec_b64 s[72:73], vcc
	s_cbranch_execz .LBB4_3136
; %bb.3129:                             ;   in Loop: Header=BB4_2371 Depth=4
	v_cmp_ne_u32_e32 vcc, 0, v9
	v_mov_b32_e32 v8, 0
	s_and_saveexec_b64 s[74:75], vcc
	s_cbranch_execz .LBB4_3135
; %bb.3130:                             ;   in Loop: Header=BB4_2371 Depth=4
	v_bfe_u32 v8, v9, 23, 8
	v_cmp_eq_u32_e32 vcc, 0, v8
	v_add_u32_e32 v9, 0xffffff81, v8
	v_cmp_gt_u32_e64 s[30:31], s38, v8
	v_sub_u32_e32 v8, 0x71, v8
	v_mov_b32_e32 v12, 0xffffff82
	v_cndmask_b32_e64 v8, 0, v8, s[30:31]
	v_cndmask_b32_e32 v12, v9, v12, vcc
	v_mov_b32_e32 v9, 0x70
	v_cndmask_b32_e32 v21, v8, v9, vcc
	v_add_u32_e32 v8, 21, v21
	v_or_b32_e32 v11, 0x800000, v42
	v_lshlrev_b64 v[8:9], v8, -1
	v_cndmask_b32_e32 v42, v11, v42, vcc
	v_not_b32_e32 v9, v9
	v_not_b32_e32 v8, v8
	v_add_u32_e32 v11, 20, v21
	v_and_b32_e32 v9, 0, v9
	v_and_b32_e32 v8, v42, v8
	v_lshlrev_b64 v[14:15], v11, 1
	v_cmp_eq_u64_e32 vcc, v[8:9], v[14:15]
	v_lshrrev_b64 v[8:9], v21, v[42:43]
	v_lshrrev_b32_e32 v11, 23, v8
	v_add3_u32 v14, v21, v12, v11
	v_bfe_u32 v11, v8, 21, 1
	v_add_u32_e32 v11, -1, v11
	v_cndmask_b32_e32 v11, 0, v11, vcc
	v_add_u32_e32 v11, v11, v8
	v_and_b32_e32 v11, 0x1fffff, v11
	v_add_co_u32_e32 v8, vcc, v11, v8
	v_add_u32_e32 v12, 14, v14
	v_addc_co_u32_e32 v9, vcc, 0, v9, vcc
	v_cmp_ne_u32_e32 vcc, 0, v12
                                        ; implicit-def: $vgpr11
	s_and_saveexec_b64 s[30:31], vcc
	s_xor_b64 s[30:31], exec, s[30:31]
; %bb.3131:                             ;   in Loop: Header=BB4_2371 Depth=4
	v_add_u32_e32 v11, 15, v14
	v_cmp_lt_u64_e32 vcc, s[56:57], v[8:9]
	v_cndmask_b32_e32 v11, v12, v11, vcc
	v_cndmask_b32_e64 v12, 0, 1, vcc
	v_lshrrev_b64 v[8:9], v12, v[8:9]
; %bb.3132:                             ;   in Loop: Header=BB4_2371 Depth=4
	s_andn2_saveexec_b64 vcc, s[30:31]
; %bb.3133:                             ;   in Loop: Header=BB4_2371 Depth=4
	v_bfe_u32 v11, v8, 23, 1
; %bb.3134:                             ;   in Loop: Header=BB4_2371 Depth=4
	s_or_b64 exec, exec, vcc
	v_lshrrev_b64 v[8:9], 21, v[8:9]
	v_cmp_gt_i32_e32 vcc, 32, v11
	v_cndmask_b32_e32 v9, 0, v9, vcc
	v_cndmask_b32_e32 v8, 3, v8, vcc
	v_cmp_eq_u64_e64 s[30:31], 0, v[8:9]
	v_min_i32_e32 v9, 31, v11
	v_lshlrev_b32_e32 v9, 2, v9
	v_cmp_eq_u32_e32 vcc, 0, v11
	v_and_b32_e32 v9, 0xfc, v9
	v_and_or_b32 v8, v8, 3, v9
	s_and_b64 vcc, vcc, s[30:31]
	v_cndmask_b32_e64 v8, v8, 0, vcc
	v_or_b32_e32 v8, v8, v10
.LBB4_3135:                             ;   in Loop: Header=BB4_2371 Depth=4
	s_or_b64 exec, exec, s[74:75]
.LBB4_3136:                             ;   in Loop: Header=BB4_2371 Depth=4
	s_or_b64 exec, exec, s[72:73]
                                        ; implicit-def: $vgpr9
.LBB4_3137:                             ;   in Loop: Header=BB4_2371 Depth=4
	s_andn2_saveexec_b64 s[30:31], s[70:71]
	s_cbranch_execz .LBB4_2370
; %bb.3138:                             ;   in Loop: Header=BB4_2371 Depth=4
	v_or_b32_sdwa v9, v9, s39 dst_sel:DWORD dst_unused:UNUSED_PAD src0_sel:BYTE_3 src1_sel:DWORD
	v_cmp_eq_u64_e32 vcc, 0, v[42:43]
	v_cndmask_b32_e32 v8, v9, v8, vcc
	s_branch .LBB4_2370
.LBB4_3139:                             ;   in Loop: Header=BB4_274 Depth=3
	s_or_b64 exec, exec, s[66:67]
.LBB4_3140:                             ;   in Loop: Header=BB4_274 Depth=3
	s_or_b64 exec, exec, s[64:65]
	v_and_b32_e32 v5, 15, v35
	v_cndmask_b32_e64 v7, v38, v5, s[28:29]
	v_cmp_ne_u32_e32 vcc, 0, v7
	s_mov_b64 s[30:31], 0
	v_mov_b32_e32 v0, 0
                                        ; implicit-def: $vgpr30
                                        ; implicit-def: $vgpr4
	s_and_saveexec_b64 s[64:65], vcc
	s_cbranch_execz .LBB4_3142
; %bb.3141:                             ;   in Loop: Header=BB4_274 Depth=3
	v_sub_u32_e32 v0, v38, v5
	v_cndmask_b32_e64 v0, 0, v0, s[28:29]
	v_cmp_lt_i32_e32 vcc, 0, v28
	v_add3_u32 v0, v27, v3, v0
	v_cndmask_b32_e32 v3, 0, v46, vcc
	v_sub_u32_e32 v3, v3, v28
	v_lshl_add_u32 v30, v3, 6, v26
	v_ashrrev_i32_e32 v3, 31, v30
	v_lshrrev_b32_e32 v3, 26, v3
	v_add_u32_e32 v3, v30, v3
	s_mov_b64 s[30:31], exec
	v_ashrrev_i32_e32 v4, 6, v3
.LBB4_3142:                             ;   in Loop: Header=BB4_274 Depth=3
	s_or_b64 exec, exec, s[64:65]
	s_and_b64 s[28:29], s[30:31], exec
.LBB4_3143:                             ;   in Loop: Header=BB4_274 Depth=3
	s_or_b64 exec, exec, s[34:35]
	v_accvgpr_read_b32 v55, a34
	s_and_saveexec_b64 s[64:65], s[28:29]
	s_cbranch_execnz .LBB4_345
.LBB4_3144:                             ;   in Loop: Header=BB4_274 Depth=3
	s_or_b64 exec, exec, s[64:65]
	s_and_saveexec_b64 s[28:29], s[10:11]
	s_cbranch_execz .LBB4_765
.LBB4_3145:                             ;   in Loop: Header=BB4_274 Depth=3
	s_and_saveexec_b64 s[26:27], s[44:45]
	s_xor_b64 s[30:31], exec, s[26:27]
	s_cbranch_execz .LBB4_3160
; %bb.3146:                             ;   in Loop: Header=BB4_274 Depth=3
	s_and_saveexec_b64 s[34:35], s[16:17]
	s_cbranch_execz .LBB4_3159
; %bb.3147:                             ;   in Loop: Header=BB4_274 Depth=3
	s_mov_b64 s[66:67], exec
	v_mbcnt_lo_u32_b32 v0, s66, 0
	v_mbcnt_hi_u32_b32 v0, s67, v0
	v_cmp_eq_u32_e32 vcc, 0, v0
	s_waitcnt vmcnt(0) lgkmcnt(0)
	buffer_wbinvl1_vol
	s_and_saveexec_b64 s[64:65], vcc
	s_cbranch_execz .LBB4_3149
; %bb.3148:                             ;   in Loop: Header=BB4_274 Depth=3
	s_bcnt1_i32_b64 s26, s[66:67]
	v_mov_b32_e32 v42, s26
	ds_add_u64 v0, v[42:43]
	s_trap 2
.LBB4_3149:                             ;   in Loop: Header=BB4_274 Depth=3
	s_or_b64 exec, exec, s[64:65]
	s_trap 2
	ds_read_b64 v[4:5], v0
	v_accvgpr_read_b32 v8, a14
	v_accvgpr_read_b32 v9, a15
	v_add_co_u32_e32 v8, vcc, v8, v46
	v_addc_co_u32_e32 v9, vcc, 0, v9, vcc
	v_accvgpr_write_b32 a15, v9
	v_accvgpr_write_b32 a14, v8
	s_waitcnt lgkmcnt(0)
	v_cmp_lt_u64_e32 vcc, v[4:5], v[8:9]
	s_and_saveexec_b64 s[64:65], vcc
	s_cbranch_execz .LBB4_3158
; %bb.3150:                             ;   in Loop: Header=BB4_274 Depth=3
	s_mov_b32 s76, 0
	s_mov_b64 s[66:67], 0
                                        ; implicit-def: $sgpr68_sgpr69
                                        ; implicit-def: $sgpr70_sgpr71
	s_branch .LBB4_3152
.LBB4_3151:                             ;   in Loop: Header=BB4_3152 Depth=4
	s_or_b64 exec, exec, s[74:75]
	s_and_b64 s[26:27], exec, vcc
	s_or_b64 s[66:67], s[26:27], s[66:67]
	s_andn2_b64 s[26:27], s[68:69], exec
	s_and_b64 vcc, s[70:71], exec
	s_or_b64 s[68:69], s[26:27], vcc
	s_andn2_b64 exec, exec, s[66:67]
	s_cbranch_execz .LBB4_3156
.LBB4_3152:                             ;   Parent Loop BB4_47 Depth=1
                                        ;     Parent Loop BB4_271 Depth=2
                                        ;       Parent Loop BB4_274 Depth=3
                                        ; =>      This Inner Loop Header: Depth=4
	s_add_i32 s76, s76, 1
	s_cmpk_lg_i32 s76, 0x2710
	s_cselect_b64 s[72:73], -1, 0
	s_and_b64 vcc, exec, s[72:73]
                                        ; implicit-def: $sgpr74_sgpr75
	s_cbranch_vccnz .LBB4_3154
; %bb.3153:                             ;   in Loop: Header=BB4_3152 Depth=4
	s_trap 2
	ds_read_b64 v[4:5], v0
	s_andn2_b64 s[26:27], s[72:73], exec
	s_mov_b32 s76, 0
	s_mov_b64 s[74:75], -1
	s_waitcnt lgkmcnt(0)
	flat_load_dword v0, v[4:5] glc
	s_waitcnt vmcnt(0) lgkmcnt(0)
	buffer_invl2
	buffer_wbinvl1_vol
	v_cmp_eq_u32_e32 vcc, 0, v0
	s_and_b64 vcc, vcc, exec
	s_or_b64 s[72:73], s[26:27], vcc
.LBB4_3154:                             ;   in Loop: Header=BB4_3152 Depth=4
	s_andn2_b64 s[26:27], s[70:71], exec
	s_and_b64 s[70:71], s[74:75], exec
	s_mov_b64 vcc, -1
	s_or_b64 s[70:71], s[26:27], s[70:71]
	s_and_saveexec_b64 s[74:75], s[72:73]
	s_cbranch_execz .LBB4_3151
; %bb.3155:                             ;   in Loop: Header=BB4_3152 Depth=4
	s_sleep 1
	s_trap 2
	ds_read_b64 v[4:5], v0
	v_accvgpr_read_b32 v8, a14
	v_accvgpr_read_b32 v9, a15
	s_andn2_b64 s[70:71], s[70:71], exec
	s_waitcnt lgkmcnt(0)
	v_cmp_ge_u64_e32 vcc, v[4:5], v[8:9]
	s_orn2_b64 vcc, vcc, exec
	s_branch .LBB4_3151
.LBB4_3156:                             ;   in Loop: Header=BB4_274 Depth=3
	s_or_b64 exec, exec, s[66:67]
	s_and_saveexec_b64 s[26:27], s[68:69]
	s_xor_b64 s[26:27], exec, s[26:27]
	s_cbranch_execz .LBB4_3158
; %bb.3157:                             ;   in Loop: Header=BB4_274 Depth=3
	v_mov_b32_e32 v0, 1
	ds_write_b32 v0, v0
	s_trap 2
.LBB4_3158:                             ;   in Loop: Header=BB4_274 Depth=3
	s_or_b64 exec, exec, s[64:65]
	;;#ASMSTART
	s_wakeup
	;;#ASMEND
.LBB4_3159:                             ;   in Loop: Header=BB4_274 Depth=3
	s_or_b64 exec, exec, s[34:35]
.LBB4_3160:                             ;   in Loop: Header=BB4_274 Depth=3
	s_andn2_saveexec_b64 vcc, s[30:31]
	s_cbranch_execz .LBB4_3162
; %bb.3161:                             ;   in Loop: Header=BB4_274 Depth=3
	s_waitcnt vmcnt(0) lgkmcnt(0)
	buffer_wbinvl1_vol
	s_barrier
.LBB4_3162:                             ;   in Loop: Header=BB4_274 Depth=3
	s_or_b64 exec, exec, vcc
	s_or_b64 exec, exec, s[28:29]
                                        ; implicit-def: $vgpr0
	s_and_saveexec_b64 s[26:27], s[24:25]
	s_xor_b64 s[30:31], exec, s[26:27]
	s_cbranch_execnz .LBB4_766
.LBB4_3163:                             ;   in Loop: Header=BB4_274 Depth=3
	s_andn2_saveexec_b64 s[28:29], s[30:31]
	s_cbranch_execz .LBB4_3182
.LBB4_3164:                             ;   in Loop: Header=BB4_274 Depth=3
	s_and_saveexec_b64 s[26:27], s[44:45]
	s_xor_b64 s[30:31], exec, s[26:27]
	s_cbranch_execz .LBB4_3179
; %bb.3165:                             ;   in Loop: Header=BB4_274 Depth=3
	s_and_saveexec_b64 s[34:35], s[16:17]
	s_cbranch_execz .LBB4_3178
; %bb.3166:                             ;   in Loop: Header=BB4_274 Depth=3
	s_mov_b64 s[66:67], exec
	v_mbcnt_lo_u32_b32 v0, s66, 0
	v_mbcnt_hi_u32_b32 v0, s67, v0
	v_cmp_eq_u32_e32 vcc, 0, v0
	;;#ASMSTART
	s_waitcnt lgkmcnt(0) vmcnt(0)
	;;#ASMEND
	s_and_saveexec_b64 s[64:65], vcc
	s_cbranch_execz .LBB4_3168
; %bb.3167:                             ;   in Loop: Header=BB4_274 Depth=3
	s_bcnt1_i32_b64 s26, s[66:67]
	v_mov_b32_e32 v42, s26
	ds_add_u64 v0, v[42:43]
	s_trap 2
.LBB4_3168:                             ;   in Loop: Header=BB4_274 Depth=3
	s_or_b64 exec, exec, s[64:65]
	s_trap 2
	ds_read_b64 v[4:5], v0
	v_accvgpr_read_b32 v8, a14
	v_accvgpr_read_b32 v9, a15
	v_add_co_u32_e32 v8, vcc, v8, v46
	v_addc_co_u32_e32 v9, vcc, 0, v9, vcc
	v_accvgpr_write_b32 a15, v9
	v_accvgpr_write_b32 a14, v8
	s_waitcnt lgkmcnt(0)
	v_cmp_lt_u64_e32 vcc, v[4:5], v[8:9]
	s_and_saveexec_b64 s[64:65], vcc
	s_cbranch_execz .LBB4_3177
; %bb.3169:                             ;   in Loop: Header=BB4_274 Depth=3
	s_mov_b32 s76, 0
	s_mov_b64 s[66:67], 0
                                        ; implicit-def: $sgpr68_sgpr69
                                        ; implicit-def: $sgpr70_sgpr71
	s_branch .LBB4_3171
.LBB4_3170:                             ;   in Loop: Header=BB4_3171 Depth=4
	s_or_b64 exec, exec, s[74:75]
	s_and_b64 s[26:27], exec, vcc
	s_or_b64 s[66:67], s[26:27], s[66:67]
	s_andn2_b64 s[26:27], s[68:69], exec
	s_and_b64 vcc, s[70:71], exec
	s_or_b64 s[68:69], s[26:27], vcc
	s_andn2_b64 exec, exec, s[66:67]
	s_cbranch_execz .LBB4_3175
.LBB4_3171:                             ;   Parent Loop BB4_47 Depth=1
                                        ;     Parent Loop BB4_271 Depth=2
                                        ;       Parent Loop BB4_274 Depth=3
                                        ; =>      This Inner Loop Header: Depth=4
	s_add_i32 s76, s76, 1
	s_cmpk_lg_i32 s76, 0x2710
	s_cselect_b64 s[72:73], -1, 0
	s_and_b64 vcc, exec, s[72:73]
                                        ; implicit-def: $sgpr74_sgpr75
	s_cbranch_vccnz .LBB4_3173
; %bb.3172:                             ;   in Loop: Header=BB4_3171 Depth=4
	s_trap 2
	ds_read_b64 v[4:5], v0
	s_andn2_b64 s[26:27], s[72:73], exec
	s_mov_b32 s76, 0
	s_mov_b64 s[74:75], -1
	s_waitcnt vmcnt(0) lgkmcnt(0)
	flat_load_dword v0, v[4:5] glc
	s_waitcnt vmcnt(0) lgkmcnt(0)
	buffer_invl2
	buffer_wbinvl1_vol
	v_cmp_eq_u32_e32 vcc, 0, v0
	s_and_b64 vcc, vcc, exec
	s_or_b64 s[72:73], s[26:27], vcc
.LBB4_3173:                             ;   in Loop: Header=BB4_3171 Depth=4
	s_andn2_b64 s[26:27], s[70:71], exec
	s_and_b64 s[70:71], s[74:75], exec
	s_mov_b64 vcc, -1
	s_or_b64 s[70:71], s[26:27], s[70:71]
	s_and_saveexec_b64 s[74:75], s[72:73]
	s_cbranch_execz .LBB4_3170
; %bb.3174:                             ;   in Loop: Header=BB4_3171 Depth=4
	s_sleep 1
	s_trap 2
	ds_read_b64 v[4:5], v0
	v_accvgpr_read_b32 v8, a14
	v_accvgpr_read_b32 v9, a15
	s_andn2_b64 s[70:71], s[70:71], exec
	s_waitcnt lgkmcnt(0)
	v_cmp_ge_u64_e32 vcc, v[4:5], v[8:9]
	s_orn2_b64 vcc, vcc, exec
	s_branch .LBB4_3170
.LBB4_3175:                             ;   in Loop: Header=BB4_274 Depth=3
	s_or_b64 exec, exec, s[66:67]
	s_and_saveexec_b64 s[26:27], s[68:69]
	s_xor_b64 s[26:27], exec, s[26:27]
	s_cbranch_execz .LBB4_3177
; %bb.3176:                             ;   in Loop: Header=BB4_274 Depth=3
	v_mov_b32_e32 v0, 1
	ds_write_b32 v0, v0
	s_trap 2
.LBB4_3177:                             ;   in Loop: Header=BB4_274 Depth=3
	s_or_b64 exec, exec, s[64:65]
	;;#ASMSTART
	s_wakeup
	;;#ASMEND
.LBB4_3178:                             ;   in Loop: Header=BB4_274 Depth=3
	s_or_b64 exec, exec, s[34:35]
.LBB4_3179:                             ;   in Loop: Header=BB4_274 Depth=3
	s_andn2_saveexec_b64 vcc, s[30:31]
	s_cbranch_execz .LBB4_3181
; %bb.3180:                             ;   in Loop: Header=BB4_274 Depth=3
	;;#ASMSTART
	s_waitcnt lgkmcnt(0) vmcnt(0)
	;;#ASMEND
	s_barrier
.LBB4_3181:                             ;   in Loop: Header=BB4_274 Depth=3
	s_or_b64 exec, exec, vcc
	v_and_b32_e32 v0, 16, v34
.LBB4_3182:                             ;   in Loop: Header=BB4_274 Depth=3
	s_or_b64 exec, exec, s[28:29]
	v_cmp_ne_u32_e32 vcc, 0, v0
	s_xor_b64 s[26:27], s[12:13], -1
	s_and_b64 s[26:27], vcc, s[26:27]
	s_and_saveexec_b64 s[28:29], s[26:27]
	s_cbranch_execz .LBB4_3184
; %bb.3183:                             ;   in Loop: Header=BB4_274 Depth=3
	v_accvgpr_read_b32 v4, a22
	v_accvgpr_read_b32 v5, a23
	v_mov_b32_e32 v0, 1
	flat_store_dword v[4:5], v0
.LBB4_3184:                             ;   in Loop: Header=BB4_274 Depth=3
	s_or_b64 exec, exec, s[28:29]
	v_and_b32_e32 v0, 48, v34
	v_cmp_ne_u32_e32 vcc, 0, v0
	s_and_saveexec_b64 s[28:29], vcc
	s_cbranch_execz .LBB4_273
; %bb.3185:                             ;   in Loop: Header=BB4_274 Depth=3
	v_accvgpr_read_b32 v4, a10
	v_accvgpr_read_b32 v5, a11
	v_add_co_u32_e32 v4, vcc, 2, v4
	v_addc_co_u32_e32 v5, vcc, 0, v5, vcc
	v_accvgpr_write_b32 a11, v5
	v_accvgpr_read_b32 v8, a16
	v_accvgpr_write_b32 a10, v4
	v_accvgpr_read_b32 v9, a17
	flat_store_dwordx2 v[8:9], v[4:5]
	s_branch .LBB4_273
.LBB4_3186:                             ;   in Loop: Header=BB4_271 Depth=2
	s_or_b64 exec, exec, s[58:59]
	v_cmp_gt_i32_e32 vcc, 2, v0
	s_and_saveexec_b64 s[30:31], vcc
	s_cbranch_execz .LBB4_270
	s_branch .LBB4_3188
.LBB4_3187:                             ;   in Loop: Header=BB4_271 Depth=2
	s_or_b64 exec, exec, s[60:61]
	s_or_b64 exec, exec, s[58:59]
	v_cmp_gt_i32_e32 vcc, 2, v0
	s_and_saveexec_b64 s[30:31], vcc
	s_cbranch_execz .LBB4_270
.LBB4_3188:                             ;   in Loop: Header=BB4_271 Depth=2
	v_cmp_eq_u32_e64 s[28:29], 0, v0
	s_mov_b64 s[34:35], 0
	s_branch .LBB4_3190
.LBB4_3189:                             ;   in Loop: Header=BB4_3190 Depth=3
	s_or_b64 exec, exec, s[28:29]
	v_add_u32_e32 v29, v2, v29
	s_mov_b64 s[28:29], 0
	s_andn2_b64 exec, exec, s[34:35]
	s_cbranch_execz .LBB4_269
.LBB4_3190:                             ;   Parent Loop BB4_47 Depth=1
                                        ;     Parent Loop BB4_271 Depth=2
                                        ; =>    This Loop Header: Depth=3
                                        ;         Child Loop BB4_3196 Depth 4
                                        ;         Child Loop BB4_3234 Depth 4
	;; [unrolled: 1-line block ×3, first 2 shown]
	v_and_b32_e32 v0, 12, v34
	s_mov_b64 s[60:61], -1
	v_cmp_ne_u32_e32 vcc, 0, v0
	s_and_saveexec_b64 s[58:59], vcc
	s_cbranch_execz .LBB4_3202
; %bb.3191:                             ;   in Loop: Header=BB4_3190 Depth=3
	v_and_b32_e32 v4, 8, v34
	v_add_co_u32_e32 v10, vcc, v48, v4
	v_addc_co_u32_e32 v11, vcc, 0, v49, vcc
	v_accvgpr_read_b32 v8, a10
	v_accvgpr_read_b32 v9, a11
	v_add_co_u32_e32 v8, vcc, 2, v8
	v_addc_co_u32_e32 v9, vcc, 0, v9, vcc
	v_cmp_lt_u64_e32 vcc, v[10:11], v[8:9]
	v_mov_b32_e32 v0, 1
	s_and_saveexec_b64 s[60:61], vcc
	s_cbranch_execz .LBB4_3201
; %bb.3192:                             ;   in Loop: Header=BB4_3190 Depth=3
	s_mov_b64 s[62:63], 0
	v_mov_b32_e32 v0, 0
                                        ; implicit-def: $sgpr64_sgpr65
	s_branch .LBB4_3196
.LBB4_3193:                             ;   in Loop: Header=BB4_3196 Depth=4
	s_or_b64 exec, exec, s[72:73]
	v_mov_b32_e32 v3, 0
	s_orn2_b64 s[70:71], s[70:71], exec
.LBB4_3194:                             ;   in Loop: Header=BB4_3196 Depth=4
	s_or_b64 exec, exec, s[68:69]
	s_andn2_b64 s[26:27], s[64:65], exec
	s_and_b64 vcc, s[70:71], exec
	s_or_b64 s[64:65], s[26:27], vcc
	v_mov_b32_e32 v0, v3
.LBB4_3195:                             ;   in Loop: Header=BB4_3196 Depth=4
	s_or_b64 exec, exec, s[66:67]
	s_waitcnt vmcnt(0) lgkmcnt(0)
	v_add_co_u32_e32 v10, vcc, v48, v4
	v_addc_co_u32_e32 v11, vcc, 0, v49, vcc
	v_cmp_ge_u64_e32 vcc, v[10:11], v[8:9]
	s_xor_b64 s[26:27], s[64:65], -1
	s_or_b64 s[26:27], s[26:27], vcc
	s_and_b64 s[26:27], exec, s[26:27]
	s_or_b64 s[62:63], s[26:27], s[62:63]
	s_andn2_b64 exec, exec, s[62:63]
	s_cbranch_execz .LBB4_3200
.LBB4_3196:                             ;   Parent Loop BB4_47 Depth=1
                                        ;     Parent Loop BB4_271 Depth=2
                                        ;       Parent Loop BB4_3190 Depth=3
                                        ; =>      This Inner Loop Header: Depth=4
	v_accvgpr_read_b32 v10, a16
	v_accvgpr_read_b32 v11, a17
	s_sleep 1
	flat_load_dwordx2 v[48:49], v[10:11] glc
	v_and_b32_e32 v3, 64, v34
	v_cmp_eq_u32_e32 vcc, 0, v3
	s_andn2_b64 s[64:65], s[64:65], exec
	s_and_saveexec_b64 s[66:67], vcc
	s_cbranch_execz .LBB4_3195
; %bb.3197:                             ;   in Loop: Header=BB4_3196 Depth=4
	v_add_u32_e32 v3, 1, v0
	v_cmp_lt_i32_e32 vcc, s91, v0
	s_mov_b64 s[70:71], -1
	s_and_saveexec_b64 s[68:69], vcc
	s_cbranch_execz .LBB4_3194
; %bb.3198:                             ;   in Loop: Header=BB4_3196 Depth=4
	s_trap 2
	ds_read_b64 v[10:11], v0
	s_waitcnt vmcnt(0) lgkmcnt(0)
	flat_load_dword v0, v[10:11] glc
	s_waitcnt vmcnt(0) lgkmcnt(0)
	buffer_invl2
	buffer_wbinvl1_vol
	v_cmp_ne_u32_e32 vcc, 0, v0
	s_and_saveexec_b64 s[72:73], vcc
	s_cbranch_execz .LBB4_3193
; %bb.3199:                             ;   in Loop: Header=BB4_3196 Depth=4
	v_or_b32_e32 v34, 64, v34
	s_xor_b64 s[70:71], exec, -1
	ds_write_b32 v0, v0
	s_trap 2
	s_branch .LBB4_3193
.LBB4_3200:                             ;   in Loop: Header=BB4_3190 Depth=3
	s_or_b64 exec, exec, s[62:63]
	v_and_b32_e32 v0, 12, v34
.LBB4_3201:                             ;   in Loop: Header=BB4_3190 Depth=3
	s_or_b64 exec, exec, s[60:61]
	v_cmp_eq_u32_e32 vcc, 0, v0
	s_orn2_b64 s[60:61], vcc, exec
	;;#ASMSTART
	s_wakeup
	;;#ASMEND
.LBB4_3202:                             ;   in Loop: Header=BB4_3190 Depth=3
	s_or_b64 exec, exec, s[58:59]
	s_xor_b64 s[26:27], s[28:29], -1
	s_and_b64 s[26:27], exec, s[26:27]
	s_or_b64 s[34:35], s[26:27], s[34:35]
	v_sub_u32_e32 v0, v31, v29
	s_xor_b64 s[26:27], s[60:61], -1
	v_min_i32_e32 v2, v2, v0
	s_and_saveexec_b64 s[58:59], s[26:27]
	s_cbranch_execz .LBB4_3226
; %bb.3203:                             ;   in Loop: Header=BB4_3190 Depth=3
	v_and_b32_e32 v0, 0x108, v34
	v_accvgpr_read_b32 v4, a10
	v_cmp_ne_u32_e32 vcc, s92, v0
	v_and_b32_e32 v4, 7, v4
	v_accvgpr_read_b32 v5, a11
	s_and_saveexec_b64 s[26:27], vcc
	s_xor_b64 s[28:29], exec, s[26:27]
	s_andn2_saveexec_b64 s[28:29], s[28:29]
	s_cbranch_execz .LBB4_3205
; %bb.3204:                             ;   in Loop: Header=BB4_3190 Depth=3
	v_accvgpr_read_b32 v8, a12
	v_accvgpr_read_b32 v9, a13
	v_mad_u64_u32 v[8:9], s[26:27], v4, 24, v[8:9]
	v_ashrrev_i32_e32 v3, 31, v2
	flat_store_dwordx2 v[8:9], v[2:3] offset:8
.LBB4_3205:                             ;   in Loop: Header=BB4_3190 Depth=3
	s_or_b64 exec, exec, s[28:29]
	v_and_b32_e32 v0, 0x100, v34
	v_cmp_ne_u32_e32 vcc, 0, v0
	s_mov_b64 s[28:29], -1
                                        ; implicit-def: $vgpr8_vgpr9
	s_and_saveexec_b64 s[60:61], vcc
	s_cbranch_execz .LBB4_3209
; %bb.3206:                             ;   in Loop: Header=BB4_3190 Depth=3
	v_accvgpr_read_b32 v8, a12
	v_accvgpr_read_b32 v9, a13
	v_mad_u64_u32 v[10:11], s[26:27], v4, 24, v[8:9]
	v_mov_b32_e32 v0, v11
	v_mad_u64_u32 v[8:9], s[26:27], v43, 24, v[0:1]
	v_mov_b32_e32 v11, v8
	flat_load_dword v0, v[10:11]
                                        ; implicit-def: $vgpr8_vgpr9
	s_waitcnt vmcnt(0) lgkmcnt(0)
	v_cmp_ne_u32_e32 vcc, 1, v0
	v_cmp_eq_u32_e64 s[28:29], 1, v0
	s_and_saveexec_b64 s[62:63], s[28:29]
	s_cbranch_execz .LBB4_3208
; %bb.3207:                             ;   in Loop: Header=BB4_3190 Depth=3
	flat_load_dword v8, v[10:11] offset:4 glc
	s_waitcnt vmcnt(0) lgkmcnt(0)
	v_ashrrev_i32_e32 v9, 31, v8
.LBB4_3208:                             ;   in Loop: Header=BB4_3190 Depth=3
	s_or_b64 exec, exec, s[62:63]
	s_orn2_b64 s[28:29], vcc, exec
.LBB4_3209:                             ;   in Loop: Header=BB4_3190 Depth=3
	s_or_b64 exec, exec, s[60:61]
	s_and_saveexec_b64 vcc, s[28:29]
; %bb.3210:                             ;   in Loop: Header=BB4_3190 Depth=3
	v_accvgpr_read_b32 v8, a18
	v_accvgpr_read_b32 v3, a19
	v_mul_lo_u32 v0, v43, v8
	v_mul_lo_u32 v3, v4, v3
	v_mad_u64_u32 v[8:9], s[26:27], v4, v8, 0
	v_add3_u32 v9, v9, v3, v0
; %bb.3211:                             ;   in Loop: Header=BB4_3190 Depth=3
	s_or_b64 exec, exec, vcc
	v_accvgpr_read_b32 v4, a20
	v_accvgpr_read_b32 v5, a21
	v_add_co_u32_e32 v4, vcc, v4, v8
	v_addc_co_u32_e32 v5, vcc, v5, v9, vcc
	s_trap 2
	ds_write_b64 v0, v[4:5]
	v_and_b32_e32 v0, 0x2000, v34
	v_cmp_ne_u32_e32 vcc, 0, v0
	s_and_saveexec_b64 s[28:29], vcc
	s_cbranch_execz .LBB4_3213
; %bb.3212:                             ;   in Loop: Header=BB4_3190 Depth=3
	ds_read_b64 v[4:5], v0 offset:584
	s_waitcnt lgkmcnt(0)
	v_add_co_u32_e32 v4, vcc, 1, v4
	v_addc_co_u32_e32 v5, vcc, 0, v5, vcc
	ds_write_b64 v0, v[4:5] offset:584
.LBB4_3213:                             ;   in Loop: Header=BB4_3190 Depth=3
	s_or_b64 exec, exec, s[28:29]
	v_accvgpr_read_b32 v4, a10
	v_accvgpr_read_b32 v5, a11
	v_add_co_u32_e32 v4, vcc, 2, v4
	v_addc_co_u32_e32 v5, vcc, 0, v5, vcc
	v_accvgpr_write_b32 a11, v5
	v_accvgpr_write_b32 a10, v4
	s_or_b64 exec, exec, s[58:59]
	s_and_saveexec_b64 s[28:29], s[10:11]
	s_cbranch_execnz .LBB4_3227
.LBB4_3214:                             ;   in Loop: Header=BB4_3190 Depth=3
	s_or_b64 exec, exec, s[28:29]
                                        ; implicit-def: $vgpr0
	s_and_saveexec_b64 s[26:27], s[48:49]
	s_xor_b64 s[28:29], exec, s[26:27]
	s_cbranch_execz .LBB4_3252
.LBB4_3215:                             ;   in Loop: Header=BB4_3190 Depth=3
	s_and_saveexec_b64 s[26:27], s[44:45]
	s_xor_b64 s[58:59], exec, s[26:27]
	s_cbranch_execz .LBB4_3242
; %bb.3216:                             ;   in Loop: Header=BB4_3190 Depth=3
	s_and_saveexec_b64 s[60:61], s[16:17]
	s_cbranch_execz .LBB4_3241
; %bb.3217:                             ;   in Loop: Header=BB4_3190 Depth=3
	s_mov_b64 s[64:65], exec
	v_mbcnt_lo_u32_b32 v0, s64, 0
	v_mbcnt_hi_u32_b32 v0, s65, v0
	v_cmp_eq_u32_e32 vcc, 0, v0
	;;#ASMSTART
	s_waitcnt lgkmcnt(0) vmcnt(0)
	;;#ASMEND
	s_and_saveexec_b64 s[62:63], vcc
	s_cbranch_execz .LBB4_3219
; %bb.3218:                             ;   in Loop: Header=BB4_3190 Depth=3
	s_bcnt1_i32_b64 s26, s[64:65]
	v_mov_b32_e32 v42, s26
	ds_add_u64 v0, v[42:43]
	s_trap 2
.LBB4_3219:                             ;   in Loop: Header=BB4_3190 Depth=3
	s_or_b64 exec, exec, s[62:63]
	s_trap 2
	ds_read_b64 v[4:5], v0
	v_accvgpr_read_b32 v8, a14
	v_accvgpr_read_b32 v9, a15
	v_add_co_u32_e32 v8, vcc, v8, v46
	v_addc_co_u32_e32 v9, vcc, 0, v9, vcc
	v_accvgpr_write_b32 a15, v9
	v_accvgpr_write_b32 a14, v8
	s_waitcnt lgkmcnt(0)
	v_cmp_lt_u64_e32 vcc, v[4:5], v[8:9]
	s_and_saveexec_b64 s[62:63], vcc
	s_cbranch_execz .LBB4_3240
; %bb.3220:                             ;   in Loop: Header=BB4_3190 Depth=3
	s_mov_b32 s74, 0
	s_mov_b64 s[64:65], 0
                                        ; implicit-def: $sgpr66_sgpr67
                                        ; implicit-def: $sgpr68_sgpr69
	s_branch .LBB4_3222
.LBB4_3221:                             ;   in Loop: Header=BB4_3222 Depth=4
	s_or_b64 exec, exec, s[72:73]
	s_and_b64 s[26:27], exec, vcc
	s_or_b64 s[64:65], s[26:27], s[64:65]
	s_andn2_b64 s[26:27], s[66:67], exec
	s_and_b64 vcc, s[68:69], exec
	s_or_b64 s[66:67], s[26:27], vcc
	s_andn2_b64 exec, exec, s[64:65]
	s_cbranch_execz .LBB4_3238
.LBB4_3222:                             ;   Parent Loop BB4_47 Depth=1
                                        ;     Parent Loop BB4_271 Depth=2
                                        ;       Parent Loop BB4_3190 Depth=3
                                        ; =>      This Inner Loop Header: Depth=4
	s_add_i32 s74, s74, 1
	s_cmpk_lg_i32 s74, 0x2710
	s_cselect_b64 s[70:71], -1, 0
	s_and_b64 vcc, exec, s[70:71]
                                        ; implicit-def: $sgpr72_sgpr73
	s_cbranch_vccnz .LBB4_3224
; %bb.3223:                             ;   in Loop: Header=BB4_3222 Depth=4
	s_trap 2
	ds_read_b64 v[4:5], v0
	s_andn2_b64 s[26:27], s[70:71], exec
	s_mov_b32 s74, 0
	s_mov_b64 s[72:73], -1
	s_waitcnt vmcnt(0) lgkmcnt(0)
	flat_load_dword v0, v[4:5] glc
	s_waitcnt vmcnt(0) lgkmcnt(0)
	buffer_invl2
	buffer_wbinvl1_vol
	v_cmp_eq_u32_e32 vcc, 0, v0
	s_and_b64 vcc, vcc, exec
	s_or_b64 s[70:71], s[26:27], vcc
.LBB4_3224:                             ;   in Loop: Header=BB4_3222 Depth=4
	s_andn2_b64 s[26:27], s[68:69], exec
	s_and_b64 s[68:69], s[72:73], exec
	s_mov_b64 vcc, -1
	s_or_b64 s[68:69], s[26:27], s[68:69]
	s_and_saveexec_b64 s[72:73], s[70:71]
	s_cbranch_execz .LBB4_3221
; %bb.3225:                             ;   in Loop: Header=BB4_3222 Depth=4
	s_sleep 1
	s_trap 2
	ds_read_b64 v[4:5], v0
	v_accvgpr_read_b32 v8, a14
	v_accvgpr_read_b32 v9, a15
	s_andn2_b64 s[68:69], s[68:69], exec
	s_waitcnt lgkmcnt(0)
	v_cmp_ge_u64_e32 vcc, v[4:5], v[8:9]
	s_orn2_b64 vcc, vcc, exec
	s_branch .LBB4_3221
.LBB4_3226:                             ;   in Loop: Header=BB4_3190 Depth=3
	s_or_b64 exec, exec, s[58:59]
	s_and_saveexec_b64 s[28:29], s[10:11]
	s_cbranch_execz .LBB4_3214
.LBB4_3227:                             ;   in Loop: Header=BB4_3190 Depth=3
	s_and_saveexec_b64 s[26:27], s[44:45]
	s_xor_b64 s[58:59], exec, s[26:27]
	s_cbranch_execz .LBB4_3249
; %bb.3228:                             ;   in Loop: Header=BB4_3190 Depth=3
	s_and_saveexec_b64 s[60:61], s[16:17]
	s_cbranch_execz .LBB4_3248
; %bb.3229:                             ;   in Loop: Header=BB4_3190 Depth=3
	s_mov_b64 s[64:65], exec
	v_mbcnt_lo_u32_b32 v0, s64, 0
	v_mbcnt_hi_u32_b32 v0, s65, v0
	v_cmp_eq_u32_e32 vcc, 0, v0
	s_waitcnt vmcnt(0) lgkmcnt(0)
	buffer_wbinvl1_vol
	s_and_saveexec_b64 s[62:63], vcc
	s_cbranch_execz .LBB4_3231
; %bb.3230:                             ;   in Loop: Header=BB4_3190 Depth=3
	s_bcnt1_i32_b64 s26, s[64:65]
	v_mov_b32_e32 v42, s26
	ds_add_u64 v0, v[42:43]
	s_trap 2
.LBB4_3231:                             ;   in Loop: Header=BB4_3190 Depth=3
	s_or_b64 exec, exec, s[62:63]
	s_trap 2
	ds_read_b64 v[4:5], v0
	v_accvgpr_read_b32 v8, a14
	v_accvgpr_read_b32 v9, a15
	v_add_co_u32_e32 v8, vcc, v8, v46
	v_addc_co_u32_e32 v9, vcc, 0, v9, vcc
	v_accvgpr_write_b32 a15, v9
	v_accvgpr_write_b32 a14, v8
	s_waitcnt lgkmcnt(0)
	v_cmp_lt_u64_e32 vcc, v[4:5], v[8:9]
	s_and_saveexec_b64 s[62:63], vcc
	s_cbranch_execz .LBB4_3247
; %bb.3232:                             ;   in Loop: Header=BB4_3190 Depth=3
	s_mov_b32 s74, 0
	s_mov_b64 s[64:65], 0
                                        ; implicit-def: $sgpr66_sgpr67
                                        ; implicit-def: $sgpr68_sgpr69
	s_branch .LBB4_3234
.LBB4_3233:                             ;   in Loop: Header=BB4_3234 Depth=4
	s_or_b64 exec, exec, s[72:73]
	s_and_b64 s[26:27], exec, vcc
	s_or_b64 s[64:65], s[26:27], s[64:65]
	s_andn2_b64 s[26:27], s[66:67], exec
	s_and_b64 vcc, s[68:69], exec
	s_or_b64 s[66:67], s[26:27], vcc
	s_andn2_b64 exec, exec, s[64:65]
	s_cbranch_execz .LBB4_3245
.LBB4_3234:                             ;   Parent Loop BB4_47 Depth=1
                                        ;     Parent Loop BB4_271 Depth=2
                                        ;       Parent Loop BB4_3190 Depth=3
                                        ; =>      This Inner Loop Header: Depth=4
	s_add_i32 s74, s74, 1
	s_cmpk_lg_i32 s74, 0x2710
	s_cselect_b64 s[70:71], -1, 0
	s_and_b64 vcc, exec, s[70:71]
                                        ; implicit-def: $sgpr72_sgpr73
	s_cbranch_vccnz .LBB4_3236
; %bb.3235:                             ;   in Loop: Header=BB4_3234 Depth=4
	s_trap 2
	ds_read_b64 v[4:5], v0
	s_andn2_b64 s[26:27], s[70:71], exec
	s_mov_b32 s74, 0
	s_mov_b64 s[72:73], -1
	s_waitcnt lgkmcnt(0)
	flat_load_dword v0, v[4:5] glc
	s_waitcnt vmcnt(0) lgkmcnt(0)
	buffer_invl2
	buffer_wbinvl1_vol
	v_cmp_eq_u32_e32 vcc, 0, v0
	s_and_b64 vcc, vcc, exec
	s_or_b64 s[70:71], s[26:27], vcc
.LBB4_3236:                             ;   in Loop: Header=BB4_3234 Depth=4
	s_andn2_b64 s[26:27], s[68:69], exec
	s_and_b64 s[68:69], s[72:73], exec
	s_mov_b64 vcc, -1
	s_or_b64 s[68:69], s[26:27], s[68:69]
	s_and_saveexec_b64 s[72:73], s[70:71]
	s_cbranch_execz .LBB4_3233
; %bb.3237:                             ;   in Loop: Header=BB4_3234 Depth=4
	s_sleep 1
	s_trap 2
	ds_read_b64 v[4:5], v0
	v_accvgpr_read_b32 v8, a14
	v_accvgpr_read_b32 v9, a15
	s_andn2_b64 s[68:69], s[68:69], exec
	s_waitcnt lgkmcnt(0)
	v_cmp_ge_u64_e32 vcc, v[4:5], v[8:9]
	s_orn2_b64 vcc, vcc, exec
	s_branch .LBB4_3233
.LBB4_3238:                             ;   in Loop: Header=BB4_3190 Depth=3
	s_or_b64 exec, exec, s[64:65]
	s_and_saveexec_b64 s[26:27], s[66:67]
	s_xor_b64 s[26:27], exec, s[26:27]
	s_cbranch_execz .LBB4_3240
; %bb.3239:                             ;   in Loop: Header=BB4_3190 Depth=3
	v_mov_b32_e32 v0, 1
	ds_write_b32 v0, v0
	s_trap 2
.LBB4_3240:                             ;   in Loop: Header=BB4_3190 Depth=3
	s_or_b64 exec, exec, s[62:63]
	;;#ASMSTART
	s_wakeup
	;;#ASMEND
.LBB4_3241:                             ;   in Loop: Header=BB4_3190 Depth=3
	s_or_b64 exec, exec, s[60:61]
.LBB4_3242:                             ;   in Loop: Header=BB4_3190 Depth=3
	s_andn2_saveexec_b64 vcc, s[58:59]
	s_cbranch_execz .LBB4_3244
; %bb.3243:                             ;   in Loop: Header=BB4_3190 Depth=3
	;;#ASMSTART
	s_waitcnt lgkmcnt(0) vmcnt(0)
	;;#ASMEND
	s_barrier
.LBB4_3244:                             ;   in Loop: Header=BB4_3190 Depth=3
	s_or_b64 exec, exec, vcc
	v_and_b32_e32 v0, 16, v34
	s_andn2_saveexec_b64 s[28:29], s[28:29]
	s_cbranch_execz .LBB4_3256
	s_branch .LBB4_3253
.LBB4_3245:                             ;   in Loop: Header=BB4_3190 Depth=3
	s_or_b64 exec, exec, s[64:65]
	s_and_saveexec_b64 s[26:27], s[66:67]
	s_xor_b64 s[26:27], exec, s[26:27]
	s_cbranch_execz .LBB4_3247
; %bb.3246:                             ;   in Loop: Header=BB4_3190 Depth=3
	v_mov_b32_e32 v0, 1
	ds_write_b32 v0, v0
	s_trap 2
.LBB4_3247:                             ;   in Loop: Header=BB4_3190 Depth=3
	s_or_b64 exec, exec, s[62:63]
	;;#ASMSTART
	s_wakeup
	;;#ASMEND
.LBB4_3248:                             ;   in Loop: Header=BB4_3190 Depth=3
	s_or_b64 exec, exec, s[60:61]
.LBB4_3249:                             ;   in Loop: Header=BB4_3190 Depth=3
	s_andn2_saveexec_b64 vcc, s[58:59]
	s_cbranch_execz .LBB4_3251
; %bb.3250:                             ;   in Loop: Header=BB4_3190 Depth=3
	s_waitcnt vmcnt(0) lgkmcnt(0)
	buffer_wbinvl1_vol
	s_barrier
.LBB4_3251:                             ;   in Loop: Header=BB4_3190 Depth=3
	s_or_b64 exec, exec, vcc
	s_or_b64 exec, exec, s[28:29]
                                        ; implicit-def: $vgpr0
	s_and_saveexec_b64 s[26:27], s[48:49]
	s_xor_b64 s[28:29], exec, s[26:27]
	s_cbranch_execnz .LBB4_3215
.LBB4_3252:                             ;   in Loop: Header=BB4_3190 Depth=3
	s_andn2_saveexec_b64 s[28:29], s[28:29]
	s_cbranch_execz .LBB4_3256
.LBB4_3253:                             ;   in Loop: Header=BB4_3190 Depth=3
	s_trap 2
	ds_read_b32 v3, v0
	v_cmp_lt_i32_e32 vcc, 0, v2
	v_and_b32_e32 v4, 16, v34
	v_and_b32_e32 v0, 16, v34
	s_waitcnt lgkmcnt(0)
	v_readfirstlane_b32 s26, v3
	s_cmp_eq_u32 s26, 0
	s_cselect_b64 s[26:27], -1, 0
	s_and_b64 s[26:27], vcc, s[26:27]
	v_cmp_ne_u32_e32 vcc, 0, v4
	s_and_b64 s[26:27], vcc, s[26:27]
	s_and_saveexec_b64 vcc, s[26:27]
	s_cbranch_execz .LBB4_3255
; %bb.3254:                             ;   in Loop: Header=BB4_3190 Depth=3
	v_mov_b32_e32 v0, 1
	s_waitcnt vmcnt(0)
	buffer_wbinvl1_vol
.LBB4_3255:                             ;   in Loop: Header=BB4_3190 Depth=3
	s_or_b64 exec, exec, vcc
.LBB4_3256:                             ;   in Loop: Header=BB4_3190 Depth=3
	s_or_b64 exec, exec, s[28:29]
	v_cmp_ne_u32_e32 vcc, 0, v0
	s_xor_b64 s[26:27], s[12:13], -1
	s_and_b64 s[26:27], vcc, s[26:27]
	s_and_saveexec_b64 s[28:29], s[26:27]
	s_cbranch_execz .LBB4_3258
; %bb.3257:                             ;   in Loop: Header=BB4_3190 Depth=3
	v_accvgpr_read_b32 v4, a22
	v_accvgpr_read_b32 v5, a23
	v_mov_b32_e32 v0, 1
	flat_store_dword v[4:5], v0
.LBB4_3258:                             ;   in Loop: Header=BB4_3190 Depth=3
	s_or_b64 exec, exec, s[28:29]
	v_and_b32_e32 v0, 48, v34
	v_cmp_ne_u32_e32 vcc, 0, v0
	s_and_saveexec_b64 s[28:29], vcc
	s_cbranch_execz .LBB4_3189
; %bb.3259:                             ;   in Loop: Header=BB4_3190 Depth=3
	v_accvgpr_read_b32 v4, a10
	v_accvgpr_read_b32 v5, a11
	v_add_co_u32_e32 v4, vcc, 2, v4
	v_addc_co_u32_e32 v5, vcc, 0, v5, vcc
	v_accvgpr_write_b32 a11, v5
	v_accvgpr_read_b32 v8, a16
	v_accvgpr_write_b32 a10, v4
	v_accvgpr_read_b32 v9, a17
	flat_store_dwordx2 v[8:9], v[4:5]
	s_branch .LBB4_3189
.LBB4_3260:                             ;   in Loop: Header=BB4_47 Depth=1
	v_accvgpr_read_b32 v29, a9
	v_accvgpr_read_b32 v28, a8
.LBB4_3261:                             ;   in Loop: Header=BB4_47 Depth=1
	v_accvgpr_read_b32 v8, a48
	v_accvgpr_read_b32 v9, a49
	v_mul_lo_u32 v0, v9, s78
	v_mul_lo_u32 v2, v8, s79
	v_mad_u64_u32 v[4:5], s[28:29], v8, s78, 0
	v_add3_u32 v5, v5, v2, v0
	v_accvgpr_read_b32 v2, a50
	v_accvgpr_read_b32 v3, a51
	v_sub_co_u32_e32 v2, vcc, v2, v4
	v_subb_co_u32_e32 v3, vcc, v3, v5, vcc
	v_cmp_lt_i64_e32 vcc, v[8:9], v[2:3]
	v_cndmask_b32_e32 v0, v2, v8, vcc
	v_max_i32_e32 v2, 0, v0
	v_accvgpr_write_b32 a53, v2
	v_add_u32_e32 v2, 31, v2
	v_lshrrev_b32_e32 v2, 1, v2
	v_and_b32_e32 v2, 0x3ffffff0, v2
	v_max_i32_e32 v2, s87, v2
	v_cmp_lt_i32_e32 vcc, 0, v0
	v_accvgpr_write_b32 a54, v2
	s_and_b64 s[28:29], s[50:51], vcc
	v_mov_b32_e32 v0, 0
	v_mov_b32_e32 v35, 0
	s_and_saveexec_b64 s[58:59], s[28:29]
	s_cbranch_execnz .LBB4_3262
; %bb.9570:                             ;   in Loop: Header=BB4_47 Depth=1
	s_getpc_b64 s[98:99]
.Lpost_getpc11:
	s_add_u32 s98, s98, (.LBB4_8984-.Lpost_getpc11)&4294967295
	s_addc_u32 s99, s99, (.LBB4_8984-.Lpost_getpc11)>>32
	s_setpc_b64 s[98:99]
.LBB4_3262:                             ;   in Loop: Header=BB4_47 Depth=1
	v_accvgpr_read_b32 v0, a43
	v_add_co_u32_e32 v0, vcc, v4, v0
	v_accvgpr_write_b32 a56, v0
	v_accvgpr_read_b32 v0, a52
	v_addc_co_u32_e32 v0, vcc, v5, v0, vcc
	v_accvgpr_write_b32 a57, v0
	s_mov_b32 s47, 1
	s_mov_b64 s[62:63], -1
	s_mov_b64 s[60:61], 0
	v_mov_b32_e32 v35, 0
	s_branch .LBB4_3264
.LBB4_3263:                             ;   in Loop: Header=BB4_3264 Depth=2
	s_or_b64 exec, exec, s[28:29]
	v_accvgpr_read_b32 v0, a54
	v_mov_b32_e32 v2, v35
	v_add_u32_e32 v2, v0, v2
	v_accvgpr_read_b32 v0, a53
	v_cmp_ge_i32_e32 vcc, v2, v0
	s_xor_b64 s[28:29], s[62:63], -1
	s_or_b64 s[28:29], s[28:29], vcc
	s_and_b64 s[28:29], exec, s[28:29]
	v_mov_b32_e32 v35, v2
	s_or_b64 s[60:61], s[28:29], s[60:61]
	s_mov_b64 s[62:63], 0
	v_mov_b32_e32 v0, s47
	s_mov_b32 s47, 2
	s_andn2_b64 exec, exec, s[60:61]
	s_cbranch_execnz .LBB4_3264
; %bb.9572:                             ;   in Loop: Header=BB4_47 Depth=1
	s_getpc_b64 s[98:99]
.Lpost_getpc12:
	s_add_u32 s98, s98, (.LBB4_8983-.Lpost_getpc12)&4294967295
	s_addc_u32 s99, s99, (.LBB4_8983-.Lpost_getpc12)>>32
	s_setpc_b64 s[98:99]
.LBB4_3264:                             ;   Parent Loop BB4_47 Depth=1
                                        ; =>  This Loop Header: Depth=2
                                        ;       Child Loop BB4_3272 Depth 3
                                        ;       Child Loop BB4_3298 Depth 3
	;; [unrolled: 1-line block ×9, first 2 shown]
                                        ;         Child Loop BB4_5696 Depth 4
                                        ;       Child Loop BB4_5706 Depth 3
                                        ;       Child Loop BB4_6126 Depth 3
                                        ;         Child Loop BB4_6179 Depth 4
                                        ;       Child Loop BB4_3345 Depth 3
                                        ;       Child Loop BB4_4908 Depth 3
	s_and_saveexec_b64 s[28:29], s[4:5]
	s_cbranch_execz .LBB4_3266
; %bb.3265:                             ;   in Loop: Header=BB4_3264 Depth=2
	s_trap 2
	ds_read2_b64 v[2:5], v0 offset1:1
	ds_read_b64 v[8:9], v0
	v_accvgpr_read_b32 v11, a56
	v_accvgpr_read_b32 v12, a57
	v_mov_b32_e32 v10, v35
	s_waitcnt lgkmcnt(0)
	v_add_co_u32_e32 v0, vcc, v2, v11
	v_addc_co_u32_e32 v3, vcc, v3, v12, vcc
	v_ashrrev_i32_e32 v7, 31, v10
	v_add_co_u32_e32 v2, vcc, v0, v10
	v_addc_co_u32_e32 v3, vcc, v3, v7, vcc
	ds_write_b64 v0, v[2:3]
	v_add_co_u32_e32 v0, vcc, v4, v11
	v_addc_co_u32_e32 v3, vcc, v5, v12, vcc
	v_add_co_u32_e32 v2, vcc, v0, v10
	v_addc_co_u32_e32 v3, vcc, v3, v7, vcc
	ds_write_b64 v0, v[2:3]
	v_add_co_u32_e32 v0, vcc, v8, v11
	v_addc_co_u32_e32 v2, vcc, v9, v12, vcc
	v_add_co_u32_e32 v0, vcc, v0, v10
	v_addc_co_u32_e32 v2, vcc, v2, v7, vcc
	v_cmp_ne_u64_e32 vcc, 0, v[8:9]
	v_cndmask_b32_e32 v3, 0, v2, vcc
	v_cndmask_b32_e32 v2, 0, v0, vcc
	ds_write_b64 v0, v[2:3]
.LBB4_3266:                             ;   in Loop: Header=BB4_3264 Depth=2
	s_or_b64 exec, exec, s[28:29]
	v_and_b32_e32 v0, 12, v34
	v_cmp_ne_u32_e32 vcc, 0, v0
	s_mov_b64 s[30:31], -1
	s_and_saveexec_b64 s[28:29], vcc
	s_cbranch_execz .LBB4_3278
; %bb.3267:                             ;   in Loop: Header=BB4_3264 Depth=2
	v_and_b32_e32 v4, 8, v34
	v_add_co_u32_e32 v2, vcc, v48, v4
	v_addc_co_u32_e32 v3, vcc, 0, v49, vcc
	v_accvgpr_read_b32 v8, a10
	v_accvgpr_read_b32 v9, a11
	v_add_co_u32_e32 v8, vcc, 2, v8
	v_addc_co_u32_e32 v9, vcc, 0, v9, vcc
	v_cmp_lt_u64_e32 vcc, v[2:3], v[8:9]
	v_mov_b32_e32 v0, 1
	s_and_saveexec_b64 s[30:31], vcc
	s_cbranch_execz .LBB4_3277
; %bb.3268:                             ;   in Loop: Header=BB4_3264 Depth=2
	s_mov_b64 s[34:35], 0
	v_mov_b32_e32 v0, 0
                                        ; implicit-def: $sgpr64_sgpr65
	s_branch .LBB4_3272
.LBB4_3269:                             ;   in Loop: Header=BB4_3272 Depth=3
	s_or_b64 exec, exec, s[72:73]
	v_mov_b32_e32 v2, 0
	s_orn2_b64 s[70:71], s[70:71], exec
.LBB4_3270:                             ;   in Loop: Header=BB4_3272 Depth=3
	s_or_b64 exec, exec, s[68:69]
	s_andn2_b64 vcc, s[64:65], exec
	s_and_b64 s[64:65], s[70:71], exec
	s_or_b64 s[64:65], vcc, s[64:65]
	v_mov_b32_e32 v0, v2
.LBB4_3271:                             ;   in Loop: Header=BB4_3272 Depth=3
	s_or_b64 exec, exec, s[66:67]
	s_waitcnt vmcnt(0) lgkmcnt(0)
	v_add_co_u32_e32 v2, vcc, v48, v4
	v_addc_co_u32_e32 v3, vcc, 0, v49, vcc
	v_cmp_ge_u64_e32 vcc, v[2:3], v[8:9]
	s_xor_b64 s[66:67], s[64:65], -1
	s_or_b64 vcc, s[66:67], vcc
	s_and_b64 vcc, exec, vcc
	s_or_b64 s[34:35], vcc, s[34:35]
	s_andn2_b64 exec, exec, s[34:35]
	s_cbranch_execz .LBB4_3276
.LBB4_3272:                             ;   Parent Loop BB4_47 Depth=1
                                        ;     Parent Loop BB4_3264 Depth=2
                                        ; =>    This Inner Loop Header: Depth=3
	v_accvgpr_read_b32 v2, a16
	v_accvgpr_read_b32 v3, a17
	s_sleep 1
	flat_load_dwordx2 v[48:49], v[2:3] glc
	v_and_b32_e32 v2, 64, v34
	v_cmp_eq_u32_e32 vcc, 0, v2
	s_andn2_b64 s[64:65], s[64:65], exec
	s_and_saveexec_b64 s[66:67], vcc
	s_cbranch_execz .LBB4_3271
; %bb.3273:                             ;   in Loop: Header=BB4_3272 Depth=3
	v_add_u32_e32 v2, 1, v0
	v_cmp_lt_i32_e32 vcc, s91, v0
	s_mov_b64 s[70:71], -1
	s_and_saveexec_b64 s[68:69], vcc
	s_cbranch_execz .LBB4_3270
; %bb.3274:                             ;   in Loop: Header=BB4_3272 Depth=3
	s_trap 2
	ds_read_b64 v[2:3], v0
	s_waitcnt vmcnt(0) lgkmcnt(0)
	flat_load_dword v0, v[2:3] glc
	s_waitcnt vmcnt(0) lgkmcnt(0)
	buffer_invl2
	buffer_wbinvl1_vol
	v_cmp_ne_u32_e32 vcc, 0, v0
	s_and_saveexec_b64 s[72:73], vcc
	s_cbranch_execz .LBB4_3269
; %bb.3275:                             ;   in Loop: Header=BB4_3272 Depth=3
	v_or_b32_e32 v34, 64, v34
	s_xor_b64 s[70:71], exec, -1
	ds_write_b32 v0, v0
	s_trap 2
	s_branch .LBB4_3269
.LBB4_3276:                             ;   in Loop: Header=BB4_3264 Depth=2
	s_or_b64 exec, exec, s[34:35]
	v_and_b32_e32 v0, 12, v34
.LBB4_3277:                             ;   in Loop: Header=BB4_3264 Depth=2
	s_or_b64 exec, exec, s[30:31]
	v_cmp_eq_u32_e32 vcc, 0, v0
	s_orn2_b64 s[30:31], vcc, exec
	;;#ASMSTART
	s_wakeup
	;;#ASMEND
.LBB4_3278:                             ;   in Loop: Header=BB4_3264 Depth=2
	s_or_b64 exec, exec, s[28:29]
	v_accvgpr_read_b32 v0, a53
	v_mov_b32_e32 v2, v35
	v_sub_u32_e32 v0, v0, v2
	v_accvgpr_read_b32 v2, a54
	v_min_i32_e32 v2, v2, v0
	s_xor_b64 s[28:29], s[30:31], -1
	v_accvgpr_write_b32 a54, v2
	s_and_saveexec_b64 s[30:31], s[28:29]
	s_cbranch_execz .LBB4_3290
; %bb.3279:                             ;   in Loop: Header=BB4_3264 Depth=2
	v_and_b32_e32 v0, 0x108, v34
	v_accvgpr_read_b32 v2, a10
	v_cmp_ne_u32_e32 vcc, s92, v0
	v_and_b32_e32 v4, 7, v2
	v_accvgpr_read_b32 v3, a11
	s_and_saveexec_b64 s[28:29], vcc
	s_xor_b64 s[28:29], exec, s[28:29]
	s_andn2_saveexec_b64 s[28:29], s[28:29]
	s_cbranch_execz .LBB4_3281
; %bb.3280:                             ;   in Loop: Header=BB4_3264 Depth=2
	v_accvgpr_read_b32 v2, a12
	v_accvgpr_read_b32 v3, a13
	;; [unrolled: 1-line block ×3, first 2 shown]
	v_mad_u64_u32 v[2:3], vcc, v4, 24, v[2:3]
	v_ashrrev_i32_e32 v9, 31, v8
	flat_store_dwordx2 v[2:3], v[8:9] offset:8
.LBB4_3281:                             ;   in Loop: Header=BB4_3264 Depth=2
	s_or_b64 exec, exec, s[28:29]
	v_and_b32_e32 v0, 0x100, v34
	v_cmp_ne_u32_e32 vcc, 0, v0
	s_mov_b64 s[28:29], -1
                                        ; implicit-def: $vgpr8_vgpr9
	s_and_saveexec_b64 s[34:35], vcc
	s_cbranch_execz .LBB4_3285
; %bb.3282:                             ;   in Loop: Header=BB4_3264 Depth=2
	v_accvgpr_read_b32 v2, a12
	v_accvgpr_read_b32 v3, a13
	v_mad_u64_u32 v[10:11], s[28:29], v4, 24, v[2:3]
	v_mov_b32_e32 v0, v11
	v_mad_u64_u32 v[2:3], s[28:29], v43, 24, v[0:1]
	v_mov_b32_e32 v11, v2
	flat_load_dword v0, v[10:11]
                                        ; implicit-def: $vgpr8_vgpr9
	s_waitcnt vmcnt(0) lgkmcnt(0)
	v_cmp_ne_u32_e32 vcc, 1, v0
	v_cmp_eq_u32_e64 s[28:29], 1, v0
	s_and_saveexec_b64 s[64:65], s[28:29]
	s_cbranch_execz .LBB4_3284
; %bb.3283:                             ;   in Loop: Header=BB4_3264 Depth=2
	flat_load_dword v8, v[10:11] offset:4 glc
	s_waitcnt vmcnt(0) lgkmcnt(0)
	v_ashrrev_i32_e32 v9, 31, v8
.LBB4_3284:                             ;   in Loop: Header=BB4_3264 Depth=2
	s_or_b64 exec, exec, s[64:65]
	s_orn2_b64 s[28:29], vcc, exec
.LBB4_3285:                             ;   in Loop: Header=BB4_3264 Depth=2
	s_or_b64 exec, exec, s[34:35]
	s_and_saveexec_b64 vcc, s[28:29]
; %bb.3286:                             ;   in Loop: Header=BB4_3264 Depth=2
	v_accvgpr_read_b32 v8, a18
	v_accvgpr_read_b32 v3, a19
	v_mul_lo_u32 v0, v43, v8
	v_mul_lo_u32 v2, v4, v3
	v_mad_u64_u32 v[8:9], s[28:29], v4, v8, 0
	v_add3_u32 v9, v9, v2, v0
; %bb.3287:                             ;   in Loop: Header=BB4_3264 Depth=2
	s_or_b64 exec, exec, vcc
	v_accvgpr_read_b32 v2, a20
	v_accvgpr_read_b32 v3, a21
	v_add_co_u32_e32 v2, vcc, v2, v8
	v_addc_co_u32_e32 v3, vcc, v3, v9, vcc
	s_trap 2
	ds_write_b64 v0, v[2:3]
	v_and_b32_e32 v0, 0x2000, v34
	v_cmp_ne_u32_e32 vcc, 0, v0
	s_and_saveexec_b64 s[28:29], vcc
	s_cbranch_execz .LBB4_3289
; %bb.3288:                             ;   in Loop: Header=BB4_3264 Depth=2
	ds_read_b64 v[2:3], v0 offset:584
	s_waitcnt lgkmcnt(0)
	v_add_co_u32_e32 v2, vcc, 1, v2
	v_addc_co_u32_e32 v3, vcc, 0, v3, vcc
	ds_write_b64 v0, v[2:3] offset:584
.LBB4_3289:                             ;   in Loop: Header=BB4_3264 Depth=2
	s_or_b64 exec, exec, s[28:29]
	v_accvgpr_read_b32 v2, a10
	v_accvgpr_read_b32 v3, a11
	v_add_co_u32_e32 v2, vcc, 2, v2
	v_addc_co_u32_e32 v3, vcc, 0, v3, vcc
	v_accvgpr_write_b32 a11, v3
	v_accvgpr_write_b32 a10, v2
.LBB4_3290:                             ;   in Loop: Header=BB4_3264 Depth=2
	s_or_b64 exec, exec, s[30:31]
	s_and_saveexec_b64 s[28:29], s[10:11]
	s_cbranch_execz .LBB4_3309
; %bb.3291:                             ;   in Loop: Header=BB4_3264 Depth=2
	s_and_saveexec_b64 vcc, s[44:45]
	s_xor_b64 s[30:31], exec, vcc
	s_cbranch_execz .LBB4_3306
; %bb.3292:                             ;   in Loop: Header=BB4_3264 Depth=2
	s_and_saveexec_b64 s[34:35], s[16:17]
	s_cbranch_execz .LBB4_3305
; %bb.3293:                             ;   in Loop: Header=BB4_3264 Depth=2
	s_mov_b64 s[66:67], exec
	v_mbcnt_lo_u32_b32 v0, s66, 0
	v_mbcnt_hi_u32_b32 v0, s67, v0
	v_cmp_eq_u32_e32 vcc, 0, v0
	s_waitcnt vmcnt(0) lgkmcnt(0)
	buffer_wbinvl1_vol
	s_and_saveexec_b64 s[64:65], vcc
	s_cbranch_execz .LBB4_3295
; %bb.3294:                             ;   in Loop: Header=BB4_3264 Depth=2
	s_bcnt1_i32_b64 s26, s[66:67]
	v_mov_b32_e32 v42, s26
	ds_add_u64 v0, v[42:43]
	s_trap 2
.LBB4_3295:                             ;   in Loop: Header=BB4_3264 Depth=2
	s_or_b64 exec, exec, s[64:65]
	s_trap 2
	ds_read_b64 v[2:3], v0
	v_accvgpr_read_b32 v4, a14
	v_accvgpr_read_b32 v5, a15
	v_add_co_u32_e32 v4, vcc, v4, v46
	v_addc_co_u32_e32 v5, vcc, 0, v5, vcc
	v_accvgpr_write_b32 a15, v5
	v_accvgpr_write_b32 a14, v4
	s_waitcnt lgkmcnt(0)
	v_cmp_lt_u64_e32 vcc, v[2:3], v[4:5]
	s_and_saveexec_b64 s[64:65], vcc
	s_cbranch_execz .LBB4_3304
; %bb.3296:                             ;   in Loop: Header=BB4_3264 Depth=2
	s_mov_b32 s76, 0
	s_mov_b64 s[66:67], 0
                                        ; implicit-def: $sgpr68_sgpr69
                                        ; implicit-def: $sgpr70_sgpr71
	s_branch .LBB4_3298
.LBB4_3297:                             ;   in Loop: Header=BB4_3298 Depth=3
	s_or_b64 exec, exec, s[74:75]
	s_and_b64 s[26:27], exec, vcc
	s_or_b64 s[66:67], s[26:27], s[66:67]
	s_andn2_b64 s[26:27], s[68:69], exec
	s_and_b64 vcc, s[70:71], exec
	s_or_b64 s[68:69], s[26:27], vcc
	s_andn2_b64 exec, exec, s[66:67]
	s_cbranch_execz .LBB4_3302
.LBB4_3298:                             ;   Parent Loop BB4_47 Depth=1
                                        ;     Parent Loop BB4_3264 Depth=2
                                        ; =>    This Inner Loop Header: Depth=3
	s_add_i32 s76, s76, 1
	s_cmpk_lg_i32 s76, 0x2710
	s_cselect_b64 s[72:73], -1, 0
	s_and_b64 vcc, exec, s[72:73]
                                        ; implicit-def: $sgpr74_sgpr75
	s_cbranch_vccnz .LBB4_3300
; %bb.3299:                             ;   in Loop: Header=BB4_3298 Depth=3
	s_trap 2
	ds_read_b64 v[2:3], v0
	s_andn2_b64 s[72:73], s[72:73], exec
	s_mov_b32 s76, 0
	s_mov_b64 s[74:75], -1
	s_waitcnt lgkmcnt(0)
	flat_load_dword v0, v[2:3] glc
	s_waitcnt vmcnt(0) lgkmcnt(0)
	buffer_invl2
	buffer_wbinvl1_vol
	v_cmp_eq_u32_e32 vcc, 0, v0
	s_and_b64 vcc, vcc, exec
	s_or_b64 s[72:73], s[72:73], vcc
.LBB4_3300:                             ;   in Loop: Header=BB4_3298 Depth=3
	s_andn2_b64 s[70:71], s[70:71], exec
	s_and_b64 s[74:75], s[74:75], exec
	s_mov_b64 vcc, -1
	s_or_b64 s[70:71], s[70:71], s[74:75]
	s_and_saveexec_b64 s[74:75], s[72:73]
	s_cbranch_execz .LBB4_3297
; %bb.3301:                             ;   in Loop: Header=BB4_3298 Depth=3
	s_sleep 1
	s_trap 2
	ds_read_b64 v[2:3], v0
	v_accvgpr_read_b32 v4, a14
	v_accvgpr_read_b32 v5, a15
	s_andn2_b64 s[70:71], s[70:71], exec
	s_waitcnt lgkmcnt(0)
	v_cmp_ge_u64_e32 vcc, v[2:3], v[4:5]
	s_orn2_b64 vcc, vcc, exec
	s_branch .LBB4_3297
.LBB4_3302:                             ;   in Loop: Header=BB4_3264 Depth=2
	s_or_b64 exec, exec, s[66:67]
	s_and_saveexec_b64 s[26:27], s[68:69]
	s_xor_b64 s[26:27], exec, s[26:27]
	s_cbranch_execz .LBB4_3304
; %bb.3303:                             ;   in Loop: Header=BB4_3264 Depth=2
	v_mov_b32_e32 v0, 1
	ds_write_b32 v0, v0
	s_trap 2
.LBB4_3304:                             ;   in Loop: Header=BB4_3264 Depth=2
	s_or_b64 exec, exec, s[64:65]
	;;#ASMSTART
	s_wakeup
	;;#ASMEND
.LBB4_3305:                             ;   in Loop: Header=BB4_3264 Depth=2
	s_or_b64 exec, exec, s[34:35]
.LBB4_3306:                             ;   in Loop: Header=BB4_3264 Depth=2
	s_andn2_saveexec_b64 vcc, s[30:31]
	s_cbranch_execz .LBB4_3308
; %bb.3307:                             ;   in Loop: Header=BB4_3264 Depth=2
	s_waitcnt vmcnt(0) lgkmcnt(0)
	buffer_wbinvl1_vol
	s_barrier
.LBB4_3308:                             ;   in Loop: Header=BB4_3264 Depth=2
	s_or_b64 exec, exec, vcc
.LBB4_3309:                             ;   in Loop: Header=BB4_3264 Depth=2
	s_or_b64 exec, exec, s[28:29]
	s_trap 2
	ds_read_b32 v0, v0
	v_and_b32_e32 v2, 0x4000, v34
	v_cmp_ne_u32_e32 vcc, 0, v2
	s_xor_b64 s[28:29], s[6:7], -1
	s_and_b64 vcc, s[28:29], vcc
	s_and_saveexec_b64 s[28:29], vcc
	s_cbranch_execz .LBB4_3328
; %bb.3310:                             ;   in Loop: Header=BB4_3264 Depth=2
	s_and_saveexec_b64 vcc, s[44:45]
	s_xor_b64 s[30:31], exec, vcc
	s_cbranch_execz .LBB4_3325
; %bb.3311:                             ;   in Loop: Header=BB4_3264 Depth=2
	s_and_saveexec_b64 s[34:35], s[16:17]
	s_cbranch_execz .LBB4_3324
; %bb.3312:                             ;   in Loop: Header=BB4_3264 Depth=2
	s_mov_b64 s[66:67], exec
	v_mbcnt_lo_u32_b32 v2, s66, 0
	v_mbcnt_hi_u32_b32 v2, s67, v2
	v_cmp_eq_u32_e32 vcc, 0, v2
	s_waitcnt vmcnt(0) lgkmcnt(0)
	buffer_wbinvl1_vol
	s_and_saveexec_b64 s[64:65], vcc
	s_cbranch_execz .LBB4_3314
; %bb.3313:                             ;   in Loop: Header=BB4_3264 Depth=2
	s_bcnt1_i32_b64 s26, s[66:67]
	v_mov_b32_e32 v42, s26
	ds_add_u64 v0, v[42:43]
	s_trap 2
.LBB4_3314:                             ;   in Loop: Header=BB4_3264 Depth=2
	s_or_b64 exec, exec, s[64:65]
	s_trap 2
	ds_read_b64 v[2:3], v0
	v_accvgpr_read_b32 v4, a14
	v_accvgpr_read_b32 v5, a15
	v_add_co_u32_e32 v4, vcc, v4, v46
	v_addc_co_u32_e32 v5, vcc, 0, v5, vcc
	v_accvgpr_write_b32 a15, v5
	v_accvgpr_write_b32 a14, v4
	s_waitcnt lgkmcnt(0)
	v_cmp_lt_u64_e32 vcc, v[2:3], v[4:5]
	s_and_saveexec_b64 s[64:65], vcc
	s_cbranch_execz .LBB4_3323
; %bb.3315:                             ;   in Loop: Header=BB4_3264 Depth=2
	s_mov_b32 s76, 0
	s_mov_b64 s[66:67], 0
                                        ; implicit-def: $sgpr68_sgpr69
                                        ; implicit-def: $sgpr70_sgpr71
	s_branch .LBB4_3317
.LBB4_3316:                             ;   in Loop: Header=BB4_3317 Depth=3
	s_or_b64 exec, exec, s[74:75]
	s_and_b64 s[26:27], exec, vcc
	s_or_b64 s[66:67], s[26:27], s[66:67]
	s_andn2_b64 s[26:27], s[68:69], exec
	s_and_b64 vcc, s[70:71], exec
	s_or_b64 s[68:69], s[26:27], vcc
	s_andn2_b64 exec, exec, s[66:67]
	s_cbranch_execz .LBB4_3321
.LBB4_3317:                             ;   Parent Loop BB4_47 Depth=1
                                        ;     Parent Loop BB4_3264 Depth=2
                                        ; =>    This Inner Loop Header: Depth=3
	s_add_i32 s76, s76, 1
	s_cmpk_lg_i32 s76, 0x2710
	s_cselect_b64 s[72:73], -1, 0
	s_and_b64 vcc, exec, s[72:73]
                                        ; implicit-def: $sgpr74_sgpr75
	s_cbranch_vccnz .LBB4_3319
; %bb.3318:                             ;   in Loop: Header=BB4_3317 Depth=3
	s_trap 2
	ds_read_b64 v[2:3], v0
	s_andn2_b64 s[72:73], s[72:73], exec
	s_mov_b32 s76, 0
	s_mov_b64 s[74:75], -1
	s_waitcnt lgkmcnt(0)
	flat_load_dword v2, v[2:3] glc
	s_waitcnt vmcnt(0) lgkmcnt(0)
	buffer_invl2
	buffer_wbinvl1_vol
	v_cmp_eq_u32_e32 vcc, 0, v2
	s_and_b64 vcc, vcc, exec
	s_or_b64 s[72:73], s[72:73], vcc
.LBB4_3319:                             ;   in Loop: Header=BB4_3317 Depth=3
	s_andn2_b64 s[70:71], s[70:71], exec
	s_and_b64 s[74:75], s[74:75], exec
	s_mov_b64 vcc, -1
	s_or_b64 s[70:71], s[70:71], s[74:75]
	s_and_saveexec_b64 s[74:75], s[72:73]
	s_cbranch_execz .LBB4_3316
; %bb.3320:                             ;   in Loop: Header=BB4_3317 Depth=3
	s_sleep 1
	s_trap 2
	ds_read_b64 v[2:3], v0
	v_accvgpr_read_b32 v4, a14
	v_accvgpr_read_b32 v5, a15
	s_andn2_b64 s[70:71], s[70:71], exec
	s_waitcnt lgkmcnt(0)
	v_cmp_ge_u64_e32 vcc, v[2:3], v[4:5]
	s_orn2_b64 vcc, vcc, exec
	s_branch .LBB4_3316
.LBB4_3321:                             ;   in Loop: Header=BB4_3264 Depth=2
	s_or_b64 exec, exec, s[66:67]
	s_and_saveexec_b64 s[26:27], s[68:69]
	s_xor_b64 s[26:27], exec, s[26:27]
	s_cbranch_execz .LBB4_3323
; %bb.3322:                             ;   in Loop: Header=BB4_3264 Depth=2
	v_mov_b32_e32 v2, 1
	ds_write_b32 v0, v2
	s_trap 2
.LBB4_3323:                             ;   in Loop: Header=BB4_3264 Depth=2
	s_or_b64 exec, exec, s[64:65]
	;;#ASMSTART
	s_wakeup
	;;#ASMEND
.LBB4_3324:                             ;   in Loop: Header=BB4_3264 Depth=2
	s_or_b64 exec, exec, s[34:35]
.LBB4_3325:                             ;   in Loop: Header=BB4_3264 Depth=2
	s_andn2_saveexec_b64 vcc, s[30:31]
	s_cbranch_execz .LBB4_3327
; %bb.3326:                             ;   in Loop: Header=BB4_3264 Depth=2
	s_waitcnt vmcnt(0) lgkmcnt(0)
	buffer_wbinvl1_vol
	s_barrier
.LBB4_3327:                             ;   in Loop: Header=BB4_3264 Depth=2
	s_or_b64 exec, exec, vcc
.LBB4_3328:                             ;   in Loop: Header=BB4_3264 Depth=2
	s_or_b64 exec, exec, s[28:29]
	s_trap 2
	s_waitcnt lgkmcnt(0)
	ds_read_b64 v[2:3], v0
	v_mov_b32_e32 v31, 0
	s_waitcnt lgkmcnt(0)
	v_readfirstlane_b32 s28, v2
	v_readfirstlane_b32 s29, v3
	s_cmp_eq_u64 s[28:29], 0
	s_cselect_b64 s[28:29], -1, 0
	s_or_b64 s[28:29], s[28:29], s[28:29]
	s_and_b64 vcc, exec, s[28:29]
	s_cbranch_vccnz .LBB4_3337
; %bb.3329:                             ;   in Loop: Header=BB4_3264 Depth=2
	s_trap 2
	ds_read_b64 v[2:3], v0
	v_cmp_eq_u32_e32 vcc, 0, v0
	v_accvgpr_read_b32 v0, a54
	v_cndmask_b32_e32 v31, 0, v0, vcc
	s_waitcnt lgkmcnt(0)
	v_cmp_ne_u64_e32 vcc, 0, v[2:3]
	v_readfirstlane_b32 s85, v2
	s_cbranch_vccz .LBB4_3349
; %bb.3330:                             ;   in Loop: Header=BB4_3264 Depth=2
	s_mov_b64 s[30:31], -1
	s_and_saveexec_b64 s[28:29], s[22:23]
	s_cbranch_execz .LBB4_3332
; %bb.3331:                             ;   in Loop: Header=BB4_3264 Depth=2
	ds_read_b32 v0, v0 offset:720
	s_waitcnt lgkmcnt(0)
	v_and_b32_e32 v0, 15, v0
	v_cmp_eq_u32_e32 vcc, 0, v0
	s_orn2_b64 s[30:31], vcc, exec
.LBB4_3332:                             ;   in Loop: Header=BB4_3264 Depth=2
	s_or_b64 exec, exec, s[28:29]
	s_and_saveexec_b64 s[28:29], s[22:23]
	s_cbranch_execz .LBB4_3334
; %bb.3333:                             ;   in Loop: Header=BB4_3264 Depth=2
	ds_read_b32 v0, v0 offset:784
	s_waitcnt lgkmcnt(0)
	v_and_b32_e32 v0, 15, v0
	v_cmp_eq_u32_e32 vcc, 0, v0
	s_and_b64 vcc, s[30:31], vcc
	s_andn2_b64 s[30:31], s[30:31], exec
	s_and_b64 vcc, vcc, exec
	s_or_b64 s[30:31], s[30:31], vcc
.LBB4_3334:                             ;   in Loop: Header=BB4_3264 Depth=2
	s_or_b64 exec, exec, s[28:29]
	s_xor_b64 vcc, s[30:31], -1
	v_cndmask_b32_e64 v0, 0, 1, vcc
	;;#ASMSTART
	;;#ASMEND
	s_mov_b64 s[28:29], -1
	v_cmp_ne_u32_e32 vcc, 0, v0
	v_mov_b32_e32 v0, 0
	v_mov_b32_e32 v7, v31
	v_accvgpr_read_b32 v30, a1
	v_accvgpr_read_b32 v4, a31
	s_cbranch_vccz .LBB4_3350
; %bb.3335:                             ;   in Loop: Header=BB4_3264 Depth=2
	s_and_saveexec_b64 s[64:65], s[28:29]
	s_cbranch_execnz .LBB4_5703
.LBB4_3336:                             ;   in Loop: Header=BB4_3264 Depth=2
	s_or_b64 exec, exec, s[64:65]
.LBB4_3337:                             ;   in Loop: Header=BB4_3264 Depth=2
	s_and_saveexec_b64 s[28:29], s[10:11]
	s_cbranch_execz .LBB4_4896
.LBB4_3338:                             ;   in Loop: Header=BB4_3264 Depth=2
	s_and_saveexec_b64 vcc, s[44:45]
	s_xor_b64 s[30:31], exec, vcc
	s_cbranch_execz .LBB4_4893
; %bb.3339:                             ;   in Loop: Header=BB4_3264 Depth=2
	s_and_saveexec_b64 s[34:35], s[16:17]
	s_cbranch_execz .LBB4_4892
; %bb.3340:                             ;   in Loop: Header=BB4_3264 Depth=2
	s_mov_b64 s[66:67], exec
	v_mbcnt_lo_u32_b32 v0, s66, 0
	v_mbcnt_hi_u32_b32 v0, s67, v0
	v_cmp_eq_u32_e32 vcc, 0, v0
	s_waitcnt vmcnt(0) lgkmcnt(0)
	buffer_wbinvl1_vol
	s_and_saveexec_b64 s[64:65], vcc
	s_cbranch_execz .LBB4_3342
; %bb.3341:                             ;   in Loop: Header=BB4_3264 Depth=2
	s_bcnt1_i32_b64 s26, s[66:67]
	v_mov_b32_e32 v42, s26
	ds_add_u64 v0, v[42:43]
	s_trap 2
.LBB4_3342:                             ;   in Loop: Header=BB4_3264 Depth=2
	s_or_b64 exec, exec, s[64:65]
	s_trap 2
	ds_read_b64 v[2:3], v0
	v_accvgpr_read_b32 v4, a14
	v_accvgpr_read_b32 v5, a15
	v_add_co_u32_e32 v4, vcc, v4, v46
	v_addc_co_u32_e32 v5, vcc, 0, v5, vcc
	v_accvgpr_write_b32 a15, v5
	v_accvgpr_write_b32 a14, v4
	s_waitcnt lgkmcnt(0)
	v_cmp_lt_u64_e32 vcc, v[2:3], v[4:5]
	s_and_saveexec_b64 s[64:65], vcc
	s_cbranch_execz .LBB4_4891
; %bb.3343:                             ;   in Loop: Header=BB4_3264 Depth=2
	s_mov_b32 s76, 0
	s_mov_b64 s[66:67], 0
                                        ; implicit-def: $sgpr68_sgpr69
                                        ; implicit-def: $sgpr70_sgpr71
	s_branch .LBB4_3345
.LBB4_3344:                             ;   in Loop: Header=BB4_3345 Depth=3
	s_or_b64 exec, exec, s[74:75]
	s_and_b64 s[26:27], exec, vcc
	s_or_b64 s[66:67], s[26:27], s[66:67]
	s_andn2_b64 s[26:27], s[68:69], exec
	s_and_b64 vcc, s[70:71], exec
	s_or_b64 s[68:69], s[26:27], vcc
	s_andn2_b64 exec, exec, s[66:67]
	s_cbranch_execz .LBB4_4889
.LBB4_3345:                             ;   Parent Loop BB4_47 Depth=1
                                        ;     Parent Loop BB4_3264 Depth=2
                                        ; =>    This Inner Loop Header: Depth=3
	s_add_i32 s76, s76, 1
	s_cmpk_lg_i32 s76, 0x2710
	s_cselect_b64 s[72:73], -1, 0
	s_and_b64 vcc, exec, s[72:73]
                                        ; implicit-def: $sgpr74_sgpr75
	s_cbranch_vccnz .LBB4_3347
; %bb.3346:                             ;   in Loop: Header=BB4_3345 Depth=3
	s_trap 2
	ds_read_b64 v[2:3], v0
	s_andn2_b64 s[72:73], s[72:73], exec
	s_mov_b32 s76, 0
	s_mov_b64 s[74:75], -1
	s_waitcnt lgkmcnt(0)
	flat_load_dword v0, v[2:3] glc
	s_waitcnt vmcnt(0) lgkmcnt(0)
	buffer_invl2
	buffer_wbinvl1_vol
	v_cmp_eq_u32_e32 vcc, 0, v0
	s_and_b64 vcc, vcc, exec
	s_or_b64 s[72:73], s[72:73], vcc
.LBB4_3347:                             ;   in Loop: Header=BB4_3345 Depth=3
	s_andn2_b64 s[70:71], s[70:71], exec
	s_and_b64 s[74:75], s[74:75], exec
	s_mov_b64 vcc, -1
	s_or_b64 s[70:71], s[70:71], s[74:75]
	s_and_saveexec_b64 s[74:75], s[72:73]
	s_cbranch_execz .LBB4_3344
; %bb.3348:                             ;   in Loop: Header=BB4_3345 Depth=3
	s_sleep 1
	s_trap 2
	ds_read_b64 v[2:3], v0
	v_accvgpr_read_b32 v4, a14
	v_accvgpr_read_b32 v5, a15
	s_andn2_b64 s[70:71], s[70:71], exec
	s_waitcnt lgkmcnt(0)
	v_cmp_ge_u64_e32 vcc, v[2:3], v[4:5]
	s_orn2_b64 vcc, vcc, exec
	s_branch .LBB4_3344
.LBB4_3349:                             ;   in Loop: Header=BB4_3264 Depth=2
	s_cbranch_execnz .LBB4_6182
	s_branch .LBB4_3337
.LBB4_3350:                             ;   in Loop: Header=BB4_3264 Depth=2
	v_mov_b32_e32 v2, v31
	v_ashrrev_i32_e32 v0, 31, v2
	v_lshrrev_b32_e32 v0, 21, v0
	v_add_u32_e32 v0, v2, v0
	v_ashrrev_i32_e32 v2, 11, v0
	v_accvgpr_read_b32 v0, a31
	v_sub_u32_e32 v44, v2, v0
	v_cmp_lt_i32_e32 vcc, 0, v44
	s_and_saveexec_b64 s[34:35], vcc
	s_cbranch_execz .LBB4_4924
; %bb.3351:                             ;   in Loop: Header=BB4_3264 Depth=2
	v_accvgpr_write_b32 a59, v2
	s_trap 2
	ds_read_b128 v[2:5], v0
	v_accvgpr_read_b32 v8, a44
	v_accvgpr_read_b32 v9, a45
	s_bitcmp1_b32 s85, 0
	s_mov_b64 s[64:65], 0
	s_waitcnt lgkmcnt(0)
	v_add_co_u32_e32 v28, vcc, v2, v8
	v_addc_co_u32_e32 v29, vcc, v3, v9, vcc
	v_add_co_u32_e32 v24, vcc, v4, v8
	v_addc_co_u32_e32 v25, vcc, v5, v9, vcc
	s_cselect_b64 s[66:67], -1, 0
	v_pk_mov_b32 v[4:5], v[28:29], v[28:29] op_sel:[0,1]
	v_pk_mov_b32 v[40:41], v[24:25], v[24:25] op_sel:[0,1]
	s_branch .LBB4_3353
.LBB4_3352:                             ;   in Loop: Header=BB4_3353 Depth=3
	s_or_b64 exec, exec, s[28:29]
	v_lshlrev_b32_e32 v9, 16, v52
	v_lshlrev_b32_e32 v10, 8, v39
	v_perm_b32 v9, v38, v9, s82
	v_perm_b32 v10, v10, v58, s9
	v_or_b32_e32 v51, v9, v10
	v_and_b32_e32 v9, 0xff, v47
	v_accvgpr_read_b32 v10, a60
	v_lshlrev_b32_e32 v11, 8, v57
	v_lshlrev_b32_e32 v10, 24, v10
	;; [unrolled: 1-line block ×3, first 2 shown]
	v_perm_b32 v11, v11, v56, s9
	v_or3_b32 v50, v10, v9, v11
	v_and_b32_e32 v9, 0xff, v45
	v_lshlrev_b32_e32 v10, 8, v59
	v_lshlrev_b32_e32 v3, 24, v3
	;; [unrolled: 1-line block ×3, first 2 shown]
	v_perm_b32 v10, v10, v53, s9
	v_or3_b32 v52, v3, v9, v10
	v_lshlrev_b32_e32 v3, 8, v26
	v_perm_b32 v2, v3, v2, s9
	v_lshlrev_b32_e32 v3, 16, v27
	v_perm_b32 v3, v22, v3, s82
	v_or_b32_e32 v53, v3, v2
	v_lshlrev_b32_e32 v2, 16, v19
	v_lshlrev_b32_e32 v0, 8, v0
	v_perm_b32 v2, v18, v2, s82
	v_perm_b32 v0, v0, v60, s9
	v_or_b32_e32 v11, v2, v0
	v_and_b32_e32 v0, 0xff, v7
	v_lshlrev_b32_e32 v3, 8, v46
	v_lshlrev_b32_e32 v2, 24, v30
	;; [unrolled: 1-line block ×3, first 2 shown]
	v_perm_b32 v3, v3, v23, s9
	v_or3_b32 v10, v2, v0, v3
	v_and_b32_e32 v0, 0xff, v55
	v_lshlrev_b32_e32 v3, 8, v21
	v_lshlrev_b32_e32 v2, 24, v36
	;; [unrolled: 1-line block ×3, first 2 shown]
	v_perm_b32 v3, v3, v20, s9
	v_or3_b32 v12, v2, v0, v3
	v_lshlrev_b32_e32 v0, 8, v13
	v_lshlrev_b32_e32 v2, 16, v16
	v_perm_b32 v0, v0, v37, s9
	v_perm_b32 v2, v8, v2, s82
	v_accvgpr_read_b32 v58, a33
	v_or_b32_e32 v13, v2, v0
	v_add_co_u32_e32 v28, vcc, v28, v58
	v_accvgpr_read_b32 v0, a34
	v_addc_co_u32_e32 v29, vcc, v29, v0, vcc
	v_add_co_u32_e32 v24, vcc, v24, v58
	v_addc_co_u32_e32 v25, vcc, v25, v0, vcc
	global_store_dwordx4 v[4:5], v[50:53], off glc slc
	global_store_dwordx4 v[4:5], v[10:13], off offset:1024 glc slc
	global_store_dwordx4 v[40:41], v[50:53], off glc slc
	global_store_dwordx4 v[40:41], v[10:13], off offset:1024 glc slc
	v_add_co_u32_e32 v4, vcc, v4, v58
	v_accvgpr_read_b32 v46, a24
	v_addc_co_u32_e32 v5, vcc, v5, v0, vcc
	v_sub_u32_e32 v44, v44, v46
	v_cmp_gt_i32_e32 vcc, 1, v44
	s_or_b64 s[64:65], vcc, s[64:65]
	v_add_co_u32_e32 v40, vcc, v40, v58
	v_addc_co_u32_e32 v41, vcc, v41, v0, vcc
	s_andn2_b64 exec, exec, s[64:65]
	s_cbranch_execz .LBB4_4923
.LBB4_3353:                             ;   Parent Loop BB4_47 Depth=1
                                        ;     Parent Loop BB4_3264 Depth=2
                                        ; =>    This Inner Loop Header: Depth=3
	global_load_dwordx4 v[20:23], v[28:29], off glc slc
	global_load_dwordx4 v[12:15], v[28:29], off offset:1024 glc slc
	global_load_dwordx4 v[16:19], v[24:25], off glc slc
	global_load_dwordx4 v[8:11], v[24:25], off offset:1024 glc slc
	s_and_b64 vcc, exec, s[66:67]
	s_waitcnt vmcnt(0)
	v_cmp_ne_u16_sdwa s[28:29], v20, v43 src0_sel:BYTE_0 src1_sel:DWORD
	s_cbranch_vccz .LBB4_3371
; %bb.3354:                             ;   in Loop: Header=BB4_3353 Depth=3
	v_mov_b32_e32 v2, 0
	v_mov_b32_e32 v0, 0
	s_and_saveexec_b64 s[30:31], s[28:29]
	s_cbranch_execz .LBB4_3362
; %bb.3355:                             ;   in Loop: Header=BB4_3353 Depth=3
	v_cmp_ne_u16_sdwa vcc, sext(v20), s94 src0_sel:BYTE_0 src1_sel:DWORD
	v_bfrev_b32_e32 v0, 1
	s_and_saveexec_b64 s[68:69], vcc
	s_cbranch_execz .LBB4_3361
; %bb.3356:                             ;   in Loop: Header=BB4_3353 Depth=3
	v_and_b32_e32 v0, 0x7c, v20
	v_and_b32_e32 v3, 3, v20
	v_cmp_ne_u32_e32 vcc, s95, v0
                                        ; implicit-def: $vgpr0
	s_and_saveexec_b64 s[70:71], vcc
	s_xor_b64 s[70:71], exec, s[70:71]
	s_cbranch_execz .LBB4_3358
; %bb.3357:                             ;   in Loop: Header=BB4_3353 Depth=3
	v_ffbh_u32_e32 v7, v3
	v_min_u32_e32 v7, 32, v7
	v_subrev_u32_e32 v26, 29, v7
	v_bfe_u32 v0, v20, 2, 5
	v_lshlrev_b64 v[26:27], v26, v[20:21]
	v_sub_u32_e32 v7, 30, v7
	v_and_b32_e32 v26, 3, v26
	v_cmp_eq_u32_e32 vcc, 0, v0
	v_cndmask_b32_e32 v0, v0, v7, vcc
	v_cndmask_b32_e32 v3, v3, v26, vcc
	v_bfrev_b32_e32 v26, 28
	v_lshlrev_b32_e32 v7, 24, v20
	v_lshl_add_u32 v0, v0, 23, v26
	v_and_or_b32 v0, v7, s96, v0
	v_lshl_or_b32 v0, v3, 21, v0
                                        ; implicit-def: $vgpr3
.LBB4_3358:                             ;   in Loop: Header=BB4_3353 Depth=3
	s_andn2_saveexec_b64 s[70:71], s[70:71]
; %bb.3359:                             ;   in Loop: Header=BB4_3353 Depth=3
	v_mov_b32_e32 v0, -1
	v_cmp_gt_i16_sdwa vcc, sext(v20), v0 src0_sel:BYTE_0 src1_sel:DWORD
	v_cndmask_b32_e32 v0, v6, v1, vcc
	v_cmp_eq_u32_e32 vcc, 0, v3
	v_mov_b32_e32 v3, 0x7f800001
	v_cndmask_b32_e32 v0, v3, v0, vcc
; %bb.3360:                             ;   in Loop: Header=BB4_3353 Depth=3
	s_or_b64 exec, exec, s[70:71]
.LBB4_3361:                             ;   in Loop: Header=BB4_3353 Depth=3
	s_or_b64 exec, exec, s[68:69]
.LBB4_3362:                             ;   in Loop: Header=BB4_3353 Depth=3
	s_or_b64 exec, exec, s[30:31]
	v_cmp_ne_u16_sdwa vcc, sext(v16), v43 src0_sel:BYTE_0 src1_sel:DWORD
	s_and_saveexec_b64 s[30:31], vcc
	s_cbranch_execz .LBB4_3370
; %bb.3363:                             ;   in Loop: Header=BB4_3353 Depth=3
	v_cmp_ne_u16_sdwa vcc, sext(v16), s94 src0_sel:BYTE_0 src1_sel:DWORD
	v_bfrev_b32_e32 v2, 1
	s_and_saveexec_b64 s[68:69], vcc
	s_cbranch_execz .LBB4_3369
; %bb.3364:                             ;   in Loop: Header=BB4_3353 Depth=3
	v_and_b32_e32 v2, 0x7c, v16
	v_and_b32_e32 v3, 3, v16
	v_cmp_ne_u32_e32 vcc, s95, v2
                                        ; implicit-def: $vgpr2
	s_and_saveexec_b64 s[70:71], vcc
	s_xor_b64 s[70:71], exec, s[70:71]
	s_cbranch_execz .LBB4_3366
; %bb.3365:                             ;   in Loop: Header=BB4_3353 Depth=3
	v_ffbh_u32_e32 v7, v3
	v_min_u32_e32 v7, 32, v7
	v_subrev_u32_e32 v26, 29, v7
	v_bfe_u32 v2, v16, 2, 5
	v_lshlrev_b64 v[26:27], v26, v[16:17]
	v_sub_u32_e32 v7, 30, v7
	v_and_b32_e32 v26, 3, v26
	v_cmp_eq_u32_e32 vcc, 0, v2
	v_cndmask_b32_e32 v2, v2, v7, vcc
	v_cndmask_b32_e32 v3, v3, v26, vcc
	v_bfrev_b32_e32 v26, 28
	v_lshlrev_b32_e32 v7, 24, v16
	v_lshl_add_u32 v2, v2, 23, v26
	v_and_or_b32 v2, v7, s96, v2
	v_lshl_or_b32 v2, v3, 21, v2
                                        ; implicit-def: $vgpr3
.LBB4_3366:                             ;   in Loop: Header=BB4_3353 Depth=3
	s_andn2_saveexec_b64 s[70:71], s[70:71]
; %bb.3367:                             ;   in Loop: Header=BB4_3353 Depth=3
	v_mov_b32_e32 v2, -1
	v_cmp_gt_i16_sdwa vcc, sext(v16), v2 src0_sel:BYTE_0 src1_sel:DWORD
	v_cndmask_b32_e32 v2, v6, v1, vcc
	v_cmp_eq_u32_e32 vcc, 0, v3
	v_mov_b32_e32 v3, 0x7f800001
	v_cndmask_b32_e32 v2, v3, v2, vcc
; %bb.3368:                             ;   in Loop: Header=BB4_3353 Depth=3
	s_or_b64 exec, exec, s[70:71]
.LBB4_3369:                             ;   in Loop: Header=BB4_3353 Depth=3
	s_or_b64 exec, exec, s[68:69]
.LBB4_3370:                             ;   in Loop: Header=BB4_3353 Depth=3
	s_or_b64 exec, exec, s[30:31]
	v_max_f32_e32 v2, v2, v2
	v_max_f32_e32 v0, v0, v0
	;; [unrolled: 1-line block ×3, first 2 shown]
	s_branch .LBB4_3389
.LBB4_3371:                             ;   in Loop: Header=BB4_3353 Depth=3
                                        ; implicit-def: $vgpr2
	s_cbranch_execz .LBB4_3389
; %bb.3372:                             ;   in Loop: Header=BB4_3353 Depth=3
	v_mov_b32_e32 v2, 0
	v_mov_b32_e32 v0, 0
	s_and_saveexec_b64 s[30:31], s[28:29]
	s_cbranch_execz .LBB4_3380
; %bb.3373:                             ;   in Loop: Header=BB4_3353 Depth=3
	v_cmp_ne_u16_sdwa vcc, sext(v20), s94 src0_sel:BYTE_0 src1_sel:DWORD
	v_bfrev_b32_e32 v0, 1
	s_and_saveexec_b64 s[28:29], vcc
	s_cbranch_execz .LBB4_3379
; %bb.3374:                             ;   in Loop: Header=BB4_3353 Depth=3
	v_and_b32_e32 v0, 0x7c, v20
	v_and_b32_e32 v3, 3, v20
	v_cmp_ne_u32_e32 vcc, s95, v0
                                        ; implicit-def: $vgpr0
	s_and_saveexec_b64 s[68:69], vcc
	s_xor_b64 s[68:69], exec, s[68:69]
	s_cbranch_execz .LBB4_3376
; %bb.3375:                             ;   in Loop: Header=BB4_3353 Depth=3
	v_ffbh_u32_e32 v7, v3
	v_min_u32_e32 v7, 32, v7
	v_subrev_u32_e32 v26, 29, v7
	v_bfe_u32 v0, v20, 2, 5
	v_lshlrev_b64 v[26:27], v26, v[20:21]
	v_sub_u32_e32 v7, 30, v7
	v_and_b32_e32 v26, 3, v26
	v_cmp_eq_u32_e32 vcc, 0, v0
	v_cndmask_b32_e32 v0, v0, v7, vcc
	v_cndmask_b32_e32 v3, v3, v26, vcc
	v_bfrev_b32_e32 v26, 28
	v_lshlrev_b32_e32 v7, 24, v20
	v_lshl_add_u32 v0, v0, 23, v26
	v_and_or_b32 v0, v7, s96, v0
	v_lshl_or_b32 v0, v3, 21, v0
                                        ; implicit-def: $vgpr3
.LBB4_3376:                             ;   in Loop: Header=BB4_3353 Depth=3
	s_andn2_saveexec_b64 s[68:69], s[68:69]
; %bb.3377:                             ;   in Loop: Header=BB4_3353 Depth=3
	v_mov_b32_e32 v0, -1
	v_cmp_gt_i16_sdwa vcc, sext(v20), v0 src0_sel:BYTE_0 src1_sel:DWORD
	v_cndmask_b32_e32 v0, v6, v1, vcc
	v_cmp_eq_u32_e32 vcc, 0, v3
	v_mov_b32_e32 v3, 0x7f800001
	v_cndmask_b32_e32 v0, v3, v0, vcc
; %bb.3378:                             ;   in Loop: Header=BB4_3353 Depth=3
	s_or_b64 exec, exec, s[68:69]
.LBB4_3379:                             ;   in Loop: Header=BB4_3353 Depth=3
	s_or_b64 exec, exec, s[28:29]
.LBB4_3380:                             ;   in Loop: Header=BB4_3353 Depth=3
	s_or_b64 exec, exec, s[30:31]
	v_cmp_ne_u16_sdwa vcc, sext(v16), v43 src0_sel:BYTE_0 src1_sel:DWORD
	s_and_saveexec_b64 s[28:29], vcc
	s_cbranch_execz .LBB4_3388
; %bb.3381:                             ;   in Loop: Header=BB4_3353 Depth=3
	v_cmp_ne_u16_sdwa vcc, sext(v16), s94 src0_sel:BYTE_0 src1_sel:DWORD
	v_bfrev_b32_e32 v2, 1
	s_and_saveexec_b64 s[30:31], vcc
	s_cbranch_execz .LBB4_3387
; %bb.3382:                             ;   in Loop: Header=BB4_3353 Depth=3
	v_and_b32_e32 v2, 0x7c, v16
	v_and_b32_e32 v3, 3, v16
	v_cmp_ne_u32_e32 vcc, s95, v2
                                        ; implicit-def: $vgpr2
	s_and_saveexec_b64 s[68:69], vcc
	s_xor_b64 s[68:69], exec, s[68:69]
	s_cbranch_execz .LBB4_3384
; %bb.3383:                             ;   in Loop: Header=BB4_3353 Depth=3
	v_ffbh_u32_e32 v7, v3
	v_min_u32_e32 v7, 32, v7
	v_subrev_u32_e32 v26, 29, v7
	v_bfe_u32 v2, v16, 2, 5
	v_lshlrev_b64 v[26:27], v26, v[16:17]
	v_sub_u32_e32 v7, 30, v7
	v_and_b32_e32 v26, 3, v26
	v_cmp_eq_u32_e32 vcc, 0, v2
	v_cndmask_b32_e32 v2, v2, v7, vcc
	v_cndmask_b32_e32 v3, v3, v26, vcc
	v_bfrev_b32_e32 v26, 28
	v_lshlrev_b32_e32 v7, 24, v16
	v_lshl_add_u32 v2, v2, 23, v26
	v_and_or_b32 v2, v7, s96, v2
	v_lshl_or_b32 v2, v3, 21, v2
                                        ; implicit-def: $vgpr3
.LBB4_3384:                             ;   in Loop: Header=BB4_3353 Depth=3
	s_andn2_saveexec_b64 s[68:69], s[68:69]
; %bb.3385:                             ;   in Loop: Header=BB4_3353 Depth=3
	v_mov_b32_e32 v2, -1
	v_cmp_gt_i16_sdwa vcc, sext(v16), v2 src0_sel:BYTE_0 src1_sel:DWORD
	v_cndmask_b32_e32 v2, v6, v1, vcc
	v_cmp_eq_u32_e32 vcc, 0, v3
	v_mov_b32_e32 v3, 0x7f800001
	v_cndmask_b32_e32 v2, v3, v2, vcc
; %bb.3386:                             ;   in Loop: Header=BB4_3353 Depth=3
	s_or_b64 exec, exec, s[68:69]
.LBB4_3387:                             ;   in Loop: Header=BB4_3353 Depth=3
	s_or_b64 exec, exec, s[30:31]
.LBB4_3388:                             ;   in Loop: Header=BB4_3353 Depth=3
	s_or_b64 exec, exec, s[28:29]
	v_max_f32_e32 v2, v2, v2
	v_max_f32_e32 v0, v0, v0
	v_min_f32_e32 v2, v0, v2
.LBB4_3389:                             ;   in Loop: Header=BB4_3353 Depth=3
	v_and_b32_sdwa v0, v2, s97 dst_sel:DWORD dst_unused:UNUSED_PAD src0_sel:BYTE_3 src1_sel:DWORD
	v_and_b32_e32 v26, 0x7f800000, v2
	v_mov_b32_e32 v27, v43
	v_and_b32_e32 v42, 0x7fffff, v2
	v_or_b32_e32 v56, 0x7b, v0
	v_cmp_ne_u64_e32 vcc, s[52:53], v[26:27]
	s_and_saveexec_b64 s[28:29], vcc
	s_xor_b64 s[30:31], exec, s[28:29]
	s_cbranch_execz .LBB4_3399
; %bb.3390:                             ;   in Loop: Header=BB4_3353 Depth=3
	v_and_b32_e32 v26, 0x7fffffff, v2
	v_mov_b32_e32 v27, v43
	v_cmp_gt_u64_e32 vcc, s[54:55], v[26:27]
	s_and_saveexec_b64 s[68:69], vcc
	s_cbranch_execz .LBB4_3398
; %bb.3391:                             ;   in Loop: Header=BB4_3353 Depth=3
	v_cmp_ne_u32_e32 vcc, 0, v2
	v_mov_b32_e32 v56, 0
	s_and_saveexec_b64 s[70:71], vcc
	s_cbranch_execz .LBB4_3397
; %bb.3392:                             ;   in Loop: Header=BB4_3353 Depth=3
	v_bfe_u32 v2, v2, 23, 8
	v_sub_u32_e32 v7, 0x71, v2
	v_cmp_gt_u32_e32 vcc, s38, v2
	v_add_u32_e32 v3, 0xffffff81, v2
	v_cndmask_b32_e32 v7, 0, v7, vcc
	v_cmp_eq_u32_e32 vcc, 0, v2
	v_mov_b32_e32 v2, 0xffffff82
	v_cndmask_b32_e32 v30, v3, v2, vcc
	v_mov_b32_e32 v2, 0x70
	v_cndmask_b32_e32 v7, v7, v2, vcc
	v_add_u32_e32 v2, 21, v7
	v_or_b32_e32 v26, 0x800000, v42
	v_lshlrev_b64 v[2:3], v2, -1
	v_cndmask_b32_e32 v42, v26, v42, vcc
	v_not_b32_e32 v2, v2
	v_and_b32_e32 v26, v42, v2
	v_add_u32_e32 v2, 20, v7
	v_lshrrev_b64 v[38:39], v7, v[42:43]
	v_not_b32_e32 v3, v3
	v_lshlrev_b64 v[36:37], v2, 1
	v_lshrrev_b32_e32 v2, 23, v38
	v_and_b32_e32 v27, 0, v3
	v_add3_u32 v7, v7, v30, v2
	v_bfe_u32 v2, v38, 21, 1
	v_add_u32_e32 v2, -1, v2
	v_cmp_eq_u64_e32 vcc, v[26:27], v[36:37]
	v_cndmask_b32_e32 v2, 0, v2, vcc
	v_add_u32_e32 v2, v2, v38
	v_and_b32_e32 v2, 0x1fffff, v2
	v_add_co_u32_e32 v26, vcc, v2, v38
	v_add_u32_e32 v3, 14, v7
	v_addc_co_u32_e32 v27, vcc, 0, v39, vcc
	v_cmp_ne_u32_e32 vcc, 0, v3
                                        ; implicit-def: $vgpr2
	s_and_saveexec_b64 s[28:29], vcc
	s_xor_b64 s[28:29], exec, s[28:29]
; %bb.3393:                             ;   in Loop: Header=BB4_3353 Depth=3
	v_add_u32_e32 v2, 15, v7
	v_cmp_lt_u64_e32 vcc, s[56:57], v[26:27]
	v_cndmask_b32_e32 v2, v3, v2, vcc
	v_cndmask_b32_e64 v3, 0, 1, vcc
	v_lshrrev_b64 v[26:27], v3, v[26:27]
; %bb.3394:                             ;   in Loop: Header=BB4_3353 Depth=3
	s_andn2_saveexec_b64 s[28:29], s[28:29]
; %bb.3395:                             ;   in Loop: Header=BB4_3353 Depth=3
	v_bfe_u32 v2, v26, 23, 1
; %bb.3396:                             ;   in Loop: Header=BB4_3353 Depth=3
	s_or_b64 exec, exec, s[28:29]
	v_lshrrev_b64 v[26:27], 21, v[26:27]
	v_cmp_gt_i32_e32 vcc, 32, v2
	v_cndmask_b32_e32 v27, 0, v27, vcc
	v_cndmask_b32_e32 v26, 3, v26, vcc
	v_cmp_eq_u32_e32 vcc, 0, v2
	v_min_i32_e32 v2, 31, v2
	v_cmp_eq_u64_e64 s[28:29], 0, v[26:27]
	v_lshlrev_b32_e32 v2, 2, v2
	v_and_or_b32 v2, v26, 3, v2
	s_and_b64 s[28:29], vcc, s[28:29]
	v_cndmask_b32_e64 v2, v2, 0, s[28:29]
	v_or_b32_e32 v56, v2, v0
.LBB4_3397:                             ;   in Loop: Header=BB4_3353 Depth=3
	s_or_b64 exec, exec, s[70:71]
.LBB4_3398:                             ;   in Loop: Header=BB4_3353 Depth=3
	s_or_b64 exec, exec, s[68:69]
                                        ; implicit-def: $vgpr2
.LBB4_3399:                             ;   in Loop: Header=BB4_3353 Depth=3
	s_andn2_saveexec_b64 s[28:29], s[30:31]
; %bb.3400:                             ;   in Loop: Header=BB4_3353 Depth=3
	v_or_b32_sdwa v0, v2, s39 dst_sel:DWORD dst_unused:UNUSED_PAD src0_sel:BYTE_3 src1_sel:DWORD
	v_cmp_eq_u64_e32 vcc, 0, v[42:43]
	v_cndmask_b32_e32 v56, v0, v56, vcc
; %bb.3401:                             ;   in Loop: Header=BB4_3353 Depth=3
	s_or_b64 exec, exec, s[28:29]
	v_lshrrev_b16_e32 v42, 8, v20
	v_lshrrev_b16_e32 v26, 8, v16
	v_cmp_ne_u16_e64 s[28:29], 0, v42
	s_and_b64 vcc, exec, s[66:67]
	s_cbranch_vccz .LBB4_3419
; %bb.3402:                             ;   in Loop: Header=BB4_3353 Depth=3
	v_mov_b32_e32 v2, 0
	v_mov_b32_e32 v0, 0
	s_and_saveexec_b64 s[30:31], s[28:29]
	s_cbranch_execz .LBB4_3410
; %bb.3403:                             ;   in Loop: Header=BB4_3353 Depth=3
	v_cmp_ne_u16_e32 vcc, s97, v42
	v_bfrev_b32_e32 v0, 1
	s_and_saveexec_b64 s[68:69], vcc
	s_cbranch_execz .LBB4_3409
; %bb.3404:                             ;   in Loop: Header=BB4_3353 Depth=3
	v_and_b32_e32 v0, 0x7c, v42
	v_and_b32_e32 v3, 3, v42
	v_cmp_ne_u32_e32 vcc, s95, v0
                                        ; implicit-def: $vgpr0
	s_and_saveexec_b64 s[70:71], vcc
	s_xor_b64 s[70:71], exec, s[70:71]
	s_cbranch_execz .LBB4_3406
; %bb.3405:                             ;   in Loop: Header=BB4_3353 Depth=3
	v_ffbh_u32_e32 v7, v3
	v_min_u32_e32 v7, 32, v7
	v_subrev_u32_e32 v27, 29, v7
	v_bfe_u32 v0, v42, 2, 5
	v_lshlrev_b64 v[36:37], v27, v[42:43]
	v_sub_u32_e32 v7, 30, v7
	v_and_b32_e32 v27, 3, v36
	v_cmp_eq_u32_e32 vcc, 0, v0
	v_cndmask_b32_e32 v0, v0, v7, vcc
	v_cndmask_b32_e32 v3, v3, v27, vcc
	v_bfrev_b32_e32 v27, 28
	v_lshlrev_b32_e32 v7, 16, v20
	v_lshl_add_u32 v0, v0, 23, v27
	v_and_or_b32 v0, v7, s96, v0
	v_lshl_or_b32 v0, v3, 21, v0
                                        ; implicit-def: $vgpr3
.LBB4_3406:                             ;   in Loop: Header=BB4_3353 Depth=3
	s_andn2_saveexec_b64 s[70:71], s[70:71]
; %bb.3407:                             ;   in Loop: Header=BB4_3353 Depth=3
	v_cmp_lt_i16_e32 vcc, -1, v20
	v_cndmask_b32_e32 v0, v6, v1, vcc
	v_cmp_eq_u32_e32 vcc, 0, v3
	v_mov_b32_e32 v3, 0x7f800001
	v_cndmask_b32_e32 v0, v3, v0, vcc
; %bb.3408:                             ;   in Loop: Header=BB4_3353 Depth=3
	s_or_b64 exec, exec, s[70:71]
.LBB4_3409:                             ;   in Loop: Header=BB4_3353 Depth=3
	s_or_b64 exec, exec, s[68:69]
.LBB4_3410:                             ;   in Loop: Header=BB4_3353 Depth=3
	s_or_b64 exec, exec, s[30:31]
	v_cmp_ne_u16_e32 vcc, 0, v26
	s_and_saveexec_b64 s[30:31], vcc
	s_cbranch_execz .LBB4_3418
; %bb.3411:                             ;   in Loop: Header=BB4_3353 Depth=3
	v_cmp_ne_u16_e32 vcc, s97, v26
	v_bfrev_b32_e32 v2, 1
	s_and_saveexec_b64 s[68:69], vcc
	s_cbranch_execz .LBB4_3417
; %bb.3412:                             ;   in Loop: Header=BB4_3353 Depth=3
	v_and_b32_e32 v2, 0x7c, v26
	v_and_b32_e32 v3, 3, v26
	v_cmp_ne_u32_e32 vcc, s95, v2
                                        ; implicit-def: $vgpr2
	s_and_saveexec_b64 s[70:71], vcc
	s_xor_b64 s[70:71], exec, s[70:71]
	s_cbranch_execz .LBB4_3414
; %bb.3413:                             ;   in Loop: Header=BB4_3353 Depth=3
	v_ffbh_u32_e32 v7, v3
	v_min_u32_e32 v7, 32, v7
	v_mov_b32_e32 v27, v43
	v_subrev_u32_e32 v30, 29, v7
	v_bfe_u32 v2, v26, 2, 5
	v_lshlrev_b64 v[36:37], v30, v[26:27]
	v_sub_u32_e32 v7, 30, v7
	v_and_b32_e32 v27, 3, v36
	v_cmp_eq_u32_e32 vcc, 0, v2
	v_cndmask_b32_e32 v2, v2, v7, vcc
	v_cndmask_b32_e32 v3, v3, v27, vcc
	v_bfrev_b32_e32 v27, 28
	v_lshlrev_b32_e32 v7, 16, v16
	v_lshl_add_u32 v2, v2, 23, v27
	v_and_or_b32 v2, v7, s96, v2
	v_lshl_or_b32 v2, v3, 21, v2
                                        ; implicit-def: $vgpr3
.LBB4_3414:                             ;   in Loop: Header=BB4_3353 Depth=3
	s_andn2_saveexec_b64 s[70:71], s[70:71]
; %bb.3415:                             ;   in Loop: Header=BB4_3353 Depth=3
	v_cmp_lt_i16_e32 vcc, -1, v16
	v_cndmask_b32_e32 v2, v6, v1, vcc
	v_cmp_eq_u32_e32 vcc, 0, v3
	v_mov_b32_e32 v3, 0x7f800001
	v_cndmask_b32_e32 v2, v3, v2, vcc
; %bb.3416:                             ;   in Loop: Header=BB4_3353 Depth=3
	s_or_b64 exec, exec, s[70:71]
.LBB4_3417:                             ;   in Loop: Header=BB4_3353 Depth=3
	s_or_b64 exec, exec, s[68:69]
.LBB4_3418:                             ;   in Loop: Header=BB4_3353 Depth=3
	s_or_b64 exec, exec, s[30:31]
	v_max_f32_e32 v2, v2, v2
	v_max_f32_e32 v0, v0, v0
	v_max_f32_e32 v2, v0, v2
	s_branch .LBB4_3437
.LBB4_3419:                             ;   in Loop: Header=BB4_3353 Depth=3
                                        ; implicit-def: $vgpr2
	s_cbranch_execz .LBB4_3437
; %bb.3420:                             ;   in Loop: Header=BB4_3353 Depth=3
	v_mov_b32_e32 v2, 0
	v_mov_b32_e32 v0, 0
	s_and_saveexec_b64 s[30:31], s[28:29]
	s_cbranch_execz .LBB4_3428
; %bb.3421:                             ;   in Loop: Header=BB4_3353 Depth=3
	v_cmp_ne_u16_e32 vcc, s97, v42
	v_bfrev_b32_e32 v0, 1
	s_and_saveexec_b64 s[28:29], vcc
	s_cbranch_execz .LBB4_3427
; %bb.3422:                             ;   in Loop: Header=BB4_3353 Depth=3
	v_and_b32_e32 v0, 0x7c, v42
	v_and_b32_e32 v3, 3, v42
	v_cmp_ne_u32_e32 vcc, s95, v0
                                        ; implicit-def: $vgpr0
	s_and_saveexec_b64 s[68:69], vcc
	s_xor_b64 s[68:69], exec, s[68:69]
	s_cbranch_execz .LBB4_3424
; %bb.3423:                             ;   in Loop: Header=BB4_3353 Depth=3
	v_ffbh_u32_e32 v7, v3
	v_min_u32_e32 v7, 32, v7
	v_subrev_u32_e32 v27, 29, v7
	v_bfe_u32 v0, v42, 2, 5
	v_lshlrev_b64 v[36:37], v27, v[42:43]
	v_sub_u32_e32 v7, 30, v7
	v_and_b32_e32 v27, 3, v36
	v_cmp_eq_u32_e32 vcc, 0, v0
	v_cndmask_b32_e32 v0, v0, v7, vcc
	v_cndmask_b32_e32 v3, v3, v27, vcc
	v_bfrev_b32_e32 v27, 28
	v_lshlrev_b32_e32 v7, 16, v20
	v_lshl_add_u32 v0, v0, 23, v27
	v_and_or_b32 v0, v7, s96, v0
	v_lshl_or_b32 v0, v3, 21, v0
                                        ; implicit-def: $vgpr3
.LBB4_3424:                             ;   in Loop: Header=BB4_3353 Depth=3
	s_andn2_saveexec_b64 s[68:69], s[68:69]
; %bb.3425:                             ;   in Loop: Header=BB4_3353 Depth=3
	v_cmp_lt_i16_e32 vcc, -1, v20
	v_cndmask_b32_e32 v0, v6, v1, vcc
	v_cmp_eq_u32_e32 vcc, 0, v3
	v_mov_b32_e32 v3, 0x7f800001
	v_cndmask_b32_e32 v0, v3, v0, vcc
; %bb.3426:                             ;   in Loop: Header=BB4_3353 Depth=3
	s_or_b64 exec, exec, s[68:69]
.LBB4_3427:                             ;   in Loop: Header=BB4_3353 Depth=3
	s_or_b64 exec, exec, s[28:29]
.LBB4_3428:                             ;   in Loop: Header=BB4_3353 Depth=3
	s_or_b64 exec, exec, s[30:31]
	v_cmp_ne_u16_e32 vcc, 0, v26
	s_and_saveexec_b64 s[28:29], vcc
	s_cbranch_execz .LBB4_3436
; %bb.3429:                             ;   in Loop: Header=BB4_3353 Depth=3
	v_cmp_ne_u16_e32 vcc, s97, v26
	v_bfrev_b32_e32 v2, 1
	s_and_saveexec_b64 s[30:31], vcc
	s_cbranch_execz .LBB4_3435
; %bb.3430:                             ;   in Loop: Header=BB4_3353 Depth=3
	v_and_b32_e32 v2, 0x7c, v26
	v_and_b32_e32 v3, 3, v26
	v_cmp_ne_u32_e32 vcc, s95, v2
                                        ; implicit-def: $vgpr2
	s_and_saveexec_b64 s[68:69], vcc
	s_xor_b64 s[68:69], exec, s[68:69]
	s_cbranch_execz .LBB4_3432
; %bb.3431:                             ;   in Loop: Header=BB4_3353 Depth=3
	v_ffbh_u32_e32 v7, v3
	v_min_u32_e32 v7, 32, v7
	v_mov_b32_e32 v27, v43
	v_subrev_u32_e32 v30, 29, v7
	v_bfe_u32 v2, v26, 2, 5
	v_lshlrev_b64 v[26:27], v30, v[26:27]
	v_sub_u32_e32 v7, 30, v7
	v_and_b32_e32 v26, 3, v26
	v_cmp_eq_u32_e32 vcc, 0, v2
	v_cndmask_b32_e32 v2, v2, v7, vcc
	v_cndmask_b32_e32 v3, v3, v26, vcc
	v_bfrev_b32_e32 v26, 28
	v_lshlrev_b32_e32 v7, 16, v16
	v_lshl_add_u32 v2, v2, 23, v26
	v_and_or_b32 v2, v7, s96, v2
	v_lshl_or_b32 v2, v3, 21, v2
                                        ; implicit-def: $vgpr3
.LBB4_3432:                             ;   in Loop: Header=BB4_3353 Depth=3
	s_andn2_saveexec_b64 s[68:69], s[68:69]
; %bb.3433:                             ;   in Loop: Header=BB4_3353 Depth=3
	v_cmp_lt_i16_e32 vcc, -1, v16
	v_cndmask_b32_e32 v2, v6, v1, vcc
	v_cmp_eq_u32_e32 vcc, 0, v3
	v_mov_b32_e32 v3, 0x7f800001
	v_cndmask_b32_e32 v2, v3, v2, vcc
; %bb.3434:                             ;   in Loop: Header=BB4_3353 Depth=3
	s_or_b64 exec, exec, s[68:69]
.LBB4_3435:                             ;   in Loop: Header=BB4_3353 Depth=3
	s_or_b64 exec, exec, s[30:31]
.LBB4_3436:                             ;   in Loop: Header=BB4_3353 Depth=3
	s_or_b64 exec, exec, s[28:29]
	v_max_f32_e32 v2, v2, v2
	v_max_f32_e32 v0, v0, v0
	v_min_f32_e32 v2, v0, v2
.LBB4_3437:                             ;   in Loop: Header=BB4_3353 Depth=3
	v_and_b32_sdwa v0, v2, s97 dst_sel:DWORD dst_unused:UNUSED_PAD src0_sel:BYTE_3 src1_sel:DWORD
	v_and_b32_e32 v26, 0x7f800000, v2
	v_mov_b32_e32 v27, v43
	v_and_b32_e32 v42, 0x7fffff, v2
	v_or_b32_e32 v57, 0x7b, v0
	v_cmp_ne_u64_e32 vcc, s[52:53], v[26:27]
	s_and_saveexec_b64 s[28:29], vcc
	s_xor_b64 s[30:31], exec, s[28:29]
	s_cbranch_execz .LBB4_3447
; %bb.3438:                             ;   in Loop: Header=BB4_3353 Depth=3
	v_and_b32_e32 v26, 0x7fffffff, v2
	v_mov_b32_e32 v27, v43
	v_cmp_gt_u64_e32 vcc, s[54:55], v[26:27]
	s_and_saveexec_b64 s[68:69], vcc
	s_cbranch_execz .LBB4_3446
; %bb.3439:                             ;   in Loop: Header=BB4_3353 Depth=3
	v_cmp_ne_u32_e32 vcc, 0, v2
	v_mov_b32_e32 v57, 0
	s_and_saveexec_b64 s[70:71], vcc
	s_cbranch_execz .LBB4_3445
; %bb.3440:                             ;   in Loop: Header=BB4_3353 Depth=3
	v_bfe_u32 v2, v2, 23, 8
	v_sub_u32_e32 v7, 0x71, v2
	v_cmp_gt_u32_e32 vcc, s38, v2
	v_add_u32_e32 v3, 0xffffff81, v2
	v_cndmask_b32_e32 v7, 0, v7, vcc
	v_cmp_eq_u32_e32 vcc, 0, v2
	v_mov_b32_e32 v2, 0xffffff82
	v_cndmask_b32_e32 v30, v3, v2, vcc
	v_mov_b32_e32 v2, 0x70
	v_cndmask_b32_e32 v7, v7, v2, vcc
	v_add_u32_e32 v2, 21, v7
	v_or_b32_e32 v26, 0x800000, v42
	v_lshlrev_b64 v[2:3], v2, -1
	v_cndmask_b32_e32 v42, v26, v42, vcc
	v_not_b32_e32 v2, v2
	v_and_b32_e32 v26, v42, v2
	v_add_u32_e32 v2, 20, v7
	v_lshrrev_b64 v[38:39], v7, v[42:43]
	v_not_b32_e32 v3, v3
	v_lshlrev_b64 v[36:37], v2, 1
	v_lshrrev_b32_e32 v2, 23, v38
	v_and_b32_e32 v27, 0, v3
	v_add3_u32 v7, v7, v30, v2
	v_bfe_u32 v2, v38, 21, 1
	v_add_u32_e32 v2, -1, v2
	v_cmp_eq_u64_e32 vcc, v[26:27], v[36:37]
	v_cndmask_b32_e32 v2, 0, v2, vcc
	v_add_u32_e32 v2, v2, v38
	v_and_b32_e32 v2, 0x1fffff, v2
	v_add_co_u32_e32 v26, vcc, v2, v38
	v_add_u32_e32 v3, 14, v7
	v_addc_co_u32_e32 v27, vcc, 0, v39, vcc
	v_cmp_ne_u32_e32 vcc, 0, v3
                                        ; implicit-def: $vgpr2
	s_and_saveexec_b64 s[28:29], vcc
	s_xor_b64 s[28:29], exec, s[28:29]
; %bb.3441:                             ;   in Loop: Header=BB4_3353 Depth=3
	v_add_u32_e32 v2, 15, v7
	v_cmp_lt_u64_e32 vcc, s[56:57], v[26:27]
	v_cndmask_b32_e32 v2, v3, v2, vcc
	v_cndmask_b32_e64 v3, 0, 1, vcc
	v_lshrrev_b64 v[26:27], v3, v[26:27]
; %bb.3442:                             ;   in Loop: Header=BB4_3353 Depth=3
	s_andn2_saveexec_b64 s[28:29], s[28:29]
; %bb.3443:                             ;   in Loop: Header=BB4_3353 Depth=3
	v_bfe_u32 v2, v26, 23, 1
; %bb.3444:                             ;   in Loop: Header=BB4_3353 Depth=3
	s_or_b64 exec, exec, s[28:29]
	v_lshrrev_b64 v[26:27], 21, v[26:27]
	v_cmp_gt_i32_e32 vcc, 32, v2
	v_cndmask_b32_e32 v27, 0, v27, vcc
	v_cndmask_b32_e32 v26, 3, v26, vcc
	v_cmp_eq_u32_e32 vcc, 0, v2
	v_min_i32_e32 v2, 31, v2
	v_cmp_eq_u64_e64 s[28:29], 0, v[26:27]
	v_lshlrev_b32_e32 v2, 2, v2
	v_and_or_b32 v2, v26, 3, v2
	s_and_b64 s[28:29], vcc, s[28:29]
	v_cndmask_b32_e64 v2, v2, 0, s[28:29]
	v_or_b32_e32 v57, v2, v0
.LBB4_3445:                             ;   in Loop: Header=BB4_3353 Depth=3
	s_or_b64 exec, exec, s[70:71]
.LBB4_3446:                             ;   in Loop: Header=BB4_3353 Depth=3
	s_or_b64 exec, exec, s[68:69]
                                        ; implicit-def: $vgpr2
.LBB4_3447:                             ;   in Loop: Header=BB4_3353 Depth=3
	s_andn2_saveexec_b64 s[28:29], s[30:31]
; %bb.3448:                             ;   in Loop: Header=BB4_3353 Depth=3
	v_or_b32_sdwa v0, v2, s39 dst_sel:DWORD dst_unused:UNUSED_PAD src0_sel:BYTE_3 src1_sel:DWORD
	v_cmp_eq_u64_e32 vcc, 0, v[42:43]
	v_cndmask_b32_e32 v57, v0, v57, vcc
; %bb.3449:                             ;   in Loop: Header=BB4_3353 Depth=3
	s_or_b64 exec, exec, s[28:29]
	v_lshrrev_b32_e32 v38, 16, v20
	v_lshrrev_b32_e32 v26, 16, v16
	v_cmp_ne_u16_sdwa s[28:29], v38, v43 src0_sel:BYTE_0 src1_sel:DWORD
	s_and_b64 vcc, exec, s[66:67]
	s_cbranch_vccz .LBB4_3467
; %bb.3450:                             ;   in Loop: Header=BB4_3353 Depth=3
	v_mov_b32_e32 v2, 0
	v_mov_b32_e32 v0, 0
	s_and_saveexec_b64 s[30:31], s[28:29]
	s_cbranch_execz .LBB4_3458
; %bb.3451:                             ;   in Loop: Header=BB4_3353 Depth=3
	v_cmp_ne_u16_sdwa vcc, v38, s97 src0_sel:BYTE_0 src1_sel:DWORD
	v_bfrev_b32_e32 v0, 1
	s_and_saveexec_b64 s[68:69], vcc
	s_cbranch_execz .LBB4_3457
; %bb.3452:                             ;   in Loop: Header=BB4_3353 Depth=3
	v_and_b32_e32 v0, 0x7c0000, v20
	v_bfe_u32 v3, v20, 16, 2
	v_cmp_ne_u32_e32 vcc, s36, v0
                                        ; implicit-def: $vgpr0
	s_and_saveexec_b64 s[70:71], vcc
	s_xor_b64 s[70:71], exec, s[70:71]
	s_cbranch_execz .LBB4_3454
; %bb.3453:                             ;   in Loop: Header=BB4_3353 Depth=3
	v_ffbh_u32_e32 v7, v3
	v_min_u32_e32 v7, 32, v7
	v_subrev_u32_e32 v27, 29, v7
	v_bfe_u32 v0, v20, 18, 5
	v_lshlrev_b64 v[36:37], v27, v[38:39]
	v_sub_u32_e32 v7, 30, v7
	v_and_b32_e32 v27, 3, v36
	v_cmp_eq_u32_e32 vcc, 0, v0
	v_cndmask_b32_e32 v0, v0, v7, vcc
	v_cndmask_b32_e32 v3, v3, v27, vcc
	v_bfrev_b32_e32 v27, 28
	v_lshlrev_b32_e32 v7, 24, v38
	v_lshl_add_u32 v0, v0, 23, v27
	v_and_or_b32 v0, v7, s96, v0
	v_lshl_or_b32 v0, v3, 21, v0
                                        ; implicit-def: $vgpr3
.LBB4_3454:                             ;   in Loop: Header=BB4_3353 Depth=3
	s_andn2_saveexec_b64 s[70:71], s[70:71]
; %bb.3455:                             ;   in Loop: Header=BB4_3353 Depth=3
	v_mov_b32_e32 v0, -1
	v_cmp_gt_i16_sdwa vcc, sext(v38), v0 src0_sel:BYTE_0 src1_sel:DWORD
	v_cndmask_b32_e32 v0, v6, v1, vcc
	v_cmp_eq_u32_e32 vcc, 0, v3
	v_mov_b32_e32 v3, 0x7f800001
	v_cndmask_b32_e32 v0, v3, v0, vcc
; %bb.3456:                             ;   in Loop: Header=BB4_3353 Depth=3
	s_or_b64 exec, exec, s[70:71]
.LBB4_3457:                             ;   in Loop: Header=BB4_3353 Depth=3
	s_or_b64 exec, exec, s[68:69]
.LBB4_3458:                             ;   in Loop: Header=BB4_3353 Depth=3
	s_or_b64 exec, exec, s[30:31]
	v_cmp_ne_u16_sdwa vcc, v26, v43 src0_sel:BYTE_0 src1_sel:DWORD
	s_and_saveexec_b64 s[30:31], vcc
	s_cbranch_execz .LBB4_3466
; %bb.3459:                             ;   in Loop: Header=BB4_3353 Depth=3
	v_cmp_ne_u16_sdwa vcc, v26, s97 src0_sel:BYTE_0 src1_sel:DWORD
	v_bfrev_b32_e32 v2, 1
	s_and_saveexec_b64 s[68:69], vcc
	s_cbranch_execz .LBB4_3465
; %bb.3460:                             ;   in Loop: Header=BB4_3353 Depth=3
	v_and_b32_e32 v2, 0x7c0000, v16
	v_bfe_u32 v3, v16, 16, 2
	v_cmp_ne_u32_e32 vcc, s36, v2
                                        ; implicit-def: $vgpr2
	s_and_saveexec_b64 s[70:71], vcc
	s_xor_b64 s[70:71], exec, s[70:71]
	s_cbranch_execz .LBB4_3462
; %bb.3461:                             ;   in Loop: Header=BB4_3353 Depth=3
	v_ffbh_u32_e32 v7, v3
	v_min_u32_e32 v7, 32, v7
	v_subrev_u32_e32 v27, 29, v7
	v_bfe_u32 v2, v16, 18, 5
	v_lshlrev_b64 v[36:37], v27, v[26:27]
	v_sub_u32_e32 v7, 30, v7
	v_and_b32_e32 v27, 3, v36
	v_cmp_eq_u32_e32 vcc, 0, v2
	v_cndmask_b32_e32 v2, v2, v7, vcc
	v_cndmask_b32_e32 v3, v3, v27, vcc
	v_bfrev_b32_e32 v27, 28
	v_lshlrev_b32_e32 v7, 24, v26
	v_lshl_add_u32 v2, v2, 23, v27
	v_and_or_b32 v2, v7, s96, v2
	v_lshl_or_b32 v2, v3, 21, v2
                                        ; implicit-def: $vgpr3
.LBB4_3462:                             ;   in Loop: Header=BB4_3353 Depth=3
	s_andn2_saveexec_b64 s[70:71], s[70:71]
; %bb.3463:                             ;   in Loop: Header=BB4_3353 Depth=3
	v_mov_b32_e32 v2, -1
	v_cmp_gt_i16_sdwa vcc, sext(v26), v2 src0_sel:BYTE_0 src1_sel:DWORD
	v_cndmask_b32_e32 v2, v6, v1, vcc
	v_cmp_eq_u32_e32 vcc, 0, v3
	v_mov_b32_e32 v3, 0x7f800001
	v_cndmask_b32_e32 v2, v3, v2, vcc
; %bb.3464:                             ;   in Loop: Header=BB4_3353 Depth=3
	s_or_b64 exec, exec, s[70:71]
.LBB4_3465:                             ;   in Loop: Header=BB4_3353 Depth=3
	s_or_b64 exec, exec, s[68:69]
.LBB4_3466:                             ;   in Loop: Header=BB4_3353 Depth=3
	s_or_b64 exec, exec, s[30:31]
	v_max_f32_e32 v2, v2, v2
	v_max_f32_e32 v0, v0, v0
	;; [unrolled: 1-line block ×3, first 2 shown]
	s_branch .LBB4_3485
.LBB4_3467:                             ;   in Loop: Header=BB4_3353 Depth=3
                                        ; implicit-def: $vgpr2
	s_cbranch_execz .LBB4_3485
; %bb.3468:                             ;   in Loop: Header=BB4_3353 Depth=3
	v_mov_b32_e32 v2, 0
	v_mov_b32_e32 v0, 0
	s_and_saveexec_b64 s[30:31], s[28:29]
	s_cbranch_execz .LBB4_3476
; %bb.3469:                             ;   in Loop: Header=BB4_3353 Depth=3
	v_cmp_ne_u16_sdwa vcc, v38, s97 src0_sel:BYTE_0 src1_sel:DWORD
	v_bfrev_b32_e32 v0, 1
	s_and_saveexec_b64 s[28:29], vcc
	s_cbranch_execz .LBB4_3475
; %bb.3470:                             ;   in Loop: Header=BB4_3353 Depth=3
	v_and_b32_e32 v0, 0x7c0000, v20
	v_bfe_u32 v3, v20, 16, 2
	v_cmp_ne_u32_e32 vcc, s36, v0
                                        ; implicit-def: $vgpr0
	s_and_saveexec_b64 s[68:69], vcc
	s_xor_b64 s[68:69], exec, s[68:69]
	s_cbranch_execz .LBB4_3472
; %bb.3471:                             ;   in Loop: Header=BB4_3353 Depth=3
	v_ffbh_u32_e32 v7, v3
	v_min_u32_e32 v7, 32, v7
	v_subrev_u32_e32 v27, 29, v7
	v_bfe_u32 v0, v20, 18, 5
	v_lshlrev_b64 v[36:37], v27, v[38:39]
	v_sub_u32_e32 v7, 30, v7
	v_and_b32_e32 v27, 3, v36
	v_cmp_eq_u32_e32 vcc, 0, v0
	v_cndmask_b32_e32 v0, v0, v7, vcc
	v_cndmask_b32_e32 v3, v3, v27, vcc
	v_bfrev_b32_e32 v27, 28
	v_lshlrev_b32_e32 v7, 24, v38
	v_lshl_add_u32 v0, v0, 23, v27
	v_and_or_b32 v0, v7, s96, v0
	v_lshl_or_b32 v0, v3, 21, v0
                                        ; implicit-def: $vgpr3
                                        ; implicit-def: $vgpr38
.LBB4_3472:                             ;   in Loop: Header=BB4_3353 Depth=3
	s_andn2_saveexec_b64 s[68:69], s[68:69]
; %bb.3473:                             ;   in Loop: Header=BB4_3353 Depth=3
	v_mov_b32_e32 v0, -1
	v_cmp_gt_i16_sdwa vcc, sext(v38), v0 src0_sel:BYTE_0 src1_sel:DWORD
	v_cndmask_b32_e32 v0, v6, v1, vcc
	v_cmp_eq_u32_e32 vcc, 0, v3
	v_mov_b32_e32 v3, 0x7f800001
	v_cndmask_b32_e32 v0, v3, v0, vcc
; %bb.3474:                             ;   in Loop: Header=BB4_3353 Depth=3
	s_or_b64 exec, exec, s[68:69]
.LBB4_3475:                             ;   in Loop: Header=BB4_3353 Depth=3
	s_or_b64 exec, exec, s[28:29]
.LBB4_3476:                             ;   in Loop: Header=BB4_3353 Depth=3
	s_or_b64 exec, exec, s[30:31]
	v_cmp_ne_u16_sdwa vcc, v26, v43 src0_sel:BYTE_0 src1_sel:DWORD
	s_and_saveexec_b64 s[28:29], vcc
	s_cbranch_execz .LBB4_3484
; %bb.3477:                             ;   in Loop: Header=BB4_3353 Depth=3
	v_cmp_ne_u16_sdwa vcc, v26, s97 src0_sel:BYTE_0 src1_sel:DWORD
	v_bfrev_b32_e32 v2, 1
	s_and_saveexec_b64 s[30:31], vcc
	s_cbranch_execz .LBB4_3483
; %bb.3478:                             ;   in Loop: Header=BB4_3353 Depth=3
	v_and_b32_e32 v2, 0x7c0000, v16
	v_bfe_u32 v3, v16, 16, 2
	v_cmp_ne_u32_e32 vcc, s36, v2
                                        ; implicit-def: $vgpr2
	s_and_saveexec_b64 s[68:69], vcc
	s_xor_b64 s[68:69], exec, s[68:69]
	s_cbranch_execz .LBB4_3480
; %bb.3479:                             ;   in Loop: Header=BB4_3353 Depth=3
	v_ffbh_u32_e32 v7, v3
	v_bfe_u32 v2, v16, 18, 5
	v_min_u32_e32 v7, 32, v7
	v_subrev_u32_e32 v27, 29, v7
	v_sub_u32_e32 v7, 30, v7
	v_cmp_eq_u32_e32 vcc, 0, v2
	v_lshlrev_b64 v[36:37], v27, v[26:27]
	v_cndmask_b32_e32 v2, v2, v7, vcc
	v_lshlrev_b32_e32 v7, 24, v26
	v_bfrev_b32_e32 v26, 28
	v_and_b32_e32 v27, 3, v36
	v_lshl_add_u32 v2, v2, 23, v26
	v_cndmask_b32_e32 v3, v3, v27, vcc
	v_and_or_b32 v2, v7, s96, v2
	v_lshl_or_b32 v2, v3, 21, v2
                                        ; implicit-def: $vgpr3
                                        ; implicit-def: $vgpr26
.LBB4_3480:                             ;   in Loop: Header=BB4_3353 Depth=3
	s_andn2_saveexec_b64 s[68:69], s[68:69]
; %bb.3481:                             ;   in Loop: Header=BB4_3353 Depth=3
	v_mov_b32_e32 v2, -1
	v_cmp_gt_i16_sdwa vcc, sext(v26), v2 src0_sel:BYTE_0 src1_sel:DWORD
	v_cndmask_b32_e32 v2, v6, v1, vcc
	v_cmp_eq_u32_e32 vcc, 0, v3
	v_mov_b32_e32 v3, 0x7f800001
	v_cndmask_b32_e32 v2, v3, v2, vcc
; %bb.3482:                             ;   in Loop: Header=BB4_3353 Depth=3
	s_or_b64 exec, exec, s[68:69]
.LBB4_3483:                             ;   in Loop: Header=BB4_3353 Depth=3
	s_or_b64 exec, exec, s[30:31]
.LBB4_3484:                             ;   in Loop: Header=BB4_3353 Depth=3
	s_or_b64 exec, exec, s[28:29]
	v_max_f32_e32 v2, v2, v2
	v_max_f32_e32 v0, v0, v0
	v_min_f32_e32 v2, v0, v2
.LBB4_3485:                             ;   in Loop: Header=BB4_3353 Depth=3
	v_and_b32_sdwa v0, v2, s97 dst_sel:DWORD dst_unused:UNUSED_PAD src0_sel:BYTE_3 src1_sel:DWORD
	v_and_b32_e32 v26, 0x7f800000, v2
	v_mov_b32_e32 v27, v43
	v_and_b32_e32 v42, 0x7fffff, v2
	v_or_b32_e32 v47, 0x7b, v0
	v_cmp_ne_u64_e32 vcc, s[52:53], v[26:27]
	s_and_saveexec_b64 s[28:29], vcc
	s_xor_b64 s[30:31], exec, s[28:29]
	s_cbranch_execz .LBB4_3495
; %bb.3486:                             ;   in Loop: Header=BB4_3353 Depth=3
	v_and_b32_e32 v26, 0x7fffffff, v2
	v_mov_b32_e32 v27, v43
	v_cmp_gt_u64_e32 vcc, s[54:55], v[26:27]
	s_and_saveexec_b64 s[68:69], vcc
	s_cbranch_execz .LBB4_3494
; %bb.3487:                             ;   in Loop: Header=BB4_3353 Depth=3
	v_cmp_ne_u32_e32 vcc, 0, v2
	v_mov_b32_e32 v47, 0
	s_and_saveexec_b64 s[70:71], vcc
	s_cbranch_execz .LBB4_3493
; %bb.3488:                             ;   in Loop: Header=BB4_3353 Depth=3
	v_bfe_u32 v2, v2, 23, 8
	v_sub_u32_e32 v7, 0x71, v2
	v_cmp_gt_u32_e32 vcc, s38, v2
	v_add_u32_e32 v3, 0xffffff81, v2
	v_cndmask_b32_e32 v7, 0, v7, vcc
	v_cmp_eq_u32_e32 vcc, 0, v2
	v_mov_b32_e32 v2, 0xffffff82
	v_cndmask_b32_e32 v30, v3, v2, vcc
	v_mov_b32_e32 v2, 0x70
	v_cndmask_b32_e32 v7, v7, v2, vcc
	v_add_u32_e32 v2, 21, v7
	v_or_b32_e32 v26, 0x800000, v42
	v_lshlrev_b64 v[2:3], v2, -1
	v_cndmask_b32_e32 v42, v26, v42, vcc
	v_not_b32_e32 v2, v2
	v_and_b32_e32 v26, v42, v2
	v_add_u32_e32 v2, 20, v7
	v_lshrrev_b64 v[38:39], v7, v[42:43]
	v_not_b32_e32 v3, v3
	v_lshlrev_b64 v[36:37], v2, 1
	v_lshrrev_b32_e32 v2, 23, v38
	v_and_b32_e32 v27, 0, v3
	v_add3_u32 v7, v7, v30, v2
	v_bfe_u32 v2, v38, 21, 1
	v_add_u32_e32 v2, -1, v2
	v_cmp_eq_u64_e32 vcc, v[26:27], v[36:37]
	v_cndmask_b32_e32 v2, 0, v2, vcc
	v_add_u32_e32 v2, v2, v38
	v_and_b32_e32 v2, 0x1fffff, v2
	v_add_co_u32_e32 v26, vcc, v2, v38
	v_add_u32_e32 v3, 14, v7
	v_addc_co_u32_e32 v27, vcc, 0, v39, vcc
	v_cmp_ne_u32_e32 vcc, 0, v3
                                        ; implicit-def: $vgpr2
	s_and_saveexec_b64 s[28:29], vcc
	s_xor_b64 s[28:29], exec, s[28:29]
; %bb.3489:                             ;   in Loop: Header=BB4_3353 Depth=3
	v_add_u32_e32 v2, 15, v7
	v_cmp_lt_u64_e32 vcc, s[56:57], v[26:27]
	v_cndmask_b32_e32 v2, v3, v2, vcc
	v_cndmask_b32_e64 v3, 0, 1, vcc
	v_lshrrev_b64 v[26:27], v3, v[26:27]
; %bb.3490:                             ;   in Loop: Header=BB4_3353 Depth=3
	s_andn2_saveexec_b64 s[28:29], s[28:29]
; %bb.3491:                             ;   in Loop: Header=BB4_3353 Depth=3
	v_bfe_u32 v2, v26, 23, 1
; %bb.3492:                             ;   in Loop: Header=BB4_3353 Depth=3
	s_or_b64 exec, exec, s[28:29]
	v_lshrrev_b64 v[26:27], 21, v[26:27]
	v_cmp_gt_i32_e32 vcc, 32, v2
	v_cndmask_b32_e32 v27, 0, v27, vcc
	v_cndmask_b32_e32 v26, 3, v26, vcc
	v_cmp_eq_u32_e32 vcc, 0, v2
	v_min_i32_e32 v2, 31, v2
	v_cmp_eq_u64_e64 s[28:29], 0, v[26:27]
	v_lshlrev_b32_e32 v2, 2, v2
	v_and_or_b32 v2, v26, 3, v2
	s_and_b64 s[28:29], vcc, s[28:29]
	v_cndmask_b32_e64 v2, v2, 0, s[28:29]
	v_or_b32_e32 v47, v2, v0
.LBB4_3493:                             ;   in Loop: Header=BB4_3353 Depth=3
	s_or_b64 exec, exec, s[70:71]
.LBB4_3494:                             ;   in Loop: Header=BB4_3353 Depth=3
	s_or_b64 exec, exec, s[68:69]
                                        ; implicit-def: $vgpr2
.LBB4_3495:                             ;   in Loop: Header=BB4_3353 Depth=3
	s_andn2_saveexec_b64 s[28:29], s[30:31]
; %bb.3496:                             ;   in Loop: Header=BB4_3353 Depth=3
	v_or_b32_sdwa v0, v2, s39 dst_sel:DWORD dst_unused:UNUSED_PAD src0_sel:BYTE_3 src1_sel:DWORD
	v_cmp_eq_u64_e32 vcc, 0, v[42:43]
	v_cndmask_b32_e32 v47, v0, v47, vcc
; %bb.3497:                             ;   in Loop: Header=BB4_3353 Depth=3
	s_or_b64 exec, exec, s[28:29]
	v_lshrrev_b32_e32 v38, 24, v20
	v_lshrrev_b32_e32 v26, 24, v16
	v_cmp_lt_u32_e64 s[28:29], s43, v20
	s_and_b64 vcc, exec, s[66:67]
	s_cbranch_vccz .LBB4_3515
; %bb.3498:                             ;   in Loop: Header=BB4_3353 Depth=3
	v_mov_b32_e32 v2, 0
	v_mov_b32_e32 v0, 0
	s_and_saveexec_b64 s[30:31], s[28:29]
	s_cbranch_execz .LBB4_3506
; %bb.3499:                             ;   in Loop: Header=BB4_3353 Depth=3
	v_cmp_ne_u32_e32 vcc, s97, v38
	v_bfrev_b32_e32 v0, 1
	s_and_saveexec_b64 s[68:69], vcc
	s_cbranch_execz .LBB4_3505
; %bb.3500:                             ;   in Loop: Header=BB4_3353 Depth=3
	v_and_b32_e32 v0, 0x7c000000, v20
	v_bfe_u32 v3, v20, 24, 2
	v_cmp_ne_u32_e32 vcc, s37, v0
                                        ; implicit-def: $vgpr0
	s_and_saveexec_b64 s[70:71], vcc
	s_xor_b64 s[70:71], exec, s[70:71]
	s_cbranch_execz .LBB4_3502
; %bb.3501:                             ;   in Loop: Header=BB4_3353 Depth=3
	v_ffbh_u32_e32 v7, v3
	v_bfe_u32 v0, v20, 26, 5
	v_min_u32_e32 v7, 32, v7
	v_subrev_u32_e32 v27, 29, v7
	v_sub_u32_e32 v7, 30, v7
	v_cmp_eq_u32_e32 vcc, 0, v0
	v_lshlrev_b64 v[36:37], v27, v[38:39]
	v_cndmask_b32_e32 v0, v0, v7, vcc
	v_bfrev_b32_e32 v7, 28
	v_and_b32_e32 v27, 3, v36
	v_lshl_add_u32 v0, v0, 23, v7
	v_cndmask_b32_e32 v3, v3, v27, vcc
	v_and_or_b32 v0, v20, s96, v0
	v_lshl_or_b32 v0, v3, 21, v0
                                        ; implicit-def: $vgpr3
.LBB4_3502:                             ;   in Loop: Header=BB4_3353 Depth=3
	s_andn2_saveexec_b64 s[70:71], s[70:71]
; %bb.3503:                             ;   in Loop: Header=BB4_3353 Depth=3
	v_cmp_lt_i32_e32 vcc, -1, v20
	v_cndmask_b32_e32 v0, v6, v1, vcc
	v_cmp_eq_u32_e32 vcc, 0, v3
	v_mov_b32_e32 v3, 0x7f800001
	v_cndmask_b32_e32 v0, v3, v0, vcc
; %bb.3504:                             ;   in Loop: Header=BB4_3353 Depth=3
	s_or_b64 exec, exec, s[70:71]
.LBB4_3505:                             ;   in Loop: Header=BB4_3353 Depth=3
	s_or_b64 exec, exec, s[68:69]
.LBB4_3506:                             ;   in Loop: Header=BB4_3353 Depth=3
	s_or_b64 exec, exec, s[30:31]
	v_cmp_lt_u32_e32 vcc, s43, v16
	s_and_saveexec_b64 s[30:31], vcc
	s_cbranch_execz .LBB4_3514
; %bb.3507:                             ;   in Loop: Header=BB4_3353 Depth=3
	v_cmp_ne_u32_e32 vcc, s97, v26
	v_bfrev_b32_e32 v2, 1
	s_and_saveexec_b64 s[68:69], vcc
	s_cbranch_execz .LBB4_3513
; %bb.3508:                             ;   in Loop: Header=BB4_3353 Depth=3
	v_and_b32_e32 v2, 0x7c000000, v16
	v_bfe_u32 v3, v16, 24, 2
	v_cmp_ne_u32_e32 vcc, s37, v2
                                        ; implicit-def: $vgpr2
	s_and_saveexec_b64 s[70:71], vcc
	s_xor_b64 s[70:71], exec, s[70:71]
	s_cbranch_execz .LBB4_3510
; %bb.3509:                             ;   in Loop: Header=BB4_3353 Depth=3
	v_ffbh_u32_e32 v7, v3
	v_bfe_u32 v2, v16, 26, 5
	v_min_u32_e32 v7, 32, v7
	v_subrev_u32_e32 v27, 29, v7
	v_sub_u32_e32 v7, 30, v7
	v_cmp_eq_u32_e32 vcc, 0, v2
	v_lshlrev_b64 v[36:37], v27, v[26:27]
	v_cndmask_b32_e32 v2, v2, v7, vcc
	v_bfrev_b32_e32 v7, 28
	v_and_b32_e32 v27, 3, v36
	v_lshl_add_u32 v2, v2, 23, v7
	v_cndmask_b32_e32 v3, v3, v27, vcc
	v_and_or_b32 v2, v16, s96, v2
	v_lshl_or_b32 v2, v3, 21, v2
                                        ; implicit-def: $vgpr3
.LBB4_3510:                             ;   in Loop: Header=BB4_3353 Depth=3
	s_andn2_saveexec_b64 s[70:71], s[70:71]
; %bb.3511:                             ;   in Loop: Header=BB4_3353 Depth=3
	v_cmp_lt_i32_e32 vcc, -1, v16
	v_cndmask_b32_e32 v2, v6, v1, vcc
	v_cmp_eq_u32_e32 vcc, 0, v3
	v_mov_b32_e32 v3, 0x7f800001
	v_cndmask_b32_e32 v2, v3, v2, vcc
; %bb.3512:                             ;   in Loop: Header=BB4_3353 Depth=3
	s_or_b64 exec, exec, s[70:71]
.LBB4_3513:                             ;   in Loop: Header=BB4_3353 Depth=3
	s_or_b64 exec, exec, s[68:69]
.LBB4_3514:                             ;   in Loop: Header=BB4_3353 Depth=3
	s_or_b64 exec, exec, s[30:31]
	v_max_f32_e32 v2, v2, v2
	v_max_f32_e32 v0, v0, v0
	v_max_f32_e32 v2, v0, v2
	s_branch .LBB4_3533
.LBB4_3515:                             ;   in Loop: Header=BB4_3353 Depth=3
                                        ; implicit-def: $vgpr2
	s_cbranch_execz .LBB4_3533
; %bb.3516:                             ;   in Loop: Header=BB4_3353 Depth=3
	v_mov_b32_e32 v2, 0
	v_mov_b32_e32 v0, 0
	s_and_saveexec_b64 s[30:31], s[28:29]
	s_cbranch_execz .LBB4_3524
; %bb.3517:                             ;   in Loop: Header=BB4_3353 Depth=3
	v_cmp_ne_u32_e32 vcc, s97, v38
	v_bfrev_b32_e32 v0, 1
	s_and_saveexec_b64 s[28:29], vcc
	s_cbranch_execz .LBB4_3523
; %bb.3518:                             ;   in Loop: Header=BB4_3353 Depth=3
	v_and_b32_e32 v0, 0x7c000000, v20
	v_bfe_u32 v3, v20, 24, 2
	v_cmp_ne_u32_e32 vcc, s37, v0
                                        ; implicit-def: $vgpr0
	s_and_saveexec_b64 s[68:69], vcc
	s_xor_b64 s[68:69], exec, s[68:69]
	s_cbranch_execz .LBB4_3520
; %bb.3519:                             ;   in Loop: Header=BB4_3353 Depth=3
	v_ffbh_u32_e32 v7, v3
	v_bfe_u32 v0, v20, 26, 5
	v_min_u32_e32 v7, 32, v7
	v_subrev_u32_e32 v27, 29, v7
	v_sub_u32_e32 v7, 30, v7
	v_cmp_eq_u32_e32 vcc, 0, v0
	v_lshlrev_b64 v[36:37], v27, v[38:39]
	v_cndmask_b32_e32 v0, v0, v7, vcc
	v_bfrev_b32_e32 v7, 28
	v_and_b32_e32 v27, 3, v36
	v_lshl_add_u32 v0, v0, 23, v7
	v_cndmask_b32_e32 v3, v3, v27, vcc
	v_and_or_b32 v0, v20, s96, v0
	v_lshl_or_b32 v0, v3, 21, v0
                                        ; implicit-def: $vgpr3
.LBB4_3520:                             ;   in Loop: Header=BB4_3353 Depth=3
	s_andn2_saveexec_b64 s[68:69], s[68:69]
; %bb.3521:                             ;   in Loop: Header=BB4_3353 Depth=3
	v_cmp_lt_i32_e32 vcc, -1, v20
	v_cndmask_b32_e32 v0, v6, v1, vcc
	v_cmp_eq_u32_e32 vcc, 0, v3
	v_mov_b32_e32 v3, 0x7f800001
	v_cndmask_b32_e32 v0, v3, v0, vcc
; %bb.3522:                             ;   in Loop: Header=BB4_3353 Depth=3
	s_or_b64 exec, exec, s[68:69]
.LBB4_3523:                             ;   in Loop: Header=BB4_3353 Depth=3
	s_or_b64 exec, exec, s[28:29]
.LBB4_3524:                             ;   in Loop: Header=BB4_3353 Depth=3
	s_or_b64 exec, exec, s[30:31]
	v_cmp_lt_u32_e32 vcc, s43, v16
	s_and_saveexec_b64 s[28:29], vcc
	s_cbranch_execz .LBB4_3532
; %bb.3525:                             ;   in Loop: Header=BB4_3353 Depth=3
	v_cmp_ne_u32_e32 vcc, s97, v26
	v_bfrev_b32_e32 v2, 1
	s_and_saveexec_b64 s[30:31], vcc
	s_cbranch_execz .LBB4_3531
; %bb.3526:                             ;   in Loop: Header=BB4_3353 Depth=3
	v_and_b32_e32 v2, 0x7c000000, v16
	v_bfe_u32 v3, v16, 24, 2
	v_cmp_ne_u32_e32 vcc, s37, v2
                                        ; implicit-def: $vgpr2
	s_and_saveexec_b64 s[68:69], vcc
	s_xor_b64 s[68:69], exec, s[68:69]
	s_cbranch_execz .LBB4_3528
; %bb.3527:                             ;   in Loop: Header=BB4_3353 Depth=3
	v_ffbh_u32_e32 v7, v3
	v_bfe_u32 v2, v16, 26, 5
	v_min_u32_e32 v7, 32, v7
	v_subrev_u32_e32 v27, 29, v7
	v_sub_u32_e32 v7, 30, v7
	v_cmp_eq_u32_e32 vcc, 0, v2
	v_lshlrev_b64 v[26:27], v27, v[26:27]
	v_cndmask_b32_e32 v2, v2, v7, vcc
	v_bfrev_b32_e32 v7, 28
	v_and_b32_e32 v26, 3, v26
	v_lshl_add_u32 v2, v2, 23, v7
	v_cndmask_b32_e32 v3, v3, v26, vcc
	v_and_or_b32 v2, v16, s96, v2
	v_lshl_or_b32 v2, v3, 21, v2
                                        ; implicit-def: $vgpr3
.LBB4_3528:                             ;   in Loop: Header=BB4_3353 Depth=3
	s_andn2_saveexec_b64 s[68:69], s[68:69]
; %bb.3529:                             ;   in Loop: Header=BB4_3353 Depth=3
	v_cmp_lt_i32_e32 vcc, -1, v16
	v_cndmask_b32_e32 v2, v6, v1, vcc
	v_cmp_eq_u32_e32 vcc, 0, v3
	v_mov_b32_e32 v3, 0x7f800001
	v_cndmask_b32_e32 v2, v3, v2, vcc
; %bb.3530:                             ;   in Loop: Header=BB4_3353 Depth=3
	s_or_b64 exec, exec, s[68:69]
.LBB4_3531:                             ;   in Loop: Header=BB4_3353 Depth=3
	s_or_b64 exec, exec, s[30:31]
.LBB4_3532:                             ;   in Loop: Header=BB4_3353 Depth=3
	s_or_b64 exec, exec, s[28:29]
	v_max_f32_e32 v2, v2, v2
	v_max_f32_e32 v0, v0, v0
	v_min_f32_e32 v2, v0, v2
.LBB4_3533:                             ;   in Loop: Header=BB4_3353 Depth=3
	v_and_b32_sdwa v0, v2, s97 dst_sel:DWORD dst_unused:UNUSED_PAD src0_sel:BYTE_3 src1_sel:DWORD
	v_and_b32_e32 v26, 0x7f800000, v2
	v_mov_b32_e32 v27, v43
	v_and_b32_e32 v42, 0x7fffff, v2
	v_or_b32_e32 v32, 0x7b, v0
	v_cmp_ne_u64_e32 vcc, s[52:53], v[26:27]
	s_and_saveexec_b64 s[28:29], vcc
	s_xor_b64 s[30:31], exec, s[28:29]
	s_cbranch_execz .LBB4_3543
; %bb.3534:                             ;   in Loop: Header=BB4_3353 Depth=3
	v_and_b32_e32 v26, 0x7fffffff, v2
	v_mov_b32_e32 v27, v43
	v_cmp_gt_u64_e32 vcc, s[54:55], v[26:27]
	s_and_saveexec_b64 s[68:69], vcc
	s_cbranch_execz .LBB4_3542
; %bb.3535:                             ;   in Loop: Header=BB4_3353 Depth=3
	v_cmp_ne_u32_e32 vcc, 0, v2
	v_mov_b32_e32 v32, 0
	s_and_saveexec_b64 s[70:71], vcc
	s_cbranch_execz .LBB4_3541
; %bb.3536:                             ;   in Loop: Header=BB4_3353 Depth=3
	v_bfe_u32 v2, v2, 23, 8
	v_sub_u32_e32 v7, 0x71, v2
	v_cmp_gt_u32_e32 vcc, s38, v2
	v_add_u32_e32 v3, 0xffffff81, v2
	v_cndmask_b32_e32 v7, 0, v7, vcc
	v_cmp_eq_u32_e32 vcc, 0, v2
	v_mov_b32_e32 v2, 0xffffff82
	v_cndmask_b32_e32 v30, v3, v2, vcc
	v_mov_b32_e32 v2, 0x70
	v_cndmask_b32_e32 v7, v7, v2, vcc
	v_add_u32_e32 v2, 21, v7
	v_or_b32_e32 v26, 0x800000, v42
	v_lshlrev_b64 v[2:3], v2, -1
	v_cndmask_b32_e32 v42, v26, v42, vcc
	v_not_b32_e32 v2, v2
	v_and_b32_e32 v26, v42, v2
	v_add_u32_e32 v2, 20, v7
	v_lshrrev_b64 v[38:39], v7, v[42:43]
	v_not_b32_e32 v3, v3
	v_lshlrev_b64 v[36:37], v2, 1
	v_lshrrev_b32_e32 v2, 23, v38
	v_and_b32_e32 v27, 0, v3
	v_add3_u32 v7, v7, v30, v2
	v_bfe_u32 v2, v38, 21, 1
	v_add_u32_e32 v2, -1, v2
	v_cmp_eq_u64_e32 vcc, v[26:27], v[36:37]
	v_cndmask_b32_e32 v2, 0, v2, vcc
	v_add_u32_e32 v2, v2, v38
	v_and_b32_e32 v2, 0x1fffff, v2
	v_add_co_u32_e32 v26, vcc, v2, v38
	v_add_u32_e32 v3, 14, v7
	v_addc_co_u32_e32 v27, vcc, 0, v39, vcc
	v_cmp_ne_u32_e32 vcc, 0, v3
                                        ; implicit-def: $vgpr2
	s_and_saveexec_b64 s[28:29], vcc
	s_xor_b64 s[28:29], exec, s[28:29]
; %bb.3537:                             ;   in Loop: Header=BB4_3353 Depth=3
	v_add_u32_e32 v2, 15, v7
	v_cmp_lt_u64_e32 vcc, s[56:57], v[26:27]
	v_cndmask_b32_e32 v2, v3, v2, vcc
	v_cndmask_b32_e64 v3, 0, 1, vcc
	v_lshrrev_b64 v[26:27], v3, v[26:27]
; %bb.3538:                             ;   in Loop: Header=BB4_3353 Depth=3
	s_andn2_saveexec_b64 s[28:29], s[28:29]
; %bb.3539:                             ;   in Loop: Header=BB4_3353 Depth=3
	v_bfe_u32 v2, v26, 23, 1
; %bb.3540:                             ;   in Loop: Header=BB4_3353 Depth=3
	s_or_b64 exec, exec, s[28:29]
	v_lshrrev_b64 v[26:27], 21, v[26:27]
	v_cmp_gt_i32_e32 vcc, 32, v2
	v_cndmask_b32_e32 v27, 0, v27, vcc
	v_cndmask_b32_e32 v26, 3, v26, vcc
	v_cmp_eq_u32_e32 vcc, 0, v2
	v_min_i32_e32 v2, 31, v2
	v_cmp_eq_u64_e64 s[28:29], 0, v[26:27]
	v_lshlrev_b32_e32 v2, 2, v2
	v_and_or_b32 v2, v26, 3, v2
	s_and_b64 s[28:29], vcc, s[28:29]
	v_cndmask_b32_e64 v2, v2, 0, s[28:29]
	v_or_b32_e32 v32, v2, v0
.LBB4_3541:                             ;   in Loop: Header=BB4_3353 Depth=3
	s_or_b64 exec, exec, s[70:71]
.LBB4_3542:                             ;   in Loop: Header=BB4_3353 Depth=3
	s_or_b64 exec, exec, s[68:69]
                                        ; implicit-def: $vgpr2
.LBB4_3543:                             ;   in Loop: Header=BB4_3353 Depth=3
	s_andn2_saveexec_b64 s[28:29], s[30:31]
; %bb.3544:                             ;   in Loop: Header=BB4_3353 Depth=3
	v_or_b32_sdwa v0, v2, s39 dst_sel:DWORD dst_unused:UNUSED_PAD src0_sel:BYTE_3 src1_sel:DWORD
	v_cmp_eq_u64_e32 vcc, 0, v[42:43]
	v_cndmask_b32_e32 v32, v0, v32, vcc
; %bb.3545:                             ;   in Loop: Header=BB4_3353 Depth=3
	s_or_b64 exec, exec, s[28:29]
	v_mov_b32_e32 v42, v21
	v_mov_b32_e32 v26, v17
	;; [unrolled: 1-line block ×3, first 2 shown]
	v_cmp_ne_u16_sdwa s[28:29], v21, v43 src0_sel:BYTE_0 src1_sel:DWORD
	s_and_b64 vcc, exec, s[66:67]
	s_cbranch_vccz .LBB4_3563
; %bb.3546:                             ;   in Loop: Header=BB4_3353 Depth=3
	v_mov_b32_e32 v2, 0
	v_mov_b32_e32 v0, 0
	s_and_saveexec_b64 s[30:31], s[28:29]
	s_cbranch_execz .LBB4_3554
; %bb.3547:                             ;   in Loop: Header=BB4_3353 Depth=3
	v_cmp_ne_u16_sdwa vcc, v21, s97 src0_sel:BYTE_0 src1_sel:DWORD
	v_bfrev_b32_e32 v0, 1
	s_and_saveexec_b64 s[68:69], vcc
	s_cbranch_execz .LBB4_3553
; %bb.3548:                             ;   in Loop: Header=BB4_3353 Depth=3
	v_and_b32_e32 v0, 0x7c, v21
	v_and_b32_e32 v3, 3, v21
	v_cmp_ne_u32_e32 vcc, s95, v0
                                        ; implicit-def: $vgpr0
	s_and_saveexec_b64 s[70:71], vcc
	s_xor_b64 s[70:71], exec, s[70:71]
	s_cbranch_execz .LBB4_3550
; %bb.3549:                             ;   in Loop: Header=BB4_3353 Depth=3
	v_ffbh_u32_e32 v7, v3
	v_min_u32_e32 v7, 32, v7
	v_subrev_u32_e32 v30, 29, v7
	v_bfe_u32 v0, v21, 2, 5
	v_lshlrev_b64 v[36:37], v30, v[42:43]
	v_sub_u32_e32 v7, 30, v7
	v_and_b32_e32 v30, 3, v36
	v_cmp_eq_u32_e32 vcc, 0, v0
	v_cndmask_b32_e32 v0, v0, v7, vcc
	v_cndmask_b32_e32 v3, v3, v30, vcc
	v_bfrev_b32_e32 v30, 28
	v_lshlrev_b32_e32 v7, 24, v21
	v_lshl_add_u32 v0, v0, 23, v30
	v_and_or_b32 v0, v7, s96, v0
	v_lshl_or_b32 v0, v3, 21, v0
                                        ; implicit-def: $vgpr3
.LBB4_3550:                             ;   in Loop: Header=BB4_3353 Depth=3
	s_andn2_saveexec_b64 s[70:71], s[70:71]
; %bb.3551:                             ;   in Loop: Header=BB4_3353 Depth=3
	v_mov_b32_e32 v0, -1
	v_cmp_gt_i16_sdwa vcc, sext(v21), v0 src0_sel:BYTE_0 src1_sel:DWORD
	v_cndmask_b32_e32 v0, v6, v1, vcc
	v_cmp_eq_u32_e32 vcc, 0, v3
	v_mov_b32_e32 v3, 0x7f800001
	v_cndmask_b32_e32 v0, v3, v0, vcc
; %bb.3552:                             ;   in Loop: Header=BB4_3353 Depth=3
	s_or_b64 exec, exec, s[70:71]
.LBB4_3553:                             ;   in Loop: Header=BB4_3353 Depth=3
	s_or_b64 exec, exec, s[68:69]
.LBB4_3554:                             ;   in Loop: Header=BB4_3353 Depth=3
	s_or_b64 exec, exec, s[30:31]
	v_cmp_ne_u16_sdwa vcc, v17, v43 src0_sel:BYTE_0 src1_sel:DWORD
	s_and_saveexec_b64 s[30:31], vcc
	s_cbranch_execz .LBB4_3562
; %bb.3555:                             ;   in Loop: Header=BB4_3353 Depth=3
	v_cmp_ne_u16_sdwa vcc, v17, s97 src0_sel:BYTE_0 src1_sel:DWORD
	v_bfrev_b32_e32 v2, 1
	s_and_saveexec_b64 s[68:69], vcc
	s_cbranch_execz .LBB4_3561
; %bb.3556:                             ;   in Loop: Header=BB4_3353 Depth=3
	v_and_b32_e32 v2, 0x7c, v17
	v_and_b32_e32 v3, 3, v17
	v_cmp_ne_u32_e32 vcc, s95, v2
                                        ; implicit-def: $vgpr2
	s_and_saveexec_b64 s[70:71], vcc
	s_xor_b64 s[70:71], exec, s[70:71]
	s_cbranch_execz .LBB4_3558
; %bb.3557:                             ;   in Loop: Header=BB4_3353 Depth=3
	v_ffbh_u32_e32 v7, v3
	v_min_u32_e32 v7, 32, v7
	v_subrev_u32_e32 v30, 29, v7
	v_bfe_u32 v2, v17, 2, 5
	v_lshlrev_b64 v[36:37], v30, v[26:27]
	v_sub_u32_e32 v7, 30, v7
	v_and_b32_e32 v30, 3, v36
	v_cmp_eq_u32_e32 vcc, 0, v2
	v_cndmask_b32_e32 v2, v2, v7, vcc
	v_cndmask_b32_e32 v3, v3, v30, vcc
	v_bfrev_b32_e32 v30, 28
	v_lshlrev_b32_e32 v7, 24, v17
	v_lshl_add_u32 v2, v2, 23, v30
	v_and_or_b32 v2, v7, s96, v2
	v_lshl_or_b32 v2, v3, 21, v2
                                        ; implicit-def: $vgpr3
.LBB4_3558:                             ;   in Loop: Header=BB4_3353 Depth=3
	s_andn2_saveexec_b64 s[70:71], s[70:71]
; %bb.3559:                             ;   in Loop: Header=BB4_3353 Depth=3
	v_mov_b32_e32 v2, -1
	v_cmp_gt_i16_sdwa vcc, sext(v17), v2 src0_sel:BYTE_0 src1_sel:DWORD
	v_cndmask_b32_e32 v2, v6, v1, vcc
	v_cmp_eq_u32_e32 vcc, 0, v3
	v_mov_b32_e32 v3, 0x7f800001
	v_cndmask_b32_e32 v2, v3, v2, vcc
; %bb.3560:                             ;   in Loop: Header=BB4_3353 Depth=3
	s_or_b64 exec, exec, s[70:71]
.LBB4_3561:                             ;   in Loop: Header=BB4_3353 Depth=3
	s_or_b64 exec, exec, s[68:69]
.LBB4_3562:                             ;   in Loop: Header=BB4_3353 Depth=3
	s_or_b64 exec, exec, s[30:31]
	v_max_f32_e32 v2, v2, v2
	v_max_f32_e32 v0, v0, v0
	;; [unrolled: 1-line block ×3, first 2 shown]
	s_branch .LBB4_3581
.LBB4_3563:                             ;   in Loop: Header=BB4_3353 Depth=3
                                        ; implicit-def: $vgpr2
	s_cbranch_execz .LBB4_3581
; %bb.3564:                             ;   in Loop: Header=BB4_3353 Depth=3
	v_mov_b32_e32 v2, 0
	v_mov_b32_e32 v0, 0
	s_and_saveexec_b64 s[30:31], s[28:29]
	s_cbranch_execz .LBB4_3572
; %bb.3565:                             ;   in Loop: Header=BB4_3353 Depth=3
	v_cmp_ne_u16_sdwa vcc, v21, s97 src0_sel:BYTE_0 src1_sel:DWORD
	v_bfrev_b32_e32 v0, 1
	s_and_saveexec_b64 s[28:29], vcc
	s_cbranch_execz .LBB4_3571
; %bb.3566:                             ;   in Loop: Header=BB4_3353 Depth=3
	v_and_b32_e32 v0, 0x7c, v21
	v_and_b32_e32 v3, 3, v21
	v_cmp_ne_u32_e32 vcc, s95, v0
                                        ; implicit-def: $vgpr0
	s_and_saveexec_b64 s[68:69], vcc
	s_xor_b64 s[68:69], exec, s[68:69]
	s_cbranch_execz .LBB4_3568
; %bb.3567:                             ;   in Loop: Header=BB4_3353 Depth=3
	v_ffbh_u32_e32 v7, v3
	v_min_u32_e32 v7, 32, v7
	v_subrev_u32_e32 v30, 29, v7
	v_bfe_u32 v0, v21, 2, 5
	v_lshlrev_b64 v[36:37], v30, v[42:43]
	v_sub_u32_e32 v7, 30, v7
	v_and_b32_e32 v30, 3, v36
	v_cmp_eq_u32_e32 vcc, 0, v0
	v_cndmask_b32_e32 v0, v0, v7, vcc
	v_cndmask_b32_e32 v3, v3, v30, vcc
	v_bfrev_b32_e32 v30, 28
	v_lshlrev_b32_e32 v7, 24, v21
	v_lshl_add_u32 v0, v0, 23, v30
	v_and_or_b32 v0, v7, s96, v0
	v_lshl_or_b32 v0, v3, 21, v0
                                        ; implicit-def: $vgpr3
.LBB4_3568:                             ;   in Loop: Header=BB4_3353 Depth=3
	s_andn2_saveexec_b64 s[68:69], s[68:69]
; %bb.3569:                             ;   in Loop: Header=BB4_3353 Depth=3
	v_mov_b32_e32 v0, -1
	v_cmp_gt_i16_sdwa vcc, sext(v21), v0 src0_sel:BYTE_0 src1_sel:DWORD
	v_cndmask_b32_e32 v0, v6, v1, vcc
	v_cmp_eq_u32_e32 vcc, 0, v3
	v_mov_b32_e32 v3, 0x7f800001
	v_cndmask_b32_e32 v0, v3, v0, vcc
; %bb.3570:                             ;   in Loop: Header=BB4_3353 Depth=3
	s_or_b64 exec, exec, s[68:69]
.LBB4_3571:                             ;   in Loop: Header=BB4_3353 Depth=3
	s_or_b64 exec, exec, s[28:29]
.LBB4_3572:                             ;   in Loop: Header=BB4_3353 Depth=3
	s_or_b64 exec, exec, s[30:31]
	v_cmp_ne_u16_sdwa vcc, v17, v43 src0_sel:BYTE_0 src1_sel:DWORD
	s_and_saveexec_b64 s[28:29], vcc
	s_cbranch_execz .LBB4_3580
; %bb.3573:                             ;   in Loop: Header=BB4_3353 Depth=3
	v_cmp_ne_u16_sdwa vcc, v17, s97 src0_sel:BYTE_0 src1_sel:DWORD
	v_bfrev_b32_e32 v2, 1
	s_and_saveexec_b64 s[30:31], vcc
	s_cbranch_execz .LBB4_3579
; %bb.3574:                             ;   in Loop: Header=BB4_3353 Depth=3
	v_and_b32_e32 v2, 0x7c, v17
	v_and_b32_e32 v3, 3, v17
	v_cmp_ne_u32_e32 vcc, s95, v2
                                        ; implicit-def: $vgpr2
	s_and_saveexec_b64 s[68:69], vcc
	s_xor_b64 s[68:69], exec, s[68:69]
	s_cbranch_execz .LBB4_3576
; %bb.3575:                             ;   in Loop: Header=BB4_3353 Depth=3
	v_ffbh_u32_e32 v7, v3
	v_min_u32_e32 v7, 32, v7
	v_subrev_u32_e32 v30, 29, v7
	v_bfe_u32 v2, v17, 2, 5
	v_lshlrev_b64 v[36:37], v30, v[26:27]
	v_sub_u32_e32 v7, 30, v7
	v_and_b32_e32 v27, 3, v36
	v_cmp_eq_u32_e32 vcc, 0, v2
	v_cndmask_b32_e32 v2, v2, v7, vcc
	v_cndmask_b32_e32 v3, v3, v27, vcc
	v_bfrev_b32_e32 v27, 28
	v_lshlrev_b32_e32 v7, 24, v17
	v_lshl_add_u32 v2, v2, 23, v27
	v_and_or_b32 v2, v7, s96, v2
	v_lshl_or_b32 v2, v3, 21, v2
                                        ; implicit-def: $vgpr3
.LBB4_3576:                             ;   in Loop: Header=BB4_3353 Depth=3
	s_andn2_saveexec_b64 s[68:69], s[68:69]
; %bb.3577:                             ;   in Loop: Header=BB4_3353 Depth=3
	v_mov_b32_e32 v2, -1
	v_cmp_gt_i16_sdwa vcc, sext(v17), v2 src0_sel:BYTE_0 src1_sel:DWORD
	v_cndmask_b32_e32 v2, v6, v1, vcc
	v_cmp_eq_u32_e32 vcc, 0, v3
	v_mov_b32_e32 v3, 0x7f800001
	v_cndmask_b32_e32 v2, v3, v2, vcc
; %bb.3578:                             ;   in Loop: Header=BB4_3353 Depth=3
	s_or_b64 exec, exec, s[68:69]
.LBB4_3579:                             ;   in Loop: Header=BB4_3353 Depth=3
	s_or_b64 exec, exec, s[30:31]
.LBB4_3580:                             ;   in Loop: Header=BB4_3353 Depth=3
	s_or_b64 exec, exec, s[28:29]
	v_max_f32_e32 v2, v2, v2
	v_max_f32_e32 v0, v0, v0
	v_min_f32_e32 v2, v0, v2
.LBB4_3581:                             ;   in Loop: Header=BB4_3353 Depth=3
	v_and_b32_sdwa v0, v2, s97 dst_sel:DWORD dst_unused:UNUSED_PAD src0_sel:BYTE_3 src1_sel:DWORD
	v_and_b32_e32 v36, 0x7f800000, v2
	v_mov_b32_e32 v37, v43
	v_accvgpr_write_b32 a60, v32
	v_and_b32_e32 v38, 0x7fffff, v2
	v_mov_b32_e32 v39, v43
	v_or_b32_e32 v58, 0x7b, v0
	v_cmp_ne_u64_e32 vcc, s[52:53], v[36:37]
	s_and_saveexec_b64 s[28:29], vcc
	s_xor_b64 s[30:31], exec, s[28:29]
	s_cbranch_execz .LBB4_3591
; %bb.3582:                             ;   in Loop: Header=BB4_3353 Depth=3
	v_and_b32_e32 v36, 0x7fffffff, v2
	v_mov_b32_e32 v37, v43
	v_cmp_gt_u64_e32 vcc, s[54:55], v[36:37]
	s_and_saveexec_b64 s[68:69], vcc
	s_cbranch_execz .LBB4_3590
; %bb.3583:                             ;   in Loop: Header=BB4_3353 Depth=3
	v_cmp_ne_u32_e32 vcc, 0, v2
	v_mov_b32_e32 v58, 0
	s_and_saveexec_b64 s[70:71], vcc
	s_cbranch_execz .LBB4_3589
; %bb.3584:                             ;   in Loop: Header=BB4_3353 Depth=3
	v_bfe_u32 v2, v2, 23, 8
	v_sub_u32_e32 v7, 0x71, v2
	v_cmp_gt_u32_e32 vcc, s38, v2
	v_add_u32_e32 v3, 0xffffff81, v2
	v_cndmask_b32_e32 v7, 0, v7, vcc
	v_cmp_eq_u32_e32 vcc, 0, v2
	v_mov_b32_e32 v2, 0xffffff82
	v_cndmask_b32_e32 v30, v3, v2, vcc
	v_mov_b32_e32 v2, 0x70
	v_cndmask_b32_e32 v7, v7, v2, vcc
	v_add_u32_e32 v2, 21, v7
	v_or_b32_e32 v27, 0x800000, v38
	v_lshlrev_b64 v[2:3], v2, -1
	v_cndmask_b32_e32 v38, v27, v38, vcc
	v_not_b32_e32 v2, v2
	v_and_b32_e32 v36, v38, v2
	v_add_u32_e32 v2, 20, v7
	v_lshrrev_b64 v[38:39], v7, v[38:39]
	v_not_b32_e32 v3, v3
	v_lshlrev_b64 v[50:51], v2, 1
	v_lshrrev_b32_e32 v2, 23, v38
	v_and_b32_e32 v37, 0, v3
	v_add3_u32 v7, v7, v30, v2
	v_bfe_u32 v2, v38, 21, 1
	v_add_u32_e32 v2, -1, v2
	v_cmp_eq_u64_e32 vcc, v[36:37], v[50:51]
	v_cndmask_b32_e32 v2, 0, v2, vcc
	v_add_u32_e32 v2, v2, v38
	v_and_b32_e32 v2, 0x1fffff, v2
	v_add_co_u32_e32 v38, vcc, v2, v38
	v_add_u32_e32 v3, 14, v7
	v_addc_co_u32_e32 v39, vcc, 0, v39, vcc
	v_cmp_ne_u32_e32 vcc, 0, v3
                                        ; implicit-def: $vgpr2
	s_and_saveexec_b64 s[28:29], vcc
	s_xor_b64 s[28:29], exec, s[28:29]
; %bb.3585:                             ;   in Loop: Header=BB4_3353 Depth=3
	v_add_u32_e32 v2, 15, v7
	v_cmp_lt_u64_e32 vcc, s[56:57], v[38:39]
	v_cndmask_b32_e32 v2, v3, v2, vcc
	v_cndmask_b32_e64 v3, 0, 1, vcc
	v_lshrrev_b64 v[38:39], v3, v[38:39]
; %bb.3586:                             ;   in Loop: Header=BB4_3353 Depth=3
	s_andn2_saveexec_b64 s[28:29], s[28:29]
; %bb.3587:                             ;   in Loop: Header=BB4_3353 Depth=3
	v_bfe_u32 v2, v38, 23, 1
; %bb.3588:                             ;   in Loop: Header=BB4_3353 Depth=3
	s_or_b64 exec, exec, s[28:29]
	v_lshrrev_b64 v[36:37], 21, v[38:39]
	v_cmp_gt_i32_e32 vcc, 32, v2
	v_cndmask_b32_e32 v37, 0, v37, vcc
	v_cndmask_b32_e32 v36, 3, v36, vcc
	v_cmp_eq_u32_e32 vcc, 0, v2
	v_min_i32_e32 v2, 31, v2
	v_cmp_eq_u64_e64 s[28:29], 0, v[36:37]
	v_lshlrev_b32_e32 v2, 2, v2
	v_and_or_b32 v2, v36, 3, v2
	s_and_b64 s[28:29], vcc, s[28:29]
	v_cndmask_b32_e64 v2, v2, 0, s[28:29]
	v_or_b32_e32 v58, v2, v0
.LBB4_3589:                             ;   in Loop: Header=BB4_3353 Depth=3
	s_or_b64 exec, exec, s[70:71]
.LBB4_3590:                             ;   in Loop: Header=BB4_3353 Depth=3
	s_or_b64 exec, exec, s[68:69]
                                        ; implicit-def: $vgpr2
                                        ; implicit-def: $vgpr38_vgpr39
.LBB4_3591:                             ;   in Loop: Header=BB4_3353 Depth=3
	s_andn2_saveexec_b64 s[28:29], s[30:31]
; %bb.3592:                             ;   in Loop: Header=BB4_3353 Depth=3
	v_or_b32_sdwa v0, v2, s39 dst_sel:DWORD dst_unused:UNUSED_PAD src0_sel:BYTE_3 src1_sel:DWORD
	v_cmp_eq_u64_e32 vcc, 0, v[38:39]
	v_cndmask_b32_e32 v58, v0, v58, vcc
; %bb.3593:                             ;   in Loop: Header=BB4_3353 Depth=3
	s_or_b64 exec, exec, s[28:29]
	v_lshrrev_b16_e32 v52, 8, v42
	v_lshrrev_b16_e32 v38, 8, v26
	v_cmp_ne_u16_e64 s[28:29], 0, v52
	s_and_b64 vcc, exec, s[66:67]
	s_cbranch_vccz .LBB4_3611
; %bb.3594:                             ;   in Loop: Header=BB4_3353 Depth=3
	v_mov_b32_e32 v2, 0
	v_mov_b32_e32 v0, 0
	s_and_saveexec_b64 s[30:31], s[28:29]
	s_cbranch_execz .LBB4_3602
; %bb.3595:                             ;   in Loop: Header=BB4_3353 Depth=3
	v_cmp_ne_u16_e32 vcc, s97, v52
	v_bfrev_b32_e32 v0, 1
	s_and_saveexec_b64 s[68:69], vcc
	s_cbranch_execz .LBB4_3601
; %bb.3596:                             ;   in Loop: Header=BB4_3353 Depth=3
	v_and_b32_e32 v0, 0x7c, v52
	v_and_b32_e32 v3, 3, v52
	v_cmp_ne_u32_e32 vcc, s95, v0
                                        ; implicit-def: $vgpr0
	s_and_saveexec_b64 s[70:71], vcc
	s_xor_b64 s[70:71], exec, s[70:71]
	s_cbranch_execz .LBB4_3598
; %bb.3597:                             ;   in Loop: Header=BB4_3353 Depth=3
	v_ffbh_u32_e32 v7, v3
	v_min_u32_e32 v7, 32, v7
	v_mov_b32_e32 v53, v43
	v_subrev_u32_e32 v27, 29, v7
	v_bfe_u32 v0, v52, 2, 5
	v_lshlrev_b64 v[36:37], v27, v[52:53]
	v_sub_u32_e32 v7, 30, v7
	v_and_b32_e32 v27, 3, v36
	v_cmp_eq_u32_e32 vcc, 0, v0
	v_cndmask_b32_e32 v0, v0, v7, vcc
	v_cndmask_b32_e32 v3, v3, v27, vcc
	v_bfrev_b32_e32 v27, 28
	v_lshlrev_b32_e32 v7, 16, v42
	v_lshl_add_u32 v0, v0, 23, v27
	v_and_or_b32 v0, v7, s96, v0
	v_lshl_or_b32 v0, v3, 21, v0
                                        ; implicit-def: $vgpr3
.LBB4_3598:                             ;   in Loop: Header=BB4_3353 Depth=3
	s_andn2_saveexec_b64 s[70:71], s[70:71]
; %bb.3599:                             ;   in Loop: Header=BB4_3353 Depth=3
	v_cmp_lt_i16_e32 vcc, -1, v42
	v_cndmask_b32_e32 v0, v6, v1, vcc
	v_cmp_eq_u32_e32 vcc, 0, v3
	v_mov_b32_e32 v3, 0x7f800001
	v_cndmask_b32_e32 v0, v3, v0, vcc
; %bb.3600:                             ;   in Loop: Header=BB4_3353 Depth=3
	s_or_b64 exec, exec, s[70:71]
.LBB4_3601:                             ;   in Loop: Header=BB4_3353 Depth=3
	s_or_b64 exec, exec, s[68:69]
.LBB4_3602:                             ;   in Loop: Header=BB4_3353 Depth=3
	s_or_b64 exec, exec, s[30:31]
	v_cmp_ne_u16_e32 vcc, 0, v38
	s_and_saveexec_b64 s[30:31], vcc
	s_cbranch_execz .LBB4_3610
; %bb.3603:                             ;   in Loop: Header=BB4_3353 Depth=3
	v_cmp_ne_u16_e32 vcc, s97, v38
	v_bfrev_b32_e32 v2, 1
	s_and_saveexec_b64 s[68:69], vcc
	s_cbranch_execz .LBB4_3609
; %bb.3604:                             ;   in Loop: Header=BB4_3353 Depth=3
	v_and_b32_e32 v2, 0x7c, v38
	v_and_b32_e32 v3, 3, v38
	v_cmp_ne_u32_e32 vcc, s95, v2
                                        ; implicit-def: $vgpr2
	s_and_saveexec_b64 s[70:71], vcc
	s_xor_b64 s[70:71], exec, s[70:71]
	s_cbranch_execz .LBB4_3606
; %bb.3605:                             ;   in Loop: Header=BB4_3353 Depth=3
	v_ffbh_u32_e32 v7, v3
	v_min_u32_e32 v7, 32, v7
	v_mov_b32_e32 v39, v43
	v_subrev_u32_e32 v27, 29, v7
	v_bfe_u32 v2, v38, 2, 5
	v_lshlrev_b64 v[36:37], v27, v[38:39]
	v_sub_u32_e32 v7, 30, v7
	v_and_b32_e32 v27, 3, v36
	v_cmp_eq_u32_e32 vcc, 0, v2
	v_cndmask_b32_e32 v2, v2, v7, vcc
	v_cndmask_b32_e32 v3, v3, v27, vcc
	v_bfrev_b32_e32 v27, 28
	v_lshlrev_b32_e32 v7, 16, v26
	v_lshl_add_u32 v2, v2, 23, v27
	v_and_or_b32 v2, v7, s96, v2
	v_lshl_or_b32 v2, v3, 21, v2
                                        ; implicit-def: $vgpr3
.LBB4_3606:                             ;   in Loop: Header=BB4_3353 Depth=3
	s_andn2_saveexec_b64 s[70:71], s[70:71]
; %bb.3607:                             ;   in Loop: Header=BB4_3353 Depth=3
	v_cmp_lt_i16_e32 vcc, -1, v26
	v_cndmask_b32_e32 v2, v6, v1, vcc
	v_cmp_eq_u32_e32 vcc, 0, v3
	v_mov_b32_e32 v3, 0x7f800001
	v_cndmask_b32_e32 v2, v3, v2, vcc
; %bb.3608:                             ;   in Loop: Header=BB4_3353 Depth=3
	s_or_b64 exec, exec, s[70:71]
.LBB4_3609:                             ;   in Loop: Header=BB4_3353 Depth=3
	s_or_b64 exec, exec, s[68:69]
.LBB4_3610:                             ;   in Loop: Header=BB4_3353 Depth=3
	s_or_b64 exec, exec, s[30:31]
	v_max_f32_e32 v2, v2, v2
	v_max_f32_e32 v0, v0, v0
	v_max_f32_e32 v2, v0, v2
	s_branch .LBB4_3629
.LBB4_3611:                             ;   in Loop: Header=BB4_3353 Depth=3
                                        ; implicit-def: $vgpr2
	s_cbranch_execz .LBB4_3629
; %bb.3612:                             ;   in Loop: Header=BB4_3353 Depth=3
	v_mov_b32_e32 v2, 0
	v_mov_b32_e32 v0, 0
	s_and_saveexec_b64 s[30:31], s[28:29]
	s_cbranch_execz .LBB4_3620
; %bb.3613:                             ;   in Loop: Header=BB4_3353 Depth=3
	v_cmp_ne_u16_e32 vcc, s97, v52
	v_bfrev_b32_e32 v0, 1
	s_and_saveexec_b64 s[28:29], vcc
	s_cbranch_execz .LBB4_3619
; %bb.3614:                             ;   in Loop: Header=BB4_3353 Depth=3
	v_and_b32_e32 v0, 0x7c, v52
	v_and_b32_e32 v3, 3, v52
	v_cmp_ne_u32_e32 vcc, s95, v0
                                        ; implicit-def: $vgpr0
	s_and_saveexec_b64 s[68:69], vcc
	s_xor_b64 s[68:69], exec, s[68:69]
	s_cbranch_execz .LBB4_3616
; %bb.3615:                             ;   in Loop: Header=BB4_3353 Depth=3
	v_ffbh_u32_e32 v7, v3
	v_min_u32_e32 v7, 32, v7
	v_mov_b32_e32 v53, v43
	v_subrev_u32_e32 v27, 29, v7
	v_bfe_u32 v0, v52, 2, 5
	v_lshlrev_b64 v[36:37], v27, v[52:53]
	v_sub_u32_e32 v7, 30, v7
	v_and_b32_e32 v27, 3, v36
	v_cmp_eq_u32_e32 vcc, 0, v0
	v_cndmask_b32_e32 v0, v0, v7, vcc
	v_cndmask_b32_e32 v3, v3, v27, vcc
	v_bfrev_b32_e32 v27, 28
	v_lshlrev_b32_e32 v7, 16, v42
	v_lshl_add_u32 v0, v0, 23, v27
	v_and_or_b32 v0, v7, s96, v0
	v_lshl_or_b32 v0, v3, 21, v0
                                        ; implicit-def: $vgpr3
.LBB4_3616:                             ;   in Loop: Header=BB4_3353 Depth=3
	s_andn2_saveexec_b64 s[68:69], s[68:69]
; %bb.3617:                             ;   in Loop: Header=BB4_3353 Depth=3
	v_cmp_lt_i16_e32 vcc, -1, v42
	v_cndmask_b32_e32 v0, v6, v1, vcc
	v_cmp_eq_u32_e32 vcc, 0, v3
	v_mov_b32_e32 v3, 0x7f800001
	v_cndmask_b32_e32 v0, v3, v0, vcc
; %bb.3618:                             ;   in Loop: Header=BB4_3353 Depth=3
	s_or_b64 exec, exec, s[68:69]
.LBB4_3619:                             ;   in Loop: Header=BB4_3353 Depth=3
	s_or_b64 exec, exec, s[28:29]
.LBB4_3620:                             ;   in Loop: Header=BB4_3353 Depth=3
	s_or_b64 exec, exec, s[30:31]
	v_cmp_ne_u16_e32 vcc, 0, v38
	s_and_saveexec_b64 s[28:29], vcc
	s_cbranch_execz .LBB4_3628
; %bb.3621:                             ;   in Loop: Header=BB4_3353 Depth=3
	v_cmp_ne_u16_e32 vcc, s97, v38
	v_bfrev_b32_e32 v2, 1
	s_and_saveexec_b64 s[30:31], vcc
	s_cbranch_execz .LBB4_3627
; %bb.3622:                             ;   in Loop: Header=BB4_3353 Depth=3
	v_and_b32_e32 v2, 0x7c, v38
	v_and_b32_e32 v3, 3, v38
	v_cmp_ne_u32_e32 vcc, s95, v2
                                        ; implicit-def: $vgpr2
	s_and_saveexec_b64 s[68:69], vcc
	s_xor_b64 s[68:69], exec, s[68:69]
	s_cbranch_execz .LBB4_3624
; %bb.3623:                             ;   in Loop: Header=BB4_3353 Depth=3
	v_ffbh_u32_e32 v7, v3
	v_bfe_u32 v2, v38, 2, 5
	v_min_u32_e32 v7, 32, v7
	v_mov_b32_e32 v39, v43
	v_subrev_u32_e32 v27, 29, v7
	v_sub_u32_e32 v7, 30, v7
	v_cmp_eq_u32_e32 vcc, 0, v2
	v_lshlrev_b64 v[36:37], v27, v[38:39]
	v_cndmask_b32_e32 v2, v2, v7, vcc
	v_lshlrev_b32_e32 v7, 16, v26
	v_bfrev_b32_e32 v26, 28
	v_and_b32_e32 v27, 3, v36
	v_lshl_add_u32 v2, v2, 23, v26
	v_cndmask_b32_e32 v3, v3, v27, vcc
	v_and_or_b32 v2, v7, s96, v2
	v_lshl_or_b32 v2, v3, 21, v2
                                        ; implicit-def: $vgpr3
                                        ; implicit-def: $vgpr26_vgpr27
.LBB4_3624:                             ;   in Loop: Header=BB4_3353 Depth=3
	s_andn2_saveexec_b64 s[68:69], s[68:69]
; %bb.3625:                             ;   in Loop: Header=BB4_3353 Depth=3
	v_cmp_lt_i16_e32 vcc, -1, v26
	v_cndmask_b32_e32 v2, v6, v1, vcc
	v_cmp_eq_u32_e32 vcc, 0, v3
	v_mov_b32_e32 v3, 0x7f800001
	v_cndmask_b32_e32 v2, v3, v2, vcc
; %bb.3626:                             ;   in Loop: Header=BB4_3353 Depth=3
	s_or_b64 exec, exec, s[68:69]
.LBB4_3627:                             ;   in Loop: Header=BB4_3353 Depth=3
	s_or_b64 exec, exec, s[30:31]
.LBB4_3628:                             ;   in Loop: Header=BB4_3353 Depth=3
	s_or_b64 exec, exec, s[28:29]
	v_max_f32_e32 v2, v2, v2
	v_max_f32_e32 v0, v0, v0
	v_min_f32_e32 v2, v0, v2
.LBB4_3629:                             ;   in Loop: Header=BB4_3353 Depth=3
	v_and_b32_sdwa v0, v2, s97 dst_sel:DWORD dst_unused:UNUSED_PAD src0_sel:BYTE_3 src1_sel:DWORD
	v_and_b32_e32 v26, 0x7f800000, v2
	v_mov_b32_e32 v27, v43
	v_and_b32_e32 v42, 0x7fffff, v2
	v_or_b32_e32 v39, 0x7b, v0
	v_cmp_ne_u64_e32 vcc, s[52:53], v[26:27]
	s_and_saveexec_b64 s[28:29], vcc
	s_xor_b64 s[30:31], exec, s[28:29]
	s_cbranch_execz .LBB4_3639
; %bb.3630:                             ;   in Loop: Header=BB4_3353 Depth=3
	v_and_b32_e32 v26, 0x7fffffff, v2
	v_mov_b32_e32 v27, v43
	v_cmp_gt_u64_e32 vcc, s[54:55], v[26:27]
	s_and_saveexec_b64 s[68:69], vcc
	s_cbranch_execz .LBB4_3638
; %bb.3631:                             ;   in Loop: Header=BB4_3353 Depth=3
	v_cmp_ne_u32_e32 vcc, 0, v2
	v_mov_b32_e32 v39, 0
	s_and_saveexec_b64 s[70:71], vcc
	s_cbranch_execz .LBB4_3637
; %bb.3632:                             ;   in Loop: Header=BB4_3353 Depth=3
	v_bfe_u32 v2, v2, 23, 8
	v_sub_u32_e32 v7, 0x71, v2
	v_cmp_gt_u32_e32 vcc, s38, v2
	v_add_u32_e32 v3, 0xffffff81, v2
	v_cndmask_b32_e32 v7, 0, v7, vcc
	v_cmp_eq_u32_e32 vcc, 0, v2
	v_mov_b32_e32 v2, 0xffffff82
	v_cndmask_b32_e32 v30, v3, v2, vcc
	v_mov_b32_e32 v2, 0x70
	v_cndmask_b32_e32 v7, v7, v2, vcc
	v_add_u32_e32 v2, 21, v7
	v_or_b32_e32 v26, 0x800000, v42
	v_lshlrev_b64 v[2:3], v2, -1
	v_cndmask_b32_e32 v42, v26, v42, vcc
	v_not_b32_e32 v2, v2
	v_and_b32_e32 v26, v42, v2
	v_add_u32_e32 v2, 20, v7
	v_lshrrev_b64 v[38:39], v7, v[42:43]
	v_not_b32_e32 v3, v3
	v_lshlrev_b64 v[36:37], v2, 1
	v_lshrrev_b32_e32 v2, 23, v38
	v_and_b32_e32 v27, 0, v3
	v_add3_u32 v7, v7, v30, v2
	v_bfe_u32 v2, v38, 21, 1
	v_add_u32_e32 v2, -1, v2
	v_cmp_eq_u64_e32 vcc, v[26:27], v[36:37]
	v_cndmask_b32_e32 v2, 0, v2, vcc
	v_add_u32_e32 v2, v2, v38
	v_and_b32_e32 v2, 0x1fffff, v2
	v_add_co_u32_e32 v26, vcc, v2, v38
	v_add_u32_e32 v3, 14, v7
	v_addc_co_u32_e32 v27, vcc, 0, v39, vcc
	v_cmp_ne_u32_e32 vcc, 0, v3
                                        ; implicit-def: $vgpr2
	s_and_saveexec_b64 s[28:29], vcc
	s_xor_b64 s[28:29], exec, s[28:29]
; %bb.3633:                             ;   in Loop: Header=BB4_3353 Depth=3
	v_add_u32_e32 v2, 15, v7
	v_cmp_lt_u64_e32 vcc, s[56:57], v[26:27]
	v_cndmask_b32_e32 v2, v3, v2, vcc
	v_cndmask_b32_e64 v3, 0, 1, vcc
	v_lshrrev_b64 v[26:27], v3, v[26:27]
; %bb.3634:                             ;   in Loop: Header=BB4_3353 Depth=3
	s_andn2_saveexec_b64 s[28:29], s[28:29]
; %bb.3635:                             ;   in Loop: Header=BB4_3353 Depth=3
	v_bfe_u32 v2, v26, 23, 1
; %bb.3636:                             ;   in Loop: Header=BB4_3353 Depth=3
	s_or_b64 exec, exec, s[28:29]
	v_lshrrev_b64 v[26:27], 21, v[26:27]
	v_cmp_gt_i32_e32 vcc, 32, v2
	v_cndmask_b32_e32 v27, 0, v27, vcc
	v_cndmask_b32_e32 v26, 3, v26, vcc
	v_cmp_eq_u32_e32 vcc, 0, v2
	v_min_i32_e32 v2, 31, v2
	v_cmp_eq_u64_e64 s[28:29], 0, v[26:27]
	v_lshlrev_b32_e32 v2, 2, v2
	v_and_or_b32 v2, v26, 3, v2
	s_and_b64 s[28:29], vcc, s[28:29]
	v_cndmask_b32_e64 v2, v2, 0, s[28:29]
	v_or_b32_e32 v39, v2, v0
.LBB4_3637:                             ;   in Loop: Header=BB4_3353 Depth=3
	s_or_b64 exec, exec, s[70:71]
.LBB4_3638:                             ;   in Loop: Header=BB4_3353 Depth=3
	s_or_b64 exec, exec, s[68:69]
                                        ; implicit-def: $vgpr2
.LBB4_3639:                             ;   in Loop: Header=BB4_3353 Depth=3
	s_andn2_saveexec_b64 s[28:29], s[30:31]
; %bb.3640:                             ;   in Loop: Header=BB4_3353 Depth=3
	v_or_b32_sdwa v0, v2, s39 dst_sel:DWORD dst_unused:UNUSED_PAD src0_sel:BYTE_3 src1_sel:DWORD
	v_cmp_eq_u64_e32 vcc, 0, v[42:43]
	v_cndmask_b32_e32 v39, v0, v39, vcc
; %bb.3641:                             ;   in Loop: Header=BB4_3353 Depth=3
	s_or_b64 exec, exec, s[28:29]
	v_lshrrev_b32_e32 v38, 16, v21
	v_lshrrev_b32_e32 v26, 16, v17
	v_cmp_ne_u16_sdwa s[28:29], v38, v43 src0_sel:BYTE_0 src1_sel:DWORD
	s_and_b64 vcc, exec, s[66:67]
	s_cbranch_vccz .LBB4_3659
; %bb.3642:                             ;   in Loop: Header=BB4_3353 Depth=3
	v_mov_b32_e32 v2, 0
	v_mov_b32_e32 v0, 0
	s_and_saveexec_b64 s[30:31], s[28:29]
	s_cbranch_execz .LBB4_3650
; %bb.3643:                             ;   in Loop: Header=BB4_3353 Depth=3
	v_cmp_ne_u16_sdwa vcc, v38, s97 src0_sel:BYTE_0 src1_sel:DWORD
	v_bfrev_b32_e32 v0, 1
	s_and_saveexec_b64 s[68:69], vcc
	s_cbranch_execz .LBB4_3649
; %bb.3644:                             ;   in Loop: Header=BB4_3353 Depth=3
	v_and_b32_e32 v0, 0x7c0000, v21
	v_bfe_u32 v3, v21, 16, 2
	v_cmp_ne_u32_e32 vcc, s36, v0
                                        ; implicit-def: $vgpr0
	s_and_saveexec_b64 s[70:71], vcc
	s_xor_b64 s[70:71], exec, s[70:71]
	s_cbranch_execz .LBB4_3646
; %bb.3645:                             ;   in Loop: Header=BB4_3353 Depth=3
	v_ffbh_u32_e32 v7, v3
	v_min_u32_e32 v7, 32, v7
	v_subrev_u32_e32 v27, 29, v7
	v_bfe_u32 v0, v21, 18, 5
	v_lshlrev_b64 v[36:37], v27, v[38:39]
	v_sub_u32_e32 v7, 30, v7
	v_and_b32_e32 v27, 3, v36
	v_cmp_eq_u32_e32 vcc, 0, v0
	v_cndmask_b32_e32 v0, v0, v7, vcc
	v_cndmask_b32_e32 v3, v3, v27, vcc
	v_bfrev_b32_e32 v27, 28
	v_lshlrev_b32_e32 v7, 24, v38
	v_lshl_add_u32 v0, v0, 23, v27
	v_and_or_b32 v0, v7, s96, v0
	v_lshl_or_b32 v0, v3, 21, v0
                                        ; implicit-def: $vgpr3
.LBB4_3646:                             ;   in Loop: Header=BB4_3353 Depth=3
	s_andn2_saveexec_b64 s[70:71], s[70:71]
; %bb.3647:                             ;   in Loop: Header=BB4_3353 Depth=3
	v_mov_b32_e32 v0, -1
	v_cmp_gt_i16_sdwa vcc, sext(v38), v0 src0_sel:BYTE_0 src1_sel:DWORD
	v_cndmask_b32_e32 v0, v6, v1, vcc
	v_cmp_eq_u32_e32 vcc, 0, v3
	v_mov_b32_e32 v3, 0x7f800001
	v_cndmask_b32_e32 v0, v3, v0, vcc
; %bb.3648:                             ;   in Loop: Header=BB4_3353 Depth=3
	s_or_b64 exec, exec, s[70:71]
.LBB4_3649:                             ;   in Loop: Header=BB4_3353 Depth=3
	s_or_b64 exec, exec, s[68:69]
.LBB4_3650:                             ;   in Loop: Header=BB4_3353 Depth=3
	s_or_b64 exec, exec, s[30:31]
	v_cmp_ne_u16_sdwa vcc, v26, v43 src0_sel:BYTE_0 src1_sel:DWORD
	s_and_saveexec_b64 s[30:31], vcc
	s_cbranch_execz .LBB4_3658
; %bb.3651:                             ;   in Loop: Header=BB4_3353 Depth=3
	v_cmp_ne_u16_sdwa vcc, v26, s97 src0_sel:BYTE_0 src1_sel:DWORD
	v_bfrev_b32_e32 v2, 1
	s_and_saveexec_b64 s[68:69], vcc
	s_cbranch_execz .LBB4_3657
; %bb.3652:                             ;   in Loop: Header=BB4_3353 Depth=3
	v_and_b32_e32 v2, 0x7c0000, v17
	v_bfe_u32 v3, v17, 16, 2
	v_cmp_ne_u32_e32 vcc, s36, v2
                                        ; implicit-def: $vgpr2
	s_and_saveexec_b64 s[70:71], vcc
	s_xor_b64 s[70:71], exec, s[70:71]
	s_cbranch_execz .LBB4_3654
; %bb.3653:                             ;   in Loop: Header=BB4_3353 Depth=3
	v_ffbh_u32_e32 v7, v3
	v_min_u32_e32 v7, 32, v7
	v_subrev_u32_e32 v27, 29, v7
	v_bfe_u32 v2, v17, 18, 5
	v_lshlrev_b64 v[36:37], v27, v[26:27]
	v_sub_u32_e32 v7, 30, v7
	v_and_b32_e32 v27, 3, v36
	v_cmp_eq_u32_e32 vcc, 0, v2
	v_cndmask_b32_e32 v2, v2, v7, vcc
	v_cndmask_b32_e32 v3, v3, v27, vcc
	v_bfrev_b32_e32 v27, 28
	v_lshlrev_b32_e32 v7, 24, v26
	v_lshl_add_u32 v2, v2, 23, v27
	v_and_or_b32 v2, v7, s96, v2
	v_lshl_or_b32 v2, v3, 21, v2
                                        ; implicit-def: $vgpr3
.LBB4_3654:                             ;   in Loop: Header=BB4_3353 Depth=3
	s_andn2_saveexec_b64 s[70:71], s[70:71]
; %bb.3655:                             ;   in Loop: Header=BB4_3353 Depth=3
	v_mov_b32_e32 v2, -1
	v_cmp_gt_i16_sdwa vcc, sext(v26), v2 src0_sel:BYTE_0 src1_sel:DWORD
	v_cndmask_b32_e32 v2, v6, v1, vcc
	v_cmp_eq_u32_e32 vcc, 0, v3
	v_mov_b32_e32 v3, 0x7f800001
	v_cndmask_b32_e32 v2, v3, v2, vcc
; %bb.3656:                             ;   in Loop: Header=BB4_3353 Depth=3
	s_or_b64 exec, exec, s[70:71]
.LBB4_3657:                             ;   in Loop: Header=BB4_3353 Depth=3
	s_or_b64 exec, exec, s[68:69]
.LBB4_3658:                             ;   in Loop: Header=BB4_3353 Depth=3
	s_or_b64 exec, exec, s[30:31]
	v_max_f32_e32 v2, v2, v2
	v_max_f32_e32 v0, v0, v0
	;; [unrolled: 1-line block ×3, first 2 shown]
	s_branch .LBB4_3677
.LBB4_3659:                             ;   in Loop: Header=BB4_3353 Depth=3
                                        ; implicit-def: $vgpr2
	s_cbranch_execz .LBB4_3677
; %bb.3660:                             ;   in Loop: Header=BB4_3353 Depth=3
	v_mov_b32_e32 v2, 0
	v_mov_b32_e32 v0, 0
	s_and_saveexec_b64 s[30:31], s[28:29]
	s_cbranch_execz .LBB4_3668
; %bb.3661:                             ;   in Loop: Header=BB4_3353 Depth=3
	v_cmp_ne_u16_sdwa vcc, v38, s97 src0_sel:BYTE_0 src1_sel:DWORD
	v_bfrev_b32_e32 v0, 1
	s_and_saveexec_b64 s[28:29], vcc
	s_cbranch_execz .LBB4_3667
; %bb.3662:                             ;   in Loop: Header=BB4_3353 Depth=3
	v_and_b32_e32 v0, 0x7c0000, v21
	v_bfe_u32 v3, v21, 16, 2
	v_cmp_ne_u32_e32 vcc, s36, v0
                                        ; implicit-def: $vgpr0
	s_and_saveexec_b64 s[68:69], vcc
	s_xor_b64 s[68:69], exec, s[68:69]
	s_cbranch_execz .LBB4_3664
; %bb.3663:                             ;   in Loop: Header=BB4_3353 Depth=3
	v_ffbh_u32_e32 v7, v3
	v_min_u32_e32 v7, 32, v7
	v_subrev_u32_e32 v27, 29, v7
	v_bfe_u32 v0, v21, 18, 5
	v_lshlrev_b64 v[36:37], v27, v[38:39]
	v_sub_u32_e32 v7, 30, v7
	v_and_b32_e32 v27, 3, v36
	v_cmp_eq_u32_e32 vcc, 0, v0
	v_cndmask_b32_e32 v0, v0, v7, vcc
	v_cndmask_b32_e32 v3, v3, v27, vcc
	v_bfrev_b32_e32 v27, 28
	v_lshlrev_b32_e32 v7, 24, v38
	v_lshl_add_u32 v0, v0, 23, v27
	v_and_or_b32 v0, v7, s96, v0
	v_lshl_or_b32 v0, v3, 21, v0
                                        ; implicit-def: $vgpr3
                                        ; implicit-def: $vgpr38
.LBB4_3664:                             ;   in Loop: Header=BB4_3353 Depth=3
	s_andn2_saveexec_b64 s[68:69], s[68:69]
; %bb.3665:                             ;   in Loop: Header=BB4_3353 Depth=3
	v_mov_b32_e32 v0, -1
	v_cmp_gt_i16_sdwa vcc, sext(v38), v0 src0_sel:BYTE_0 src1_sel:DWORD
	v_cndmask_b32_e32 v0, v6, v1, vcc
	v_cmp_eq_u32_e32 vcc, 0, v3
	v_mov_b32_e32 v3, 0x7f800001
	v_cndmask_b32_e32 v0, v3, v0, vcc
; %bb.3666:                             ;   in Loop: Header=BB4_3353 Depth=3
	s_or_b64 exec, exec, s[68:69]
.LBB4_3667:                             ;   in Loop: Header=BB4_3353 Depth=3
	s_or_b64 exec, exec, s[28:29]
.LBB4_3668:                             ;   in Loop: Header=BB4_3353 Depth=3
	s_or_b64 exec, exec, s[30:31]
	v_cmp_ne_u16_sdwa vcc, v26, v43 src0_sel:BYTE_0 src1_sel:DWORD
	s_and_saveexec_b64 s[28:29], vcc
	s_cbranch_execz .LBB4_3676
; %bb.3669:                             ;   in Loop: Header=BB4_3353 Depth=3
	v_cmp_ne_u16_sdwa vcc, v26, s97 src0_sel:BYTE_0 src1_sel:DWORD
	v_bfrev_b32_e32 v2, 1
	s_and_saveexec_b64 s[30:31], vcc
	s_cbranch_execz .LBB4_3675
; %bb.3670:                             ;   in Loop: Header=BB4_3353 Depth=3
	v_and_b32_e32 v2, 0x7c0000, v17
	v_bfe_u32 v3, v17, 16, 2
	v_cmp_ne_u32_e32 vcc, s36, v2
                                        ; implicit-def: $vgpr2
	s_and_saveexec_b64 s[68:69], vcc
	s_xor_b64 s[68:69], exec, s[68:69]
	s_cbranch_execz .LBB4_3672
; %bb.3671:                             ;   in Loop: Header=BB4_3353 Depth=3
	v_ffbh_u32_e32 v7, v3
	v_bfe_u32 v2, v17, 18, 5
	v_min_u32_e32 v7, 32, v7
	v_subrev_u32_e32 v27, 29, v7
	v_sub_u32_e32 v7, 30, v7
	v_cmp_eq_u32_e32 vcc, 0, v2
	v_lshlrev_b64 v[36:37], v27, v[26:27]
	v_cndmask_b32_e32 v2, v2, v7, vcc
	v_lshlrev_b32_e32 v7, 24, v26
	v_bfrev_b32_e32 v26, 28
	v_and_b32_e32 v27, 3, v36
	v_lshl_add_u32 v2, v2, 23, v26
	v_cndmask_b32_e32 v3, v3, v27, vcc
	v_and_or_b32 v2, v7, s96, v2
	v_lshl_or_b32 v2, v3, 21, v2
                                        ; implicit-def: $vgpr3
                                        ; implicit-def: $vgpr26
.LBB4_3672:                             ;   in Loop: Header=BB4_3353 Depth=3
	s_andn2_saveexec_b64 s[68:69], s[68:69]
; %bb.3673:                             ;   in Loop: Header=BB4_3353 Depth=3
	v_mov_b32_e32 v2, -1
	v_cmp_gt_i16_sdwa vcc, sext(v26), v2 src0_sel:BYTE_0 src1_sel:DWORD
	v_cndmask_b32_e32 v2, v6, v1, vcc
	v_cmp_eq_u32_e32 vcc, 0, v3
	v_mov_b32_e32 v3, 0x7f800001
	v_cndmask_b32_e32 v2, v3, v2, vcc
; %bb.3674:                             ;   in Loop: Header=BB4_3353 Depth=3
	s_or_b64 exec, exec, s[68:69]
.LBB4_3675:                             ;   in Loop: Header=BB4_3353 Depth=3
	s_or_b64 exec, exec, s[30:31]
.LBB4_3676:                             ;   in Loop: Header=BB4_3353 Depth=3
	s_or_b64 exec, exec, s[28:29]
	v_max_f32_e32 v2, v2, v2
	v_max_f32_e32 v0, v0, v0
	v_min_f32_e32 v2, v0, v2
.LBB4_3677:                             ;   in Loop: Header=BB4_3353 Depth=3
	v_and_b32_sdwa v0, v2, s97 dst_sel:DWORD dst_unused:UNUSED_PAD src0_sel:BYTE_3 src1_sel:DWORD
	v_and_b32_e32 v26, 0x7f800000, v2
	v_mov_b32_e32 v27, v43
	v_and_b32_e32 v42, 0x7fffff, v2
	v_or_b32_e32 v52, 0x7b, v0
	v_cmp_ne_u64_e32 vcc, s[52:53], v[26:27]
	s_and_saveexec_b64 s[28:29], vcc
	s_xor_b64 s[30:31], exec, s[28:29]
	s_cbranch_execz .LBB4_3687
; %bb.3678:                             ;   in Loop: Header=BB4_3353 Depth=3
	v_and_b32_e32 v26, 0x7fffffff, v2
	v_mov_b32_e32 v27, v43
	v_cmp_gt_u64_e32 vcc, s[54:55], v[26:27]
	s_and_saveexec_b64 s[68:69], vcc
	s_cbranch_execz .LBB4_3686
; %bb.3679:                             ;   in Loop: Header=BB4_3353 Depth=3
	v_cmp_ne_u32_e32 vcc, 0, v2
	v_mov_b32_e32 v52, 0
	s_and_saveexec_b64 s[70:71], vcc
	s_cbranch_execz .LBB4_3685
; %bb.3680:                             ;   in Loop: Header=BB4_3353 Depth=3
	v_bfe_u32 v2, v2, 23, 8
	v_sub_u32_e32 v7, 0x71, v2
	v_cmp_gt_u32_e32 vcc, s38, v2
	v_add_u32_e32 v3, 0xffffff81, v2
	v_cndmask_b32_e32 v7, 0, v7, vcc
	v_cmp_eq_u32_e32 vcc, 0, v2
	v_mov_b32_e32 v2, 0xffffff82
	v_cndmask_b32_e32 v30, v3, v2, vcc
	v_mov_b32_e32 v2, 0x70
	v_cndmask_b32_e32 v7, v7, v2, vcc
	v_add_u32_e32 v2, 21, v7
	v_or_b32_e32 v26, 0x800000, v42
	v_lshlrev_b64 v[2:3], v2, -1
	v_cndmask_b32_e32 v42, v26, v42, vcc
	v_not_b32_e32 v2, v2
	v_and_b32_e32 v26, v42, v2
	v_add_u32_e32 v2, 20, v7
	v_lshrrev_b64 v[50:51], v7, v[42:43]
	v_not_b32_e32 v3, v3
	v_lshlrev_b64 v[36:37], v2, 1
	v_lshrrev_b32_e32 v2, 23, v50
	v_and_b32_e32 v27, 0, v3
	v_add3_u32 v7, v7, v30, v2
	v_bfe_u32 v2, v50, 21, 1
	v_add_u32_e32 v2, -1, v2
	v_cmp_eq_u64_e32 vcc, v[26:27], v[36:37]
	v_cndmask_b32_e32 v2, 0, v2, vcc
	v_add_u32_e32 v2, v2, v50
	v_and_b32_e32 v2, 0x1fffff, v2
	v_add_co_u32_e32 v26, vcc, v2, v50
	v_add_u32_e32 v3, 14, v7
	v_addc_co_u32_e32 v27, vcc, 0, v51, vcc
	v_cmp_ne_u32_e32 vcc, 0, v3
                                        ; implicit-def: $vgpr2
	s_and_saveexec_b64 s[28:29], vcc
	s_xor_b64 s[28:29], exec, s[28:29]
; %bb.3681:                             ;   in Loop: Header=BB4_3353 Depth=3
	v_add_u32_e32 v2, 15, v7
	v_cmp_lt_u64_e32 vcc, s[56:57], v[26:27]
	v_cndmask_b32_e32 v2, v3, v2, vcc
	v_cndmask_b32_e64 v3, 0, 1, vcc
	v_lshrrev_b64 v[26:27], v3, v[26:27]
; %bb.3682:                             ;   in Loop: Header=BB4_3353 Depth=3
	s_andn2_saveexec_b64 s[28:29], s[28:29]
; %bb.3683:                             ;   in Loop: Header=BB4_3353 Depth=3
	v_bfe_u32 v2, v26, 23, 1
; %bb.3684:                             ;   in Loop: Header=BB4_3353 Depth=3
	s_or_b64 exec, exec, s[28:29]
	v_lshrrev_b64 v[26:27], 21, v[26:27]
	v_cmp_gt_i32_e32 vcc, 32, v2
	v_cndmask_b32_e32 v27, 0, v27, vcc
	v_cndmask_b32_e32 v26, 3, v26, vcc
	v_cmp_eq_u32_e32 vcc, 0, v2
	v_min_i32_e32 v2, 31, v2
	v_cmp_eq_u64_e64 s[28:29], 0, v[26:27]
	v_lshlrev_b32_e32 v2, 2, v2
	v_and_or_b32 v2, v26, 3, v2
	s_and_b64 s[28:29], vcc, s[28:29]
	v_cndmask_b32_e64 v2, v2, 0, s[28:29]
	v_or_b32_e32 v52, v2, v0
.LBB4_3685:                             ;   in Loop: Header=BB4_3353 Depth=3
	s_or_b64 exec, exec, s[70:71]
.LBB4_3686:                             ;   in Loop: Header=BB4_3353 Depth=3
	s_or_b64 exec, exec, s[68:69]
                                        ; implicit-def: $vgpr2
.LBB4_3687:                             ;   in Loop: Header=BB4_3353 Depth=3
	s_andn2_saveexec_b64 s[28:29], s[30:31]
; %bb.3688:                             ;   in Loop: Header=BB4_3353 Depth=3
	v_or_b32_sdwa v0, v2, s39 dst_sel:DWORD dst_unused:UNUSED_PAD src0_sel:BYTE_3 src1_sel:DWORD
	v_cmp_eq_u64_e32 vcc, 0, v[42:43]
	v_cndmask_b32_e32 v52, v0, v52, vcc
; %bb.3689:                             ;   in Loop: Header=BB4_3353 Depth=3
	s_or_b64 exec, exec, s[28:29]
	v_lshrrev_b32_e32 v38, 24, v21
	v_lshrrev_b32_e32 v26, 24, v17
	v_cmp_lt_u64_e64 s[28:29], s[42:43], v[20:21]
	s_and_b64 vcc, exec, s[66:67]
	s_cbranch_vccz .LBB4_3707
; %bb.3690:                             ;   in Loop: Header=BB4_3353 Depth=3
	v_mov_b32_e32 v2, 0
	v_mov_b32_e32 v0, 0
	s_and_saveexec_b64 s[30:31], s[28:29]
	s_cbranch_execz .LBB4_3698
; %bb.3691:                             ;   in Loop: Header=BB4_3353 Depth=3
	v_cmp_ne_u32_e32 vcc, s97, v38
	v_bfrev_b32_e32 v0, 1
	s_and_saveexec_b64 s[68:69], vcc
	s_cbranch_execz .LBB4_3697
; %bb.3692:                             ;   in Loop: Header=BB4_3353 Depth=3
	v_and_b32_e32 v0, 0x7c000000, v21
	v_bfe_u32 v3, v21, 24, 2
	v_cmp_ne_u32_e32 vcc, s37, v0
                                        ; implicit-def: $vgpr0
	s_and_saveexec_b64 s[70:71], vcc
	s_xor_b64 s[70:71], exec, s[70:71]
	s_cbranch_execz .LBB4_3694
; %bb.3693:                             ;   in Loop: Header=BB4_3353 Depth=3
	v_ffbh_u32_e32 v7, v3
	v_bfe_u32 v0, v21, 26, 5
	v_min_u32_e32 v7, 32, v7
	v_subrev_u32_e32 v27, 29, v7
	v_sub_u32_e32 v7, 30, v7
	v_cmp_eq_u32_e32 vcc, 0, v0
	v_lshlrev_b64 v[36:37], v27, v[38:39]
	v_cndmask_b32_e32 v0, v0, v7, vcc
	v_bfrev_b32_e32 v7, 28
	v_and_b32_e32 v27, 3, v36
	v_lshl_add_u32 v0, v0, 23, v7
	v_cndmask_b32_e32 v3, v3, v27, vcc
	v_and_or_b32 v0, v21, s96, v0
	v_lshl_or_b32 v0, v3, 21, v0
                                        ; implicit-def: $vgpr3
.LBB4_3694:                             ;   in Loop: Header=BB4_3353 Depth=3
	s_andn2_saveexec_b64 s[70:71], s[70:71]
; %bb.3695:                             ;   in Loop: Header=BB4_3353 Depth=3
	v_cmp_lt_i64_e32 vcc, -1, v[20:21]
	v_cndmask_b32_e32 v0, v6, v1, vcc
	v_cmp_eq_u32_e32 vcc, 0, v3
	v_mov_b32_e32 v3, 0x7f800001
	v_cndmask_b32_e32 v0, v3, v0, vcc
; %bb.3696:                             ;   in Loop: Header=BB4_3353 Depth=3
	s_or_b64 exec, exec, s[70:71]
.LBB4_3697:                             ;   in Loop: Header=BB4_3353 Depth=3
	s_or_b64 exec, exec, s[68:69]
.LBB4_3698:                             ;   in Loop: Header=BB4_3353 Depth=3
	s_or_b64 exec, exec, s[30:31]
	v_cmp_lt_u64_e32 vcc, s[42:43], v[16:17]
	s_and_saveexec_b64 s[30:31], vcc
	s_cbranch_execz .LBB4_3706
; %bb.3699:                             ;   in Loop: Header=BB4_3353 Depth=3
	v_cmp_ne_u32_e32 vcc, s97, v26
	v_bfrev_b32_e32 v2, 1
	s_and_saveexec_b64 s[68:69], vcc
	s_cbranch_execz .LBB4_3705
; %bb.3700:                             ;   in Loop: Header=BB4_3353 Depth=3
	v_and_b32_e32 v2, 0x7c000000, v17
	v_bfe_u32 v3, v17, 24, 2
	v_cmp_ne_u32_e32 vcc, s37, v2
                                        ; implicit-def: $vgpr2
	s_and_saveexec_b64 s[70:71], vcc
	s_xor_b64 s[70:71], exec, s[70:71]
	s_cbranch_execz .LBB4_3702
; %bb.3701:                             ;   in Loop: Header=BB4_3353 Depth=3
	v_ffbh_u32_e32 v7, v3
	v_bfe_u32 v2, v17, 26, 5
	v_min_u32_e32 v7, 32, v7
	v_subrev_u32_e32 v27, 29, v7
	v_sub_u32_e32 v7, 30, v7
	v_cmp_eq_u32_e32 vcc, 0, v2
	v_lshlrev_b64 v[36:37], v27, v[26:27]
	v_cndmask_b32_e32 v2, v2, v7, vcc
	v_bfrev_b32_e32 v7, 28
	v_and_b32_e32 v27, 3, v36
	v_lshl_add_u32 v2, v2, 23, v7
	v_cndmask_b32_e32 v3, v3, v27, vcc
	v_and_or_b32 v2, v17, s96, v2
	v_lshl_or_b32 v2, v3, 21, v2
                                        ; implicit-def: $vgpr3
.LBB4_3702:                             ;   in Loop: Header=BB4_3353 Depth=3
	s_andn2_saveexec_b64 s[70:71], s[70:71]
; %bb.3703:                             ;   in Loop: Header=BB4_3353 Depth=3
	v_cmp_lt_i64_e32 vcc, -1, v[16:17]
	v_cndmask_b32_e32 v2, v6, v1, vcc
	v_cmp_eq_u32_e32 vcc, 0, v3
	v_mov_b32_e32 v3, 0x7f800001
	v_cndmask_b32_e32 v2, v3, v2, vcc
; %bb.3704:                             ;   in Loop: Header=BB4_3353 Depth=3
	s_or_b64 exec, exec, s[70:71]
.LBB4_3705:                             ;   in Loop: Header=BB4_3353 Depth=3
	s_or_b64 exec, exec, s[68:69]
.LBB4_3706:                             ;   in Loop: Header=BB4_3353 Depth=3
	s_or_b64 exec, exec, s[30:31]
	v_max_f32_e32 v2, v2, v2
	v_max_f32_e32 v0, v0, v0
	;; [unrolled: 1-line block ×3, first 2 shown]
	s_branch .LBB4_3725
.LBB4_3707:                             ;   in Loop: Header=BB4_3353 Depth=3
                                        ; implicit-def: $vgpr2
	s_cbranch_execz .LBB4_3725
; %bb.3708:                             ;   in Loop: Header=BB4_3353 Depth=3
	v_mov_b32_e32 v2, 0
	v_mov_b32_e32 v0, 0
	s_and_saveexec_b64 s[30:31], s[28:29]
	s_cbranch_execz .LBB4_3716
; %bb.3709:                             ;   in Loop: Header=BB4_3353 Depth=3
	v_cmp_ne_u32_e32 vcc, s97, v38
	v_bfrev_b32_e32 v0, 1
	s_and_saveexec_b64 s[28:29], vcc
	s_cbranch_execz .LBB4_3715
; %bb.3710:                             ;   in Loop: Header=BB4_3353 Depth=3
	v_and_b32_e32 v0, 0x7c000000, v21
	v_bfe_u32 v3, v21, 24, 2
	v_cmp_ne_u32_e32 vcc, s37, v0
                                        ; implicit-def: $vgpr0
	s_and_saveexec_b64 s[68:69], vcc
	s_xor_b64 s[68:69], exec, s[68:69]
	s_cbranch_execz .LBB4_3712
; %bb.3711:                             ;   in Loop: Header=BB4_3353 Depth=3
	v_ffbh_u32_e32 v7, v3
	v_bfe_u32 v0, v21, 26, 5
	v_min_u32_e32 v7, 32, v7
	v_subrev_u32_e32 v20, 29, v7
	v_sub_u32_e32 v7, 30, v7
	v_cmp_eq_u32_e32 vcc, 0, v0
	v_lshlrev_b64 v[36:37], v20, v[38:39]
	v_cndmask_b32_e32 v0, v0, v7, vcc
	v_bfrev_b32_e32 v7, 28
	v_and_b32_e32 v20, 3, v36
	v_lshl_add_u32 v0, v0, 23, v7
	v_cndmask_b32_e32 v3, v3, v20, vcc
	v_and_or_b32 v0, v21, s96, v0
	v_lshl_or_b32 v0, v3, 21, v0
                                        ; implicit-def: $vgpr3
.LBB4_3712:                             ;   in Loop: Header=BB4_3353 Depth=3
	s_andn2_saveexec_b64 s[68:69], s[68:69]
; %bb.3713:                             ;   in Loop: Header=BB4_3353 Depth=3
	v_cmp_lt_i64_e32 vcc, -1, v[20:21]
	v_cndmask_b32_e32 v0, v6, v1, vcc
	v_cmp_eq_u32_e32 vcc, 0, v3
	v_mov_b32_e32 v3, 0x7f800001
	v_cndmask_b32_e32 v0, v3, v0, vcc
; %bb.3714:                             ;   in Loop: Header=BB4_3353 Depth=3
	s_or_b64 exec, exec, s[68:69]
.LBB4_3715:                             ;   in Loop: Header=BB4_3353 Depth=3
	s_or_b64 exec, exec, s[28:29]
.LBB4_3716:                             ;   in Loop: Header=BB4_3353 Depth=3
	s_or_b64 exec, exec, s[30:31]
	v_cmp_lt_u64_e32 vcc, s[42:43], v[16:17]
	s_and_saveexec_b64 s[28:29], vcc
	s_cbranch_execz .LBB4_3724
; %bb.3717:                             ;   in Loop: Header=BB4_3353 Depth=3
	v_cmp_ne_u32_e32 vcc, s97, v26
	v_bfrev_b32_e32 v2, 1
	s_and_saveexec_b64 s[30:31], vcc
	s_cbranch_execz .LBB4_3723
; %bb.3718:                             ;   in Loop: Header=BB4_3353 Depth=3
	v_and_b32_e32 v2, 0x7c000000, v17
	v_bfe_u32 v3, v17, 24, 2
	v_cmp_ne_u32_e32 vcc, s37, v2
                                        ; implicit-def: $vgpr2
	s_and_saveexec_b64 s[68:69], vcc
	s_xor_b64 s[68:69], exec, s[68:69]
	s_cbranch_execz .LBB4_3720
; %bb.3719:                             ;   in Loop: Header=BB4_3353 Depth=3
	v_ffbh_u32_e32 v7, v3
	v_bfe_u32 v2, v17, 26, 5
	v_min_u32_e32 v7, 32, v7
	v_subrev_u32_e32 v16, 29, v7
	v_sub_u32_e32 v7, 30, v7
	v_cmp_eq_u32_e32 vcc, 0, v2
	v_lshlrev_b64 v[20:21], v16, v[26:27]
	v_cndmask_b32_e32 v2, v2, v7, vcc
	v_bfrev_b32_e32 v7, 28
	v_and_b32_e32 v16, 3, v20
	v_lshl_add_u32 v2, v2, 23, v7
	v_cndmask_b32_e32 v3, v3, v16, vcc
	v_and_or_b32 v2, v17, s96, v2
	v_lshl_or_b32 v2, v3, 21, v2
                                        ; implicit-def: $vgpr3
.LBB4_3720:                             ;   in Loop: Header=BB4_3353 Depth=3
	s_andn2_saveexec_b64 s[68:69], s[68:69]
; %bb.3721:                             ;   in Loop: Header=BB4_3353 Depth=3
	v_cmp_lt_i64_e32 vcc, -1, v[16:17]
	v_cndmask_b32_e32 v2, v6, v1, vcc
	v_cmp_eq_u32_e32 vcc, 0, v3
	v_mov_b32_e32 v3, 0x7f800001
	v_cndmask_b32_e32 v2, v3, v2, vcc
; %bb.3722:                             ;   in Loop: Header=BB4_3353 Depth=3
	s_or_b64 exec, exec, s[68:69]
.LBB4_3723:                             ;   in Loop: Header=BB4_3353 Depth=3
	s_or_b64 exec, exec, s[30:31]
.LBB4_3724:                             ;   in Loop: Header=BB4_3353 Depth=3
	s_or_b64 exec, exec, s[28:29]
	v_max_f32_e32 v2, v2, v2
	v_max_f32_e32 v0, v0, v0
	v_min_f32_e32 v2, v0, v2
.LBB4_3725:                             ;   in Loop: Header=BB4_3353 Depth=3
	v_and_b32_sdwa v0, v2, s97 dst_sel:DWORD dst_unused:UNUSED_PAD src0_sel:BYTE_3 src1_sel:DWORD
	v_and_b32_e32 v16, 0x7f800000, v2
	v_mov_b32_e32 v17, v43
	v_and_b32_e32 v42, 0x7fffff, v2
	v_or_b32_e32 v38, 0x7b, v0
	v_cmp_ne_u64_e32 vcc, s[52:53], v[16:17]
	s_and_saveexec_b64 s[28:29], vcc
	s_xor_b64 s[30:31], exec, s[28:29]
	s_cbranch_execz .LBB4_3753
; %bb.3726:                             ;   in Loop: Header=BB4_3353 Depth=3
	v_and_b32_e32 v16, 0x7fffffff, v2
	v_mov_b32_e32 v17, v43
	v_cmp_gt_u64_e32 vcc, s[54:55], v[16:17]
	s_and_saveexec_b64 s[68:69], vcc
	s_cbranch_execz .LBB4_3734
; %bb.3727:                             ;   in Loop: Header=BB4_3353 Depth=3
	v_cmp_ne_u32_e32 vcc, 0, v2
	v_mov_b32_e32 v38, 0
	s_and_saveexec_b64 s[70:71], vcc
	s_cbranch_execz .LBB4_3733
; %bb.3728:                             ;   in Loop: Header=BB4_3353 Depth=3
	v_bfe_u32 v2, v2, 23, 8
	v_sub_u32_e32 v7, 0x71, v2
	v_cmp_gt_u32_e32 vcc, s38, v2
	v_add_u32_e32 v3, 0xffffff81, v2
	v_cndmask_b32_e32 v7, 0, v7, vcc
	v_cmp_eq_u32_e32 vcc, 0, v2
	v_mov_b32_e32 v2, 0xffffff82
	v_cndmask_b32_e32 v30, v3, v2, vcc
	v_mov_b32_e32 v2, 0x70
	v_cndmask_b32_e32 v7, v7, v2, vcc
	v_add_u32_e32 v2, 21, v7
	v_or_b32_e32 v16, 0x800000, v42
	v_lshlrev_b64 v[2:3], v2, -1
	v_cndmask_b32_e32 v42, v16, v42, vcc
	v_not_b32_e32 v2, v2
	v_and_b32_e32 v16, v42, v2
	v_add_u32_e32 v2, 20, v7
	v_lshrrev_b64 v[26:27], v7, v[42:43]
	v_not_b32_e32 v3, v3
	v_lshlrev_b64 v[20:21], v2, 1
	v_lshrrev_b32_e32 v2, 23, v26
	v_and_b32_e32 v17, 0, v3
	v_add3_u32 v7, v7, v30, v2
	v_bfe_u32 v2, v26, 21, 1
	v_add_u32_e32 v2, -1, v2
	v_cmp_eq_u64_e32 vcc, v[16:17], v[20:21]
	v_cndmask_b32_e32 v2, 0, v2, vcc
	v_add_u32_e32 v2, v2, v26
	v_and_b32_e32 v2, 0x1fffff, v2
	v_add_co_u32_e32 v16, vcc, v2, v26
	v_add_u32_e32 v3, 14, v7
	v_addc_co_u32_e32 v17, vcc, 0, v27, vcc
	v_cmp_ne_u32_e32 vcc, 0, v3
                                        ; implicit-def: $vgpr2
	s_and_saveexec_b64 s[28:29], vcc
	s_xor_b64 s[28:29], exec, s[28:29]
; %bb.3729:                             ;   in Loop: Header=BB4_3353 Depth=3
	v_add_u32_e32 v2, 15, v7
	v_cmp_lt_u64_e32 vcc, s[56:57], v[16:17]
	v_cndmask_b32_e32 v2, v3, v2, vcc
	v_cndmask_b32_e64 v3, 0, 1, vcc
	v_lshrrev_b64 v[16:17], v3, v[16:17]
; %bb.3730:                             ;   in Loop: Header=BB4_3353 Depth=3
	s_andn2_saveexec_b64 s[28:29], s[28:29]
; %bb.3731:                             ;   in Loop: Header=BB4_3353 Depth=3
	v_bfe_u32 v2, v16, 23, 1
; %bb.3732:                             ;   in Loop: Header=BB4_3353 Depth=3
	s_or_b64 exec, exec, s[28:29]
	v_lshrrev_b64 v[16:17], 21, v[16:17]
	v_cmp_gt_i32_e32 vcc, 32, v2
	v_cndmask_b32_e32 v17, 0, v17, vcc
	v_cndmask_b32_e32 v16, 3, v16, vcc
	v_cmp_eq_u32_e32 vcc, 0, v2
	v_min_i32_e32 v2, 31, v2
	v_lshlrev_b32_e32 v2, 2, v2
	v_cmp_eq_u64_e64 s[28:29], 0, v[16:17]
	v_and_b32_e32 v2, 0xfc, v2
	v_and_or_b32 v2, v16, 3, v2
	s_and_b64 s[28:29], vcc, s[28:29]
	v_cndmask_b32_e64 v2, v2, 0, s[28:29]
	v_or_b32_e32 v38, v2, v0
.LBB4_3733:                             ;   in Loop: Header=BB4_3353 Depth=3
	s_or_b64 exec, exec, s[70:71]
.LBB4_3734:                             ;   in Loop: Header=BB4_3353 Depth=3
	s_or_b64 exec, exec, s[68:69]
                                        ; implicit-def: $vgpr2
	s_andn2_saveexec_b64 s[28:29], s[30:31]
	s_cbranch_execnz .LBB4_3754
.LBB4_3735:                             ;   in Loop: Header=BB4_3353 Depth=3
	s_or_b64 exec, exec, s[28:29]
	v_cmp_ne_u16_sdwa s[28:29], v22, v43 src0_sel:BYTE_0 src1_sel:DWORD
	s_and_b64 vcc, exec, s[66:67]
	s_cbranch_vccz .LBB4_3755
.LBB4_3736:                             ;   in Loop: Header=BB4_3353 Depth=3
	v_mov_b32_e32 v2, 0
	v_mov_b32_e32 v0, 0
	s_and_saveexec_b64 s[30:31], s[28:29]
	s_cbranch_execz .LBB4_3744
; %bb.3737:                             ;   in Loop: Header=BB4_3353 Depth=3
	v_cmp_ne_u16_sdwa vcc, sext(v22), s94 src0_sel:BYTE_0 src1_sel:DWORD
	v_bfrev_b32_e32 v0, 1
	s_and_saveexec_b64 s[68:69], vcc
	s_cbranch_execz .LBB4_3743
; %bb.3738:                             ;   in Loop: Header=BB4_3353 Depth=3
	v_and_b32_e32 v0, 0x7c, v22
	v_and_b32_e32 v3, 3, v22
	v_cmp_ne_u32_e32 vcc, s95, v0
                                        ; implicit-def: $vgpr0
	s_and_saveexec_b64 s[70:71], vcc
	s_xor_b64 s[70:71], exec, s[70:71]
	s_cbranch_execz .LBB4_3740
; %bb.3739:                             ;   in Loop: Header=BB4_3353 Depth=3
	v_ffbh_u32_e32 v7, v3
	v_min_u32_e32 v7, 32, v7
	v_subrev_u32_e32 v16, 29, v7
	v_bfe_u32 v0, v22, 2, 5
	v_lshlrev_b64 v[16:17], v16, v[22:23]
	v_sub_u32_e32 v7, 30, v7
	v_and_b32_e32 v16, 3, v16
	v_cmp_eq_u32_e32 vcc, 0, v0
	v_cndmask_b32_e32 v0, v0, v7, vcc
	v_cndmask_b32_e32 v3, v3, v16, vcc
	v_bfrev_b32_e32 v16, 28
	v_lshlrev_b32_e32 v7, 24, v22
	v_lshl_add_u32 v0, v0, 23, v16
	v_and_or_b32 v0, v7, s96, v0
	v_lshl_or_b32 v0, v3, 21, v0
                                        ; implicit-def: $vgpr3
.LBB4_3740:                             ;   in Loop: Header=BB4_3353 Depth=3
	s_andn2_saveexec_b64 s[70:71], s[70:71]
; %bb.3741:                             ;   in Loop: Header=BB4_3353 Depth=3
	v_mov_b32_e32 v0, -1
	v_cmp_gt_i16_sdwa vcc, sext(v22), v0 src0_sel:BYTE_0 src1_sel:DWORD
	v_cndmask_b32_e32 v0, v6, v1, vcc
	v_cmp_eq_u32_e32 vcc, 0, v3
	v_mov_b32_e32 v3, 0x7f800001
	v_cndmask_b32_e32 v0, v3, v0, vcc
; %bb.3742:                             ;   in Loop: Header=BB4_3353 Depth=3
	s_or_b64 exec, exec, s[70:71]
.LBB4_3743:                             ;   in Loop: Header=BB4_3353 Depth=3
	s_or_b64 exec, exec, s[68:69]
.LBB4_3744:                             ;   in Loop: Header=BB4_3353 Depth=3
	s_or_b64 exec, exec, s[30:31]
	v_cmp_ne_u16_sdwa vcc, sext(v18), v43 src0_sel:BYTE_0 src1_sel:DWORD
	s_and_saveexec_b64 s[30:31], vcc
	s_cbranch_execz .LBB4_3752
; %bb.3745:                             ;   in Loop: Header=BB4_3353 Depth=3
	v_cmp_ne_u16_sdwa vcc, sext(v18), s94 src0_sel:BYTE_0 src1_sel:DWORD
	v_bfrev_b32_e32 v2, 1
	s_and_saveexec_b64 s[68:69], vcc
	s_cbranch_execz .LBB4_3751
; %bb.3746:                             ;   in Loop: Header=BB4_3353 Depth=3
	v_and_b32_e32 v2, 0x7c, v18
	v_and_b32_e32 v3, 3, v18
	v_cmp_ne_u32_e32 vcc, s95, v2
                                        ; implicit-def: $vgpr2
	s_and_saveexec_b64 s[70:71], vcc
	s_xor_b64 s[70:71], exec, s[70:71]
	s_cbranch_execz .LBB4_3748
; %bb.3747:                             ;   in Loop: Header=BB4_3353 Depth=3
	v_ffbh_u32_e32 v7, v3
	v_min_u32_e32 v7, 32, v7
	v_subrev_u32_e32 v16, 29, v7
	v_bfe_u32 v2, v18, 2, 5
	v_lshlrev_b64 v[16:17], v16, v[18:19]
	v_sub_u32_e32 v7, 30, v7
	v_and_b32_e32 v16, 3, v16
	v_cmp_eq_u32_e32 vcc, 0, v2
	v_cndmask_b32_e32 v2, v2, v7, vcc
	v_cndmask_b32_e32 v3, v3, v16, vcc
	v_bfrev_b32_e32 v16, 28
	v_lshlrev_b32_e32 v7, 24, v18
	v_lshl_add_u32 v2, v2, 23, v16
	v_and_or_b32 v2, v7, s96, v2
	v_lshl_or_b32 v2, v3, 21, v2
                                        ; implicit-def: $vgpr3
.LBB4_3748:                             ;   in Loop: Header=BB4_3353 Depth=3
	s_andn2_saveexec_b64 s[70:71], s[70:71]
; %bb.3749:                             ;   in Loop: Header=BB4_3353 Depth=3
	v_mov_b32_e32 v2, -1
	v_cmp_gt_i16_sdwa vcc, sext(v18), v2 src0_sel:BYTE_0 src1_sel:DWORD
	v_cndmask_b32_e32 v2, v6, v1, vcc
	v_cmp_eq_u32_e32 vcc, 0, v3
	v_mov_b32_e32 v3, 0x7f800001
	v_cndmask_b32_e32 v2, v3, v2, vcc
; %bb.3750:                             ;   in Loop: Header=BB4_3353 Depth=3
	s_or_b64 exec, exec, s[70:71]
.LBB4_3751:                             ;   in Loop: Header=BB4_3353 Depth=3
	s_or_b64 exec, exec, s[68:69]
.LBB4_3752:                             ;   in Loop: Header=BB4_3353 Depth=3
	s_or_b64 exec, exec, s[30:31]
	v_max_f32_e32 v2, v2, v2
	v_max_f32_e32 v0, v0, v0
	;; [unrolled: 1-line block ×3, first 2 shown]
	s_branch .LBB4_3773
.LBB4_3753:                             ;   in Loop: Header=BB4_3353 Depth=3
	s_andn2_saveexec_b64 s[28:29], s[30:31]
	s_cbranch_execz .LBB4_3735
.LBB4_3754:                             ;   in Loop: Header=BB4_3353 Depth=3
	v_or_b32_sdwa v0, v2, s39 dst_sel:DWORD dst_unused:UNUSED_PAD src0_sel:BYTE_3 src1_sel:DWORD
	v_cmp_eq_u64_e32 vcc, 0, v[42:43]
	v_cndmask_b32_e32 v38, v0, v38, vcc
	s_or_b64 exec, exec, s[28:29]
	v_cmp_ne_u16_sdwa s[28:29], v22, v43 src0_sel:BYTE_0 src1_sel:DWORD
	s_and_b64 vcc, exec, s[66:67]
	s_cbranch_vccnz .LBB4_3736
.LBB4_3755:                             ;   in Loop: Header=BB4_3353 Depth=3
                                        ; implicit-def: $vgpr2
	s_cbranch_execz .LBB4_3773
; %bb.3756:                             ;   in Loop: Header=BB4_3353 Depth=3
	v_mov_b32_e32 v2, 0
	v_mov_b32_e32 v0, 0
	s_and_saveexec_b64 s[30:31], s[28:29]
	s_cbranch_execz .LBB4_3764
; %bb.3757:                             ;   in Loop: Header=BB4_3353 Depth=3
	v_cmp_ne_u16_sdwa vcc, sext(v22), s94 src0_sel:BYTE_0 src1_sel:DWORD
	v_bfrev_b32_e32 v0, 1
	s_and_saveexec_b64 s[28:29], vcc
	s_cbranch_execz .LBB4_3763
; %bb.3758:                             ;   in Loop: Header=BB4_3353 Depth=3
	v_and_b32_e32 v0, 0x7c, v22
	v_and_b32_e32 v3, 3, v22
	v_cmp_ne_u32_e32 vcc, s95, v0
                                        ; implicit-def: $vgpr0
	s_and_saveexec_b64 s[68:69], vcc
	s_xor_b64 s[68:69], exec, s[68:69]
	s_cbranch_execz .LBB4_3760
; %bb.3759:                             ;   in Loop: Header=BB4_3353 Depth=3
	v_ffbh_u32_e32 v7, v3
	v_min_u32_e32 v7, 32, v7
	v_subrev_u32_e32 v16, 29, v7
	v_bfe_u32 v0, v22, 2, 5
	v_lshlrev_b64 v[16:17], v16, v[22:23]
	v_sub_u32_e32 v7, 30, v7
	v_and_b32_e32 v16, 3, v16
	v_cmp_eq_u32_e32 vcc, 0, v0
	v_cndmask_b32_e32 v0, v0, v7, vcc
	v_cndmask_b32_e32 v3, v3, v16, vcc
	v_bfrev_b32_e32 v16, 28
	v_lshlrev_b32_e32 v7, 24, v22
	v_lshl_add_u32 v0, v0, 23, v16
	v_and_or_b32 v0, v7, s96, v0
	v_lshl_or_b32 v0, v3, 21, v0
                                        ; implicit-def: $vgpr3
.LBB4_3760:                             ;   in Loop: Header=BB4_3353 Depth=3
	s_andn2_saveexec_b64 s[68:69], s[68:69]
; %bb.3761:                             ;   in Loop: Header=BB4_3353 Depth=3
	v_mov_b32_e32 v0, -1
	v_cmp_gt_i16_sdwa vcc, sext(v22), v0 src0_sel:BYTE_0 src1_sel:DWORD
	v_cndmask_b32_e32 v0, v6, v1, vcc
	v_cmp_eq_u32_e32 vcc, 0, v3
	v_mov_b32_e32 v3, 0x7f800001
	v_cndmask_b32_e32 v0, v3, v0, vcc
; %bb.3762:                             ;   in Loop: Header=BB4_3353 Depth=3
	s_or_b64 exec, exec, s[68:69]
.LBB4_3763:                             ;   in Loop: Header=BB4_3353 Depth=3
	s_or_b64 exec, exec, s[28:29]
.LBB4_3764:                             ;   in Loop: Header=BB4_3353 Depth=3
	s_or_b64 exec, exec, s[30:31]
	v_cmp_ne_u16_sdwa vcc, sext(v18), v43 src0_sel:BYTE_0 src1_sel:DWORD
	s_and_saveexec_b64 s[28:29], vcc
	s_cbranch_execz .LBB4_3772
; %bb.3765:                             ;   in Loop: Header=BB4_3353 Depth=3
	v_cmp_ne_u16_sdwa vcc, sext(v18), s94 src0_sel:BYTE_0 src1_sel:DWORD
	v_bfrev_b32_e32 v2, 1
	s_and_saveexec_b64 s[30:31], vcc
	s_cbranch_execz .LBB4_3771
; %bb.3766:                             ;   in Loop: Header=BB4_3353 Depth=3
	v_and_b32_e32 v2, 0x7c, v18
	v_and_b32_e32 v3, 3, v18
	v_cmp_ne_u32_e32 vcc, s95, v2
                                        ; implicit-def: $vgpr2
	s_and_saveexec_b64 s[68:69], vcc
	s_xor_b64 s[68:69], exec, s[68:69]
	s_cbranch_execz .LBB4_3768
; %bb.3767:                             ;   in Loop: Header=BB4_3353 Depth=3
	v_ffbh_u32_e32 v7, v3
	v_min_u32_e32 v7, 32, v7
	v_subrev_u32_e32 v16, 29, v7
	v_bfe_u32 v2, v18, 2, 5
	v_lshlrev_b64 v[16:17], v16, v[18:19]
	v_sub_u32_e32 v7, 30, v7
	v_and_b32_e32 v16, 3, v16
	v_cmp_eq_u32_e32 vcc, 0, v2
	v_cndmask_b32_e32 v2, v2, v7, vcc
	v_cndmask_b32_e32 v3, v3, v16, vcc
	v_bfrev_b32_e32 v16, 28
	v_lshlrev_b32_e32 v7, 24, v18
	v_lshl_add_u32 v2, v2, 23, v16
	v_and_or_b32 v2, v7, s96, v2
	v_lshl_or_b32 v2, v3, 21, v2
                                        ; implicit-def: $vgpr3
.LBB4_3768:                             ;   in Loop: Header=BB4_3353 Depth=3
	s_andn2_saveexec_b64 s[68:69], s[68:69]
; %bb.3769:                             ;   in Loop: Header=BB4_3353 Depth=3
	v_mov_b32_e32 v2, -1
	v_cmp_gt_i16_sdwa vcc, sext(v18), v2 src0_sel:BYTE_0 src1_sel:DWORD
	v_cndmask_b32_e32 v2, v6, v1, vcc
	v_cmp_eq_u32_e32 vcc, 0, v3
	v_mov_b32_e32 v3, 0x7f800001
	v_cndmask_b32_e32 v2, v3, v2, vcc
; %bb.3770:                             ;   in Loop: Header=BB4_3353 Depth=3
	s_or_b64 exec, exec, s[68:69]
.LBB4_3771:                             ;   in Loop: Header=BB4_3353 Depth=3
	s_or_b64 exec, exec, s[30:31]
.LBB4_3772:                             ;   in Loop: Header=BB4_3353 Depth=3
	s_or_b64 exec, exec, s[28:29]
	v_max_f32_e32 v2, v2, v2
	v_max_f32_e32 v0, v0, v0
	v_min_f32_e32 v2, v0, v2
.LBB4_3773:                             ;   in Loop: Header=BB4_3353 Depth=3
	v_and_b32_sdwa v0, v2, s97 dst_sel:DWORD dst_unused:UNUSED_PAD src0_sel:BYTE_3 src1_sel:DWORD
	v_and_b32_e32 v16, 0x7f800000, v2
	v_mov_b32_e32 v17, v43
	v_and_b32_e32 v42, 0x7fffff, v2
	v_or_b32_e32 v53, 0x7b, v0
	v_cmp_ne_u64_e32 vcc, s[52:53], v[16:17]
	s_and_saveexec_b64 s[28:29], vcc
	s_xor_b64 s[30:31], exec, s[28:29]
	s_cbranch_execz .LBB4_3783
; %bb.3774:                             ;   in Loop: Header=BB4_3353 Depth=3
	v_and_b32_e32 v16, 0x7fffffff, v2
	v_mov_b32_e32 v17, v43
	v_cmp_gt_u64_e32 vcc, s[54:55], v[16:17]
	s_and_saveexec_b64 s[68:69], vcc
	s_cbranch_execz .LBB4_3782
; %bb.3775:                             ;   in Loop: Header=BB4_3353 Depth=3
	v_cmp_ne_u32_e32 vcc, 0, v2
	v_mov_b32_e32 v53, 0
	s_and_saveexec_b64 s[70:71], vcc
	s_cbranch_execz .LBB4_3781
; %bb.3776:                             ;   in Loop: Header=BB4_3353 Depth=3
	v_bfe_u32 v2, v2, 23, 8
	v_sub_u32_e32 v7, 0x71, v2
	v_cmp_gt_u32_e32 vcc, s38, v2
	v_add_u32_e32 v3, 0xffffff81, v2
	v_cndmask_b32_e32 v7, 0, v7, vcc
	v_cmp_eq_u32_e32 vcc, 0, v2
	v_mov_b32_e32 v2, 0xffffff82
	v_cndmask_b32_e32 v30, v3, v2, vcc
	v_mov_b32_e32 v2, 0x70
	v_cndmask_b32_e32 v7, v7, v2, vcc
	v_add_u32_e32 v2, 21, v7
	v_or_b32_e32 v16, 0x800000, v42
	v_lshlrev_b64 v[2:3], v2, -1
	v_cndmask_b32_e32 v42, v16, v42, vcc
	v_not_b32_e32 v2, v2
	v_and_b32_e32 v16, v42, v2
	v_add_u32_e32 v2, 20, v7
	v_lshrrev_b64 v[26:27], v7, v[42:43]
	v_not_b32_e32 v3, v3
	v_lshlrev_b64 v[20:21], v2, 1
	v_lshrrev_b32_e32 v2, 23, v26
	v_and_b32_e32 v17, 0, v3
	v_add3_u32 v7, v7, v30, v2
	v_bfe_u32 v2, v26, 21, 1
	v_add_u32_e32 v2, -1, v2
	v_cmp_eq_u64_e32 vcc, v[16:17], v[20:21]
	v_cndmask_b32_e32 v2, 0, v2, vcc
	v_add_u32_e32 v2, v2, v26
	v_and_b32_e32 v2, 0x1fffff, v2
	v_add_co_u32_e32 v16, vcc, v2, v26
	v_add_u32_e32 v3, 14, v7
	v_addc_co_u32_e32 v17, vcc, 0, v27, vcc
	v_cmp_ne_u32_e32 vcc, 0, v3
                                        ; implicit-def: $vgpr2
	s_and_saveexec_b64 s[28:29], vcc
	s_xor_b64 s[28:29], exec, s[28:29]
; %bb.3777:                             ;   in Loop: Header=BB4_3353 Depth=3
	v_add_u32_e32 v2, 15, v7
	v_cmp_lt_u64_e32 vcc, s[56:57], v[16:17]
	v_cndmask_b32_e32 v2, v3, v2, vcc
	v_cndmask_b32_e64 v3, 0, 1, vcc
	v_lshrrev_b64 v[16:17], v3, v[16:17]
; %bb.3778:                             ;   in Loop: Header=BB4_3353 Depth=3
	s_andn2_saveexec_b64 s[28:29], s[28:29]
; %bb.3779:                             ;   in Loop: Header=BB4_3353 Depth=3
	v_bfe_u32 v2, v16, 23, 1
; %bb.3780:                             ;   in Loop: Header=BB4_3353 Depth=3
	s_or_b64 exec, exec, s[28:29]
	v_lshrrev_b64 v[16:17], 21, v[16:17]
	v_cmp_gt_i32_e32 vcc, 32, v2
	v_cndmask_b32_e32 v17, 0, v17, vcc
	v_cndmask_b32_e32 v16, 3, v16, vcc
	v_cmp_eq_u32_e32 vcc, 0, v2
	v_min_i32_e32 v2, 31, v2
	v_cmp_eq_u64_e64 s[28:29], 0, v[16:17]
	v_lshlrev_b32_e32 v2, 2, v2
	v_and_or_b32 v2, v16, 3, v2
	s_and_b64 s[28:29], vcc, s[28:29]
	v_cndmask_b32_e64 v2, v2, 0, s[28:29]
	v_or_b32_e32 v53, v2, v0
.LBB4_3781:                             ;   in Loop: Header=BB4_3353 Depth=3
	s_or_b64 exec, exec, s[70:71]
.LBB4_3782:                             ;   in Loop: Header=BB4_3353 Depth=3
	s_or_b64 exec, exec, s[68:69]
                                        ; implicit-def: $vgpr2
.LBB4_3783:                             ;   in Loop: Header=BB4_3353 Depth=3
	s_andn2_saveexec_b64 s[28:29], s[30:31]
; %bb.3784:                             ;   in Loop: Header=BB4_3353 Depth=3
	v_or_b32_sdwa v0, v2, s39 dst_sel:DWORD dst_unused:UNUSED_PAD src0_sel:BYTE_3 src1_sel:DWORD
	v_cmp_eq_u64_e32 vcc, 0, v[42:43]
	v_cndmask_b32_e32 v53, v0, v53, vcc
; %bb.3785:                             ;   in Loop: Header=BB4_3353 Depth=3
	s_or_b64 exec, exec, s[28:29]
	v_lshrrev_b16_e32 v42, 8, v22
	v_lshrrev_b16_e32 v16, 8, v18
	v_cmp_ne_u16_e64 s[28:29], 0, v42
	s_and_b64 vcc, exec, s[66:67]
	s_cbranch_vccz .LBB4_3803
; %bb.3786:                             ;   in Loop: Header=BB4_3353 Depth=3
	v_mov_b32_e32 v2, 0
	v_mov_b32_e32 v0, 0
	s_and_saveexec_b64 s[30:31], s[28:29]
	s_cbranch_execz .LBB4_3794
; %bb.3787:                             ;   in Loop: Header=BB4_3353 Depth=3
	v_cmp_ne_u16_e32 vcc, s97, v42
	v_bfrev_b32_e32 v0, 1
	s_and_saveexec_b64 s[68:69], vcc
	s_cbranch_execz .LBB4_3793
; %bb.3788:                             ;   in Loop: Header=BB4_3353 Depth=3
	v_and_b32_e32 v0, 0x7c, v42
	v_and_b32_e32 v3, 3, v42
	v_cmp_ne_u32_e32 vcc, s95, v0
                                        ; implicit-def: $vgpr0
	s_and_saveexec_b64 s[70:71], vcc
	s_xor_b64 s[70:71], exec, s[70:71]
	s_cbranch_execz .LBB4_3790
; %bb.3789:                             ;   in Loop: Header=BB4_3353 Depth=3
	v_ffbh_u32_e32 v7, v3
	v_min_u32_e32 v7, 32, v7
	v_subrev_u32_e32 v17, 29, v7
	v_bfe_u32 v0, v42, 2, 5
	v_lshlrev_b64 v[20:21], v17, v[42:43]
	v_sub_u32_e32 v7, 30, v7
	v_and_b32_e32 v17, 3, v20
	v_cmp_eq_u32_e32 vcc, 0, v0
	v_cndmask_b32_e32 v0, v0, v7, vcc
	v_cndmask_b32_e32 v3, v3, v17, vcc
	v_bfrev_b32_e32 v17, 28
	v_lshlrev_b32_e32 v7, 16, v22
	v_lshl_add_u32 v0, v0, 23, v17
	v_and_or_b32 v0, v7, s96, v0
	v_lshl_or_b32 v0, v3, 21, v0
                                        ; implicit-def: $vgpr3
.LBB4_3790:                             ;   in Loop: Header=BB4_3353 Depth=3
	s_andn2_saveexec_b64 s[70:71], s[70:71]
; %bb.3791:                             ;   in Loop: Header=BB4_3353 Depth=3
	v_cmp_lt_i16_e32 vcc, -1, v22
	v_cndmask_b32_e32 v0, v6, v1, vcc
	v_cmp_eq_u32_e32 vcc, 0, v3
	v_mov_b32_e32 v3, 0x7f800001
	v_cndmask_b32_e32 v0, v3, v0, vcc
; %bb.3792:                             ;   in Loop: Header=BB4_3353 Depth=3
	s_or_b64 exec, exec, s[70:71]
.LBB4_3793:                             ;   in Loop: Header=BB4_3353 Depth=3
	s_or_b64 exec, exec, s[68:69]
.LBB4_3794:                             ;   in Loop: Header=BB4_3353 Depth=3
	s_or_b64 exec, exec, s[30:31]
	v_cmp_ne_u16_e32 vcc, 0, v16
	s_and_saveexec_b64 s[30:31], vcc
	s_cbranch_execz .LBB4_3802
; %bb.3795:                             ;   in Loop: Header=BB4_3353 Depth=3
	v_cmp_ne_u16_e32 vcc, s97, v16
	v_bfrev_b32_e32 v2, 1
	s_and_saveexec_b64 s[68:69], vcc
	s_cbranch_execz .LBB4_3801
; %bb.3796:                             ;   in Loop: Header=BB4_3353 Depth=3
	v_and_b32_e32 v2, 0x7c, v16
	v_and_b32_e32 v3, 3, v16
	v_cmp_ne_u32_e32 vcc, s95, v2
                                        ; implicit-def: $vgpr2
	s_and_saveexec_b64 s[70:71], vcc
	s_xor_b64 s[70:71], exec, s[70:71]
	s_cbranch_execz .LBB4_3798
; %bb.3797:                             ;   in Loop: Header=BB4_3353 Depth=3
	v_ffbh_u32_e32 v7, v3
	v_min_u32_e32 v7, 32, v7
	v_mov_b32_e32 v17, v43
	v_subrev_u32_e32 v20, 29, v7
	v_bfe_u32 v2, v16, 2, 5
	v_lshlrev_b64 v[20:21], v20, v[16:17]
	v_sub_u32_e32 v7, 30, v7
	v_and_b32_e32 v17, 3, v20
	v_cmp_eq_u32_e32 vcc, 0, v2
	v_cndmask_b32_e32 v2, v2, v7, vcc
	v_cndmask_b32_e32 v3, v3, v17, vcc
	v_bfrev_b32_e32 v17, 28
	v_lshlrev_b32_e32 v7, 16, v18
	v_lshl_add_u32 v2, v2, 23, v17
	v_and_or_b32 v2, v7, s96, v2
	v_lshl_or_b32 v2, v3, 21, v2
                                        ; implicit-def: $vgpr3
.LBB4_3798:                             ;   in Loop: Header=BB4_3353 Depth=3
	s_andn2_saveexec_b64 s[70:71], s[70:71]
; %bb.3799:                             ;   in Loop: Header=BB4_3353 Depth=3
	v_cmp_lt_i16_e32 vcc, -1, v18
	v_cndmask_b32_e32 v2, v6, v1, vcc
	v_cmp_eq_u32_e32 vcc, 0, v3
	v_mov_b32_e32 v3, 0x7f800001
	v_cndmask_b32_e32 v2, v3, v2, vcc
; %bb.3800:                             ;   in Loop: Header=BB4_3353 Depth=3
	s_or_b64 exec, exec, s[70:71]
.LBB4_3801:                             ;   in Loop: Header=BB4_3353 Depth=3
	s_or_b64 exec, exec, s[68:69]
.LBB4_3802:                             ;   in Loop: Header=BB4_3353 Depth=3
	s_or_b64 exec, exec, s[30:31]
	v_max_f32_e32 v2, v2, v2
	v_max_f32_e32 v0, v0, v0
	;; [unrolled: 1-line block ×3, first 2 shown]
	s_branch .LBB4_3821
.LBB4_3803:                             ;   in Loop: Header=BB4_3353 Depth=3
                                        ; implicit-def: $vgpr2
	s_cbranch_execz .LBB4_3821
; %bb.3804:                             ;   in Loop: Header=BB4_3353 Depth=3
	v_mov_b32_e32 v2, 0
	v_mov_b32_e32 v0, 0
	s_and_saveexec_b64 s[30:31], s[28:29]
	s_cbranch_execz .LBB4_3812
; %bb.3805:                             ;   in Loop: Header=BB4_3353 Depth=3
	v_cmp_ne_u16_e32 vcc, s97, v42
	v_bfrev_b32_e32 v0, 1
	s_and_saveexec_b64 s[28:29], vcc
	s_cbranch_execz .LBB4_3811
; %bb.3806:                             ;   in Loop: Header=BB4_3353 Depth=3
	v_and_b32_e32 v0, 0x7c, v42
	v_and_b32_e32 v3, 3, v42
	v_cmp_ne_u32_e32 vcc, s95, v0
                                        ; implicit-def: $vgpr0
	s_and_saveexec_b64 s[68:69], vcc
	s_xor_b64 s[68:69], exec, s[68:69]
	s_cbranch_execz .LBB4_3808
; %bb.3807:                             ;   in Loop: Header=BB4_3353 Depth=3
	v_ffbh_u32_e32 v7, v3
	v_min_u32_e32 v7, 32, v7
	v_subrev_u32_e32 v17, 29, v7
	v_bfe_u32 v0, v42, 2, 5
	v_lshlrev_b64 v[20:21], v17, v[42:43]
	v_sub_u32_e32 v7, 30, v7
	v_and_b32_e32 v17, 3, v20
	v_cmp_eq_u32_e32 vcc, 0, v0
	v_cndmask_b32_e32 v0, v0, v7, vcc
	v_cndmask_b32_e32 v3, v3, v17, vcc
	v_bfrev_b32_e32 v17, 28
	v_lshlrev_b32_e32 v7, 16, v22
	v_lshl_add_u32 v0, v0, 23, v17
	v_and_or_b32 v0, v7, s96, v0
	v_lshl_or_b32 v0, v3, 21, v0
                                        ; implicit-def: $vgpr3
.LBB4_3808:                             ;   in Loop: Header=BB4_3353 Depth=3
	s_andn2_saveexec_b64 s[68:69], s[68:69]
; %bb.3809:                             ;   in Loop: Header=BB4_3353 Depth=3
	v_cmp_lt_i16_e32 vcc, -1, v22
	v_cndmask_b32_e32 v0, v6, v1, vcc
	v_cmp_eq_u32_e32 vcc, 0, v3
	v_mov_b32_e32 v3, 0x7f800001
	v_cndmask_b32_e32 v0, v3, v0, vcc
; %bb.3810:                             ;   in Loop: Header=BB4_3353 Depth=3
	s_or_b64 exec, exec, s[68:69]
.LBB4_3811:                             ;   in Loop: Header=BB4_3353 Depth=3
	s_or_b64 exec, exec, s[28:29]
.LBB4_3812:                             ;   in Loop: Header=BB4_3353 Depth=3
	s_or_b64 exec, exec, s[30:31]
	v_cmp_ne_u16_e32 vcc, 0, v16
	s_and_saveexec_b64 s[28:29], vcc
	s_cbranch_execz .LBB4_3820
; %bb.3813:                             ;   in Loop: Header=BB4_3353 Depth=3
	v_cmp_ne_u16_e32 vcc, s97, v16
	v_bfrev_b32_e32 v2, 1
	s_and_saveexec_b64 s[30:31], vcc
	s_cbranch_execz .LBB4_3819
; %bb.3814:                             ;   in Loop: Header=BB4_3353 Depth=3
	v_and_b32_e32 v2, 0x7c, v16
	v_and_b32_e32 v3, 3, v16
	v_cmp_ne_u32_e32 vcc, s95, v2
                                        ; implicit-def: $vgpr2
	s_and_saveexec_b64 s[68:69], vcc
	s_xor_b64 s[68:69], exec, s[68:69]
	s_cbranch_execz .LBB4_3816
; %bb.3815:                             ;   in Loop: Header=BB4_3353 Depth=3
	v_ffbh_u32_e32 v7, v3
	v_min_u32_e32 v7, 32, v7
	v_mov_b32_e32 v17, v43
	v_subrev_u32_e32 v20, 29, v7
	v_bfe_u32 v2, v16, 2, 5
	v_lshlrev_b64 v[16:17], v20, v[16:17]
	v_sub_u32_e32 v7, 30, v7
	v_and_b32_e32 v16, 3, v16
	v_cmp_eq_u32_e32 vcc, 0, v2
	v_cndmask_b32_e32 v2, v2, v7, vcc
	v_cndmask_b32_e32 v3, v3, v16, vcc
	v_bfrev_b32_e32 v16, 28
	v_lshlrev_b32_e32 v7, 16, v18
	v_lshl_add_u32 v2, v2, 23, v16
	v_and_or_b32 v2, v7, s96, v2
	v_lshl_or_b32 v2, v3, 21, v2
                                        ; implicit-def: $vgpr3
.LBB4_3816:                             ;   in Loop: Header=BB4_3353 Depth=3
	s_andn2_saveexec_b64 s[68:69], s[68:69]
; %bb.3817:                             ;   in Loop: Header=BB4_3353 Depth=3
	v_cmp_lt_i16_e32 vcc, -1, v18
	v_cndmask_b32_e32 v2, v6, v1, vcc
	v_cmp_eq_u32_e32 vcc, 0, v3
	v_mov_b32_e32 v3, 0x7f800001
	v_cndmask_b32_e32 v2, v3, v2, vcc
; %bb.3818:                             ;   in Loop: Header=BB4_3353 Depth=3
	s_or_b64 exec, exec, s[68:69]
.LBB4_3819:                             ;   in Loop: Header=BB4_3353 Depth=3
	s_or_b64 exec, exec, s[30:31]
.LBB4_3820:                             ;   in Loop: Header=BB4_3353 Depth=3
	s_or_b64 exec, exec, s[28:29]
	v_max_f32_e32 v2, v2, v2
	v_max_f32_e32 v0, v0, v0
	v_min_f32_e32 v2, v0, v2
.LBB4_3821:                             ;   in Loop: Header=BB4_3353 Depth=3
	v_and_b32_sdwa v0, v2, s97 dst_sel:DWORD dst_unused:UNUSED_PAD src0_sel:BYTE_3 src1_sel:DWORD
	v_and_b32_e32 v16, 0x7f800000, v2
	v_mov_b32_e32 v17, v43
	v_and_b32_e32 v42, 0x7fffff, v2
	v_or_b32_e32 v59, 0x7b, v0
	v_cmp_ne_u64_e32 vcc, s[52:53], v[16:17]
	s_and_saveexec_b64 s[28:29], vcc
	s_xor_b64 s[30:31], exec, s[28:29]
	s_cbranch_execz .LBB4_3831
; %bb.3822:                             ;   in Loop: Header=BB4_3353 Depth=3
	v_and_b32_e32 v16, 0x7fffffff, v2
	v_mov_b32_e32 v17, v43
	v_cmp_gt_u64_e32 vcc, s[54:55], v[16:17]
	s_and_saveexec_b64 s[68:69], vcc
	s_cbranch_execz .LBB4_3830
; %bb.3823:                             ;   in Loop: Header=BB4_3353 Depth=3
	v_cmp_ne_u32_e32 vcc, 0, v2
	v_mov_b32_e32 v59, 0
	s_and_saveexec_b64 s[70:71], vcc
	s_cbranch_execz .LBB4_3829
; %bb.3824:                             ;   in Loop: Header=BB4_3353 Depth=3
	v_bfe_u32 v2, v2, 23, 8
	v_sub_u32_e32 v7, 0x71, v2
	v_cmp_gt_u32_e32 vcc, s38, v2
	v_add_u32_e32 v3, 0xffffff81, v2
	v_cndmask_b32_e32 v7, 0, v7, vcc
	v_cmp_eq_u32_e32 vcc, 0, v2
	v_mov_b32_e32 v2, 0xffffff82
	v_cndmask_b32_e32 v30, v3, v2, vcc
	v_mov_b32_e32 v2, 0x70
	v_cndmask_b32_e32 v7, v7, v2, vcc
	v_add_u32_e32 v2, 21, v7
	v_or_b32_e32 v16, 0x800000, v42
	v_lshlrev_b64 v[2:3], v2, -1
	v_cndmask_b32_e32 v42, v16, v42, vcc
	v_not_b32_e32 v2, v2
	v_and_b32_e32 v16, v42, v2
	v_add_u32_e32 v2, 20, v7
	v_lshrrev_b64 v[26:27], v7, v[42:43]
	v_not_b32_e32 v3, v3
	v_lshlrev_b64 v[20:21], v2, 1
	v_lshrrev_b32_e32 v2, 23, v26
	v_and_b32_e32 v17, 0, v3
	v_add3_u32 v7, v7, v30, v2
	v_bfe_u32 v2, v26, 21, 1
	v_add_u32_e32 v2, -1, v2
	v_cmp_eq_u64_e32 vcc, v[16:17], v[20:21]
	v_cndmask_b32_e32 v2, 0, v2, vcc
	v_add_u32_e32 v2, v2, v26
	v_and_b32_e32 v2, 0x1fffff, v2
	v_add_co_u32_e32 v16, vcc, v2, v26
	v_add_u32_e32 v3, 14, v7
	v_addc_co_u32_e32 v17, vcc, 0, v27, vcc
	v_cmp_ne_u32_e32 vcc, 0, v3
                                        ; implicit-def: $vgpr2
	s_and_saveexec_b64 s[28:29], vcc
	s_xor_b64 s[28:29], exec, s[28:29]
; %bb.3825:                             ;   in Loop: Header=BB4_3353 Depth=3
	v_add_u32_e32 v2, 15, v7
	v_cmp_lt_u64_e32 vcc, s[56:57], v[16:17]
	v_cndmask_b32_e32 v2, v3, v2, vcc
	v_cndmask_b32_e64 v3, 0, 1, vcc
	v_lshrrev_b64 v[16:17], v3, v[16:17]
; %bb.3826:                             ;   in Loop: Header=BB4_3353 Depth=3
	s_andn2_saveexec_b64 s[28:29], s[28:29]
; %bb.3827:                             ;   in Loop: Header=BB4_3353 Depth=3
	v_bfe_u32 v2, v16, 23, 1
; %bb.3828:                             ;   in Loop: Header=BB4_3353 Depth=3
	s_or_b64 exec, exec, s[28:29]
	v_lshrrev_b64 v[16:17], 21, v[16:17]
	v_cmp_gt_i32_e32 vcc, 32, v2
	v_cndmask_b32_e32 v17, 0, v17, vcc
	v_cndmask_b32_e32 v16, 3, v16, vcc
	v_cmp_eq_u32_e32 vcc, 0, v2
	v_min_i32_e32 v2, 31, v2
	v_cmp_eq_u64_e64 s[28:29], 0, v[16:17]
	v_lshlrev_b32_e32 v2, 2, v2
	v_and_or_b32 v2, v16, 3, v2
	s_and_b64 s[28:29], vcc, s[28:29]
	v_cndmask_b32_e64 v2, v2, 0, s[28:29]
	v_or_b32_e32 v59, v2, v0
.LBB4_3829:                             ;   in Loop: Header=BB4_3353 Depth=3
	s_or_b64 exec, exec, s[70:71]
.LBB4_3830:                             ;   in Loop: Header=BB4_3353 Depth=3
	s_or_b64 exec, exec, s[68:69]
                                        ; implicit-def: $vgpr2
.LBB4_3831:                             ;   in Loop: Header=BB4_3353 Depth=3
	s_andn2_saveexec_b64 s[28:29], s[30:31]
; %bb.3832:                             ;   in Loop: Header=BB4_3353 Depth=3
	v_or_b32_sdwa v0, v2, s39 dst_sel:DWORD dst_unused:UNUSED_PAD src0_sel:BYTE_3 src1_sel:DWORD
	v_cmp_eq_u64_e32 vcc, 0, v[42:43]
	v_cndmask_b32_e32 v59, v0, v59, vcc
; %bb.3833:                             ;   in Loop: Header=BB4_3353 Depth=3
	s_or_b64 exec, exec, s[28:29]
	v_lshrrev_b32_e32 v20, 16, v22
	v_lshrrev_b32_e32 v16, 16, v18
	v_cmp_ne_u16_sdwa s[28:29], v20, v43 src0_sel:BYTE_0 src1_sel:DWORD
	s_and_b64 vcc, exec, s[66:67]
	s_cbranch_vccz .LBB4_3851
; %bb.3834:                             ;   in Loop: Header=BB4_3353 Depth=3
	v_mov_b32_e32 v2, 0
	v_mov_b32_e32 v0, 0
	s_and_saveexec_b64 s[30:31], s[28:29]
	s_cbranch_execz .LBB4_3842
; %bb.3835:                             ;   in Loop: Header=BB4_3353 Depth=3
	v_cmp_ne_u16_sdwa vcc, v20, s97 src0_sel:BYTE_0 src1_sel:DWORD
	v_bfrev_b32_e32 v0, 1
	s_and_saveexec_b64 s[68:69], vcc
	s_cbranch_execz .LBB4_3841
; %bb.3836:                             ;   in Loop: Header=BB4_3353 Depth=3
	v_and_b32_e32 v0, 0x7c0000, v22
	v_bfe_u32 v3, v22, 16, 2
	v_cmp_ne_u32_e32 vcc, s36, v0
                                        ; implicit-def: $vgpr0
	s_and_saveexec_b64 s[70:71], vcc
	s_xor_b64 s[70:71], exec, s[70:71]
	s_cbranch_execz .LBB4_3838
; %bb.3837:                             ;   in Loop: Header=BB4_3353 Depth=3
	v_ffbh_u32_e32 v7, v3
	v_min_u32_e32 v7, 32, v7
	v_subrev_u32_e32 v17, 29, v7
	v_bfe_u32 v0, v22, 18, 5
	v_lshlrev_b64 v[26:27], v17, v[20:21]
	v_sub_u32_e32 v7, 30, v7
	v_and_b32_e32 v17, 3, v26
	v_cmp_eq_u32_e32 vcc, 0, v0
	v_cndmask_b32_e32 v0, v0, v7, vcc
	v_cndmask_b32_e32 v3, v3, v17, vcc
	v_bfrev_b32_e32 v17, 28
	v_lshlrev_b32_e32 v7, 24, v20
	v_lshl_add_u32 v0, v0, 23, v17
	v_and_or_b32 v0, v7, s96, v0
	v_lshl_or_b32 v0, v3, 21, v0
                                        ; implicit-def: $vgpr3
.LBB4_3838:                             ;   in Loop: Header=BB4_3353 Depth=3
	s_andn2_saveexec_b64 s[70:71], s[70:71]
; %bb.3839:                             ;   in Loop: Header=BB4_3353 Depth=3
	v_mov_b32_e32 v0, -1
	v_cmp_gt_i16_sdwa vcc, sext(v20), v0 src0_sel:BYTE_0 src1_sel:DWORD
	v_cndmask_b32_e32 v0, v6, v1, vcc
	v_cmp_eq_u32_e32 vcc, 0, v3
	v_mov_b32_e32 v3, 0x7f800001
	v_cndmask_b32_e32 v0, v3, v0, vcc
; %bb.3840:                             ;   in Loop: Header=BB4_3353 Depth=3
	s_or_b64 exec, exec, s[70:71]
.LBB4_3841:                             ;   in Loop: Header=BB4_3353 Depth=3
	s_or_b64 exec, exec, s[68:69]
.LBB4_3842:                             ;   in Loop: Header=BB4_3353 Depth=3
	s_or_b64 exec, exec, s[30:31]
	v_cmp_ne_u16_sdwa vcc, v16, v43 src0_sel:BYTE_0 src1_sel:DWORD
	s_and_saveexec_b64 s[30:31], vcc
	s_cbranch_execz .LBB4_3850
; %bb.3843:                             ;   in Loop: Header=BB4_3353 Depth=3
	v_cmp_ne_u16_sdwa vcc, v16, s97 src0_sel:BYTE_0 src1_sel:DWORD
	v_bfrev_b32_e32 v2, 1
	s_and_saveexec_b64 s[68:69], vcc
	s_cbranch_execz .LBB4_3849
; %bb.3844:                             ;   in Loop: Header=BB4_3353 Depth=3
	v_and_b32_e32 v2, 0x7c0000, v18
	v_bfe_u32 v3, v18, 16, 2
	v_cmp_ne_u32_e32 vcc, s36, v2
                                        ; implicit-def: $vgpr2
	s_and_saveexec_b64 s[70:71], vcc
	s_xor_b64 s[70:71], exec, s[70:71]
	s_cbranch_execz .LBB4_3846
; %bb.3845:                             ;   in Loop: Header=BB4_3353 Depth=3
	v_ffbh_u32_e32 v7, v3
	v_min_u32_e32 v7, 32, v7
	v_subrev_u32_e32 v17, 29, v7
	v_bfe_u32 v2, v18, 18, 5
	v_lshlrev_b64 v[26:27], v17, v[16:17]
	v_sub_u32_e32 v7, 30, v7
	v_and_b32_e32 v17, 3, v26
	v_cmp_eq_u32_e32 vcc, 0, v2
	v_cndmask_b32_e32 v2, v2, v7, vcc
	v_cndmask_b32_e32 v3, v3, v17, vcc
	v_bfrev_b32_e32 v17, 28
	v_lshlrev_b32_e32 v7, 24, v16
	v_lshl_add_u32 v2, v2, 23, v17
	v_and_or_b32 v2, v7, s96, v2
	v_lshl_or_b32 v2, v3, 21, v2
                                        ; implicit-def: $vgpr3
.LBB4_3846:                             ;   in Loop: Header=BB4_3353 Depth=3
	s_andn2_saveexec_b64 s[70:71], s[70:71]
; %bb.3847:                             ;   in Loop: Header=BB4_3353 Depth=3
	v_mov_b32_e32 v2, -1
	v_cmp_gt_i16_sdwa vcc, sext(v16), v2 src0_sel:BYTE_0 src1_sel:DWORD
	v_cndmask_b32_e32 v2, v6, v1, vcc
	v_cmp_eq_u32_e32 vcc, 0, v3
	v_mov_b32_e32 v3, 0x7f800001
	v_cndmask_b32_e32 v2, v3, v2, vcc
; %bb.3848:                             ;   in Loop: Header=BB4_3353 Depth=3
	s_or_b64 exec, exec, s[70:71]
.LBB4_3849:                             ;   in Loop: Header=BB4_3353 Depth=3
	s_or_b64 exec, exec, s[68:69]
.LBB4_3850:                             ;   in Loop: Header=BB4_3353 Depth=3
	s_or_b64 exec, exec, s[30:31]
	v_max_f32_e32 v2, v2, v2
	v_max_f32_e32 v0, v0, v0
	;; [unrolled: 1-line block ×3, first 2 shown]
	s_branch .LBB4_3869
.LBB4_3851:                             ;   in Loop: Header=BB4_3353 Depth=3
                                        ; implicit-def: $vgpr2
	s_cbranch_execz .LBB4_3869
; %bb.3852:                             ;   in Loop: Header=BB4_3353 Depth=3
	v_mov_b32_e32 v2, 0
	v_mov_b32_e32 v0, 0
	s_and_saveexec_b64 s[30:31], s[28:29]
	s_cbranch_execz .LBB4_3860
; %bb.3853:                             ;   in Loop: Header=BB4_3353 Depth=3
	v_cmp_ne_u16_sdwa vcc, v20, s97 src0_sel:BYTE_0 src1_sel:DWORD
	v_bfrev_b32_e32 v0, 1
	s_and_saveexec_b64 s[28:29], vcc
	s_cbranch_execz .LBB4_3859
; %bb.3854:                             ;   in Loop: Header=BB4_3353 Depth=3
	v_and_b32_e32 v0, 0x7c0000, v22
	v_bfe_u32 v3, v22, 16, 2
	v_cmp_ne_u32_e32 vcc, s36, v0
                                        ; implicit-def: $vgpr0
	s_and_saveexec_b64 s[68:69], vcc
	s_xor_b64 s[68:69], exec, s[68:69]
	s_cbranch_execz .LBB4_3856
; %bb.3855:                             ;   in Loop: Header=BB4_3353 Depth=3
	v_ffbh_u32_e32 v7, v3
	v_min_u32_e32 v7, 32, v7
	v_subrev_u32_e32 v17, 29, v7
	v_bfe_u32 v0, v22, 18, 5
	v_lshlrev_b64 v[26:27], v17, v[20:21]
	v_sub_u32_e32 v7, 30, v7
	v_and_b32_e32 v17, 3, v26
	v_cmp_eq_u32_e32 vcc, 0, v0
	v_cndmask_b32_e32 v0, v0, v7, vcc
	v_cndmask_b32_e32 v3, v3, v17, vcc
	v_bfrev_b32_e32 v17, 28
	v_lshlrev_b32_e32 v7, 24, v20
	v_lshl_add_u32 v0, v0, 23, v17
	v_and_or_b32 v0, v7, s96, v0
	v_lshl_or_b32 v0, v3, 21, v0
                                        ; implicit-def: $vgpr3
                                        ; implicit-def: $vgpr20
.LBB4_3856:                             ;   in Loop: Header=BB4_3353 Depth=3
	s_andn2_saveexec_b64 s[68:69], s[68:69]
; %bb.3857:                             ;   in Loop: Header=BB4_3353 Depth=3
	v_mov_b32_e32 v0, -1
	v_cmp_gt_i16_sdwa vcc, sext(v20), v0 src0_sel:BYTE_0 src1_sel:DWORD
	v_cndmask_b32_e32 v0, v6, v1, vcc
	v_cmp_eq_u32_e32 vcc, 0, v3
	v_mov_b32_e32 v3, 0x7f800001
	v_cndmask_b32_e32 v0, v3, v0, vcc
; %bb.3858:                             ;   in Loop: Header=BB4_3353 Depth=3
	s_or_b64 exec, exec, s[68:69]
.LBB4_3859:                             ;   in Loop: Header=BB4_3353 Depth=3
	s_or_b64 exec, exec, s[28:29]
.LBB4_3860:                             ;   in Loop: Header=BB4_3353 Depth=3
	s_or_b64 exec, exec, s[30:31]
	v_cmp_ne_u16_sdwa vcc, v16, v43 src0_sel:BYTE_0 src1_sel:DWORD
	s_and_saveexec_b64 s[28:29], vcc
	s_cbranch_execz .LBB4_3868
; %bb.3861:                             ;   in Loop: Header=BB4_3353 Depth=3
	v_cmp_ne_u16_sdwa vcc, v16, s97 src0_sel:BYTE_0 src1_sel:DWORD
	v_bfrev_b32_e32 v2, 1
	s_and_saveexec_b64 s[30:31], vcc
	s_cbranch_execz .LBB4_3867
; %bb.3862:                             ;   in Loop: Header=BB4_3353 Depth=3
	v_and_b32_e32 v2, 0x7c0000, v18
	v_bfe_u32 v3, v18, 16, 2
	v_cmp_ne_u32_e32 vcc, s36, v2
                                        ; implicit-def: $vgpr2
	s_and_saveexec_b64 s[68:69], vcc
	s_xor_b64 s[68:69], exec, s[68:69]
	s_cbranch_execz .LBB4_3864
; %bb.3863:                             ;   in Loop: Header=BB4_3353 Depth=3
	v_ffbh_u32_e32 v7, v3
	v_bfe_u32 v2, v18, 18, 5
	v_min_u32_e32 v7, 32, v7
	v_subrev_u32_e32 v17, 29, v7
	v_sub_u32_e32 v7, 30, v7
	v_cmp_eq_u32_e32 vcc, 0, v2
	v_lshlrev_b64 v[20:21], v17, v[16:17]
	v_cndmask_b32_e32 v2, v2, v7, vcc
	v_lshlrev_b32_e32 v7, 24, v16
	v_bfrev_b32_e32 v16, 28
	v_and_b32_e32 v17, 3, v20
	v_lshl_add_u32 v2, v2, 23, v16
	v_cndmask_b32_e32 v3, v3, v17, vcc
	v_and_or_b32 v2, v7, s96, v2
	v_lshl_or_b32 v2, v3, 21, v2
                                        ; implicit-def: $vgpr3
                                        ; implicit-def: $vgpr16
.LBB4_3864:                             ;   in Loop: Header=BB4_3353 Depth=3
	s_andn2_saveexec_b64 s[68:69], s[68:69]
; %bb.3865:                             ;   in Loop: Header=BB4_3353 Depth=3
	v_mov_b32_e32 v2, -1
	v_cmp_gt_i16_sdwa vcc, sext(v16), v2 src0_sel:BYTE_0 src1_sel:DWORD
	v_cndmask_b32_e32 v2, v6, v1, vcc
	v_cmp_eq_u32_e32 vcc, 0, v3
	v_mov_b32_e32 v3, 0x7f800001
	v_cndmask_b32_e32 v2, v3, v2, vcc
; %bb.3866:                             ;   in Loop: Header=BB4_3353 Depth=3
	s_or_b64 exec, exec, s[68:69]
.LBB4_3867:                             ;   in Loop: Header=BB4_3353 Depth=3
	s_or_b64 exec, exec, s[30:31]
.LBB4_3868:                             ;   in Loop: Header=BB4_3353 Depth=3
	s_or_b64 exec, exec, s[28:29]
	v_max_f32_e32 v2, v2, v2
	v_max_f32_e32 v0, v0, v0
	v_min_f32_e32 v2, v0, v2
.LBB4_3869:                             ;   in Loop: Header=BB4_3353 Depth=3
	v_and_b32_sdwa v0, v2, s97 dst_sel:DWORD dst_unused:UNUSED_PAD src0_sel:BYTE_3 src1_sel:DWORD
	v_and_b32_e32 v16, 0x7f800000, v2
	v_mov_b32_e32 v17, v43
	v_and_b32_e32 v42, 0x7fffff, v2
	v_or_b32_e32 v45, 0x7b, v0
	v_cmp_ne_u64_e32 vcc, s[52:53], v[16:17]
	s_and_saveexec_b64 s[28:29], vcc
	s_xor_b64 s[30:31], exec, s[28:29]
	s_cbranch_execz .LBB4_3879
; %bb.3870:                             ;   in Loop: Header=BB4_3353 Depth=3
	v_and_b32_e32 v16, 0x7fffffff, v2
	v_mov_b32_e32 v17, v43
	v_cmp_gt_u64_e32 vcc, s[54:55], v[16:17]
	s_and_saveexec_b64 s[68:69], vcc
	s_cbranch_execz .LBB4_3878
; %bb.3871:                             ;   in Loop: Header=BB4_3353 Depth=3
	v_cmp_ne_u32_e32 vcc, 0, v2
	v_mov_b32_e32 v45, 0
	s_and_saveexec_b64 s[70:71], vcc
	s_cbranch_execz .LBB4_3877
; %bb.3872:                             ;   in Loop: Header=BB4_3353 Depth=3
	v_bfe_u32 v2, v2, 23, 8
	v_sub_u32_e32 v7, 0x71, v2
	v_cmp_gt_u32_e32 vcc, s38, v2
	v_add_u32_e32 v3, 0xffffff81, v2
	v_cndmask_b32_e32 v7, 0, v7, vcc
	v_cmp_eq_u32_e32 vcc, 0, v2
	v_mov_b32_e32 v2, 0xffffff82
	v_cndmask_b32_e32 v30, v3, v2, vcc
	v_mov_b32_e32 v2, 0x70
	v_cndmask_b32_e32 v7, v7, v2, vcc
	v_add_u32_e32 v2, 21, v7
	v_or_b32_e32 v16, 0x800000, v42
	v_lshlrev_b64 v[2:3], v2, -1
	v_cndmask_b32_e32 v42, v16, v42, vcc
	v_not_b32_e32 v2, v2
	v_and_b32_e32 v16, v42, v2
	v_add_u32_e32 v2, 20, v7
	v_lshrrev_b64 v[26:27], v7, v[42:43]
	v_not_b32_e32 v3, v3
	v_lshlrev_b64 v[20:21], v2, 1
	v_lshrrev_b32_e32 v2, 23, v26
	v_and_b32_e32 v17, 0, v3
	v_add3_u32 v7, v7, v30, v2
	v_bfe_u32 v2, v26, 21, 1
	v_add_u32_e32 v2, -1, v2
	v_cmp_eq_u64_e32 vcc, v[16:17], v[20:21]
	v_cndmask_b32_e32 v2, 0, v2, vcc
	v_add_u32_e32 v2, v2, v26
	v_and_b32_e32 v2, 0x1fffff, v2
	v_add_co_u32_e32 v16, vcc, v2, v26
	v_add_u32_e32 v3, 14, v7
	v_addc_co_u32_e32 v17, vcc, 0, v27, vcc
	v_cmp_ne_u32_e32 vcc, 0, v3
                                        ; implicit-def: $vgpr2
	s_and_saveexec_b64 s[28:29], vcc
	s_xor_b64 s[28:29], exec, s[28:29]
; %bb.3873:                             ;   in Loop: Header=BB4_3353 Depth=3
	v_add_u32_e32 v2, 15, v7
	v_cmp_lt_u64_e32 vcc, s[56:57], v[16:17]
	v_cndmask_b32_e32 v2, v3, v2, vcc
	v_cndmask_b32_e64 v3, 0, 1, vcc
	v_lshrrev_b64 v[16:17], v3, v[16:17]
; %bb.3874:                             ;   in Loop: Header=BB4_3353 Depth=3
	s_andn2_saveexec_b64 s[28:29], s[28:29]
; %bb.3875:                             ;   in Loop: Header=BB4_3353 Depth=3
	v_bfe_u32 v2, v16, 23, 1
; %bb.3876:                             ;   in Loop: Header=BB4_3353 Depth=3
	s_or_b64 exec, exec, s[28:29]
	v_lshrrev_b64 v[16:17], 21, v[16:17]
	v_cmp_gt_i32_e32 vcc, 32, v2
	v_cndmask_b32_e32 v17, 0, v17, vcc
	v_cndmask_b32_e32 v16, 3, v16, vcc
	v_cmp_eq_u32_e32 vcc, 0, v2
	v_min_i32_e32 v2, 31, v2
	v_cmp_eq_u64_e64 s[28:29], 0, v[16:17]
	v_lshlrev_b32_e32 v2, 2, v2
	v_and_or_b32 v2, v16, 3, v2
	s_and_b64 s[28:29], vcc, s[28:29]
	v_cndmask_b32_e64 v2, v2, 0, s[28:29]
	v_or_b32_e32 v45, v2, v0
.LBB4_3877:                             ;   in Loop: Header=BB4_3353 Depth=3
	s_or_b64 exec, exec, s[70:71]
.LBB4_3878:                             ;   in Loop: Header=BB4_3353 Depth=3
	s_or_b64 exec, exec, s[68:69]
                                        ; implicit-def: $vgpr2
.LBB4_3879:                             ;   in Loop: Header=BB4_3353 Depth=3
	s_andn2_saveexec_b64 s[28:29], s[30:31]
; %bb.3880:                             ;   in Loop: Header=BB4_3353 Depth=3
	v_or_b32_sdwa v0, v2, s39 dst_sel:DWORD dst_unused:UNUSED_PAD src0_sel:BYTE_3 src1_sel:DWORD
	v_cmp_eq_u64_e32 vcc, 0, v[42:43]
	v_cndmask_b32_e32 v45, v0, v45, vcc
; %bb.3881:                             ;   in Loop: Header=BB4_3353 Depth=3
	s_or_b64 exec, exec, s[28:29]
	v_lshrrev_b32_e32 v20, 24, v22
	v_lshrrev_b32_e32 v16, 24, v18
	v_cmp_lt_u32_e64 s[28:29], s43, v22
	s_and_b64 vcc, exec, s[66:67]
	s_cbranch_vccz .LBB4_3899
; %bb.3882:                             ;   in Loop: Header=BB4_3353 Depth=3
	v_mov_b32_e32 v2, 0
	v_mov_b32_e32 v0, 0
	s_and_saveexec_b64 s[30:31], s[28:29]
	s_cbranch_execz .LBB4_3890
; %bb.3883:                             ;   in Loop: Header=BB4_3353 Depth=3
	v_cmp_ne_u32_e32 vcc, s97, v20
	v_bfrev_b32_e32 v0, 1
	s_and_saveexec_b64 s[68:69], vcc
	s_cbranch_execz .LBB4_3889
; %bb.3884:                             ;   in Loop: Header=BB4_3353 Depth=3
	v_and_b32_e32 v0, 0x7c000000, v22
	v_bfe_u32 v3, v22, 24, 2
	v_cmp_ne_u32_e32 vcc, s37, v0
                                        ; implicit-def: $vgpr0
	s_and_saveexec_b64 s[70:71], vcc
	s_xor_b64 s[70:71], exec, s[70:71]
	s_cbranch_execz .LBB4_3886
; %bb.3885:                             ;   in Loop: Header=BB4_3353 Depth=3
	v_ffbh_u32_e32 v7, v3
	v_bfe_u32 v0, v22, 26, 5
	v_min_u32_e32 v7, 32, v7
	v_subrev_u32_e32 v17, 29, v7
	v_sub_u32_e32 v7, 30, v7
	v_cmp_eq_u32_e32 vcc, 0, v0
	v_lshlrev_b64 v[26:27], v17, v[20:21]
	v_cndmask_b32_e32 v0, v0, v7, vcc
	v_bfrev_b32_e32 v7, 28
	v_and_b32_e32 v17, 3, v26
	v_lshl_add_u32 v0, v0, 23, v7
	v_cndmask_b32_e32 v3, v3, v17, vcc
	v_and_or_b32 v0, v22, s96, v0
	v_lshl_or_b32 v0, v3, 21, v0
                                        ; implicit-def: $vgpr3
.LBB4_3886:                             ;   in Loop: Header=BB4_3353 Depth=3
	s_andn2_saveexec_b64 s[70:71], s[70:71]
; %bb.3887:                             ;   in Loop: Header=BB4_3353 Depth=3
	v_cmp_lt_i32_e32 vcc, -1, v22
	v_cndmask_b32_e32 v0, v6, v1, vcc
	v_cmp_eq_u32_e32 vcc, 0, v3
	v_mov_b32_e32 v3, 0x7f800001
	v_cndmask_b32_e32 v0, v3, v0, vcc
; %bb.3888:                             ;   in Loop: Header=BB4_3353 Depth=3
	s_or_b64 exec, exec, s[70:71]
.LBB4_3889:                             ;   in Loop: Header=BB4_3353 Depth=3
	s_or_b64 exec, exec, s[68:69]
.LBB4_3890:                             ;   in Loop: Header=BB4_3353 Depth=3
	s_or_b64 exec, exec, s[30:31]
	v_cmp_lt_u32_e32 vcc, s43, v18
	s_and_saveexec_b64 s[30:31], vcc
	s_cbranch_execz .LBB4_3898
; %bb.3891:                             ;   in Loop: Header=BB4_3353 Depth=3
	v_cmp_ne_u32_e32 vcc, s97, v16
	v_bfrev_b32_e32 v2, 1
	s_and_saveexec_b64 s[68:69], vcc
	s_cbranch_execz .LBB4_3897
; %bb.3892:                             ;   in Loop: Header=BB4_3353 Depth=3
	v_and_b32_e32 v2, 0x7c000000, v18
	v_bfe_u32 v3, v18, 24, 2
	v_cmp_ne_u32_e32 vcc, s37, v2
                                        ; implicit-def: $vgpr2
	s_and_saveexec_b64 s[70:71], vcc
	s_xor_b64 s[70:71], exec, s[70:71]
	s_cbranch_execz .LBB4_3894
; %bb.3893:                             ;   in Loop: Header=BB4_3353 Depth=3
	v_ffbh_u32_e32 v7, v3
	v_bfe_u32 v2, v18, 26, 5
	v_min_u32_e32 v7, 32, v7
	v_subrev_u32_e32 v17, 29, v7
	v_sub_u32_e32 v7, 30, v7
	v_cmp_eq_u32_e32 vcc, 0, v2
	v_lshlrev_b64 v[26:27], v17, v[16:17]
	v_cndmask_b32_e32 v2, v2, v7, vcc
	v_bfrev_b32_e32 v7, 28
	v_and_b32_e32 v17, 3, v26
	v_lshl_add_u32 v2, v2, 23, v7
	v_cndmask_b32_e32 v3, v3, v17, vcc
	v_and_or_b32 v2, v18, s96, v2
	v_lshl_or_b32 v2, v3, 21, v2
                                        ; implicit-def: $vgpr3
.LBB4_3894:                             ;   in Loop: Header=BB4_3353 Depth=3
	s_andn2_saveexec_b64 s[70:71], s[70:71]
; %bb.3895:                             ;   in Loop: Header=BB4_3353 Depth=3
	v_cmp_lt_i32_e32 vcc, -1, v18
	v_cndmask_b32_e32 v2, v6, v1, vcc
	v_cmp_eq_u32_e32 vcc, 0, v3
	v_mov_b32_e32 v3, 0x7f800001
	v_cndmask_b32_e32 v2, v3, v2, vcc
; %bb.3896:                             ;   in Loop: Header=BB4_3353 Depth=3
	s_or_b64 exec, exec, s[70:71]
.LBB4_3897:                             ;   in Loop: Header=BB4_3353 Depth=3
	s_or_b64 exec, exec, s[68:69]
.LBB4_3898:                             ;   in Loop: Header=BB4_3353 Depth=3
	s_or_b64 exec, exec, s[30:31]
	v_max_f32_e32 v2, v2, v2
	v_max_f32_e32 v0, v0, v0
	;; [unrolled: 1-line block ×3, first 2 shown]
	s_branch .LBB4_3917
.LBB4_3899:                             ;   in Loop: Header=BB4_3353 Depth=3
                                        ; implicit-def: $vgpr2
	s_cbranch_execz .LBB4_3917
; %bb.3900:                             ;   in Loop: Header=BB4_3353 Depth=3
	v_mov_b32_e32 v2, 0
	v_mov_b32_e32 v0, 0
	s_and_saveexec_b64 s[30:31], s[28:29]
	s_cbranch_execz .LBB4_3908
; %bb.3901:                             ;   in Loop: Header=BB4_3353 Depth=3
	v_cmp_ne_u32_e32 vcc, s97, v20
	v_bfrev_b32_e32 v0, 1
	s_and_saveexec_b64 s[28:29], vcc
	s_cbranch_execz .LBB4_3907
; %bb.3902:                             ;   in Loop: Header=BB4_3353 Depth=3
	v_and_b32_e32 v0, 0x7c000000, v22
	v_bfe_u32 v3, v22, 24, 2
	v_cmp_ne_u32_e32 vcc, s37, v0
                                        ; implicit-def: $vgpr0
	s_and_saveexec_b64 s[68:69], vcc
	s_xor_b64 s[68:69], exec, s[68:69]
	s_cbranch_execz .LBB4_3904
; %bb.3903:                             ;   in Loop: Header=BB4_3353 Depth=3
	v_ffbh_u32_e32 v7, v3
	v_bfe_u32 v0, v22, 26, 5
	v_min_u32_e32 v7, 32, v7
	v_subrev_u32_e32 v17, 29, v7
	v_sub_u32_e32 v7, 30, v7
	v_cmp_eq_u32_e32 vcc, 0, v0
	v_lshlrev_b64 v[20:21], v17, v[20:21]
	v_cndmask_b32_e32 v0, v0, v7, vcc
	v_bfrev_b32_e32 v7, 28
	v_and_b32_e32 v17, 3, v20
	v_lshl_add_u32 v0, v0, 23, v7
	v_cndmask_b32_e32 v3, v3, v17, vcc
	v_and_or_b32 v0, v22, s96, v0
	v_lshl_or_b32 v0, v3, 21, v0
                                        ; implicit-def: $vgpr3
.LBB4_3904:                             ;   in Loop: Header=BB4_3353 Depth=3
	s_andn2_saveexec_b64 s[68:69], s[68:69]
; %bb.3905:                             ;   in Loop: Header=BB4_3353 Depth=3
	v_cmp_lt_i32_e32 vcc, -1, v22
	v_cndmask_b32_e32 v0, v6, v1, vcc
	v_cmp_eq_u32_e32 vcc, 0, v3
	v_mov_b32_e32 v3, 0x7f800001
	v_cndmask_b32_e32 v0, v3, v0, vcc
; %bb.3906:                             ;   in Loop: Header=BB4_3353 Depth=3
	s_or_b64 exec, exec, s[68:69]
.LBB4_3907:                             ;   in Loop: Header=BB4_3353 Depth=3
	s_or_b64 exec, exec, s[28:29]
.LBB4_3908:                             ;   in Loop: Header=BB4_3353 Depth=3
	s_or_b64 exec, exec, s[30:31]
	v_cmp_lt_u32_e32 vcc, s43, v18
	s_and_saveexec_b64 s[28:29], vcc
	s_cbranch_execz .LBB4_3916
; %bb.3909:                             ;   in Loop: Header=BB4_3353 Depth=3
	v_cmp_ne_u32_e32 vcc, s97, v16
	v_bfrev_b32_e32 v2, 1
	s_and_saveexec_b64 s[30:31], vcc
	s_cbranch_execz .LBB4_3915
; %bb.3910:                             ;   in Loop: Header=BB4_3353 Depth=3
	v_and_b32_e32 v2, 0x7c000000, v18
	v_bfe_u32 v3, v18, 24, 2
	v_cmp_ne_u32_e32 vcc, s37, v2
                                        ; implicit-def: $vgpr2
	s_and_saveexec_b64 s[68:69], vcc
	s_xor_b64 s[68:69], exec, s[68:69]
	s_cbranch_execz .LBB4_3912
; %bb.3911:                             ;   in Loop: Header=BB4_3353 Depth=3
	v_ffbh_u32_e32 v7, v3
	v_bfe_u32 v2, v18, 26, 5
	v_min_u32_e32 v7, 32, v7
	v_subrev_u32_e32 v17, 29, v7
	v_sub_u32_e32 v7, 30, v7
	v_cmp_eq_u32_e32 vcc, 0, v2
	v_lshlrev_b64 v[16:17], v17, v[16:17]
	v_cndmask_b32_e32 v2, v2, v7, vcc
	v_bfrev_b32_e32 v7, 28
	v_and_b32_e32 v16, 3, v16
	v_lshl_add_u32 v2, v2, 23, v7
	v_cndmask_b32_e32 v3, v3, v16, vcc
	v_and_or_b32 v2, v18, s96, v2
	v_lshl_or_b32 v2, v3, 21, v2
                                        ; implicit-def: $vgpr3
.LBB4_3912:                             ;   in Loop: Header=BB4_3353 Depth=3
	s_andn2_saveexec_b64 s[68:69], s[68:69]
; %bb.3913:                             ;   in Loop: Header=BB4_3353 Depth=3
	v_cmp_lt_i32_e32 vcc, -1, v18
	v_cndmask_b32_e32 v2, v6, v1, vcc
	v_cmp_eq_u32_e32 vcc, 0, v3
	v_mov_b32_e32 v3, 0x7f800001
	v_cndmask_b32_e32 v2, v3, v2, vcc
; %bb.3914:                             ;   in Loop: Header=BB4_3353 Depth=3
	s_or_b64 exec, exec, s[68:69]
.LBB4_3915:                             ;   in Loop: Header=BB4_3353 Depth=3
	s_or_b64 exec, exec, s[30:31]
.LBB4_3916:                             ;   in Loop: Header=BB4_3353 Depth=3
	s_or_b64 exec, exec, s[28:29]
	v_max_f32_e32 v2, v2, v2
	v_max_f32_e32 v0, v0, v0
	v_min_f32_e32 v2, v0, v2
.LBB4_3917:                             ;   in Loop: Header=BB4_3353 Depth=3
	v_and_b32_sdwa v0, v2, s97 dst_sel:DWORD dst_unused:UNUSED_PAD src0_sel:BYTE_3 src1_sel:DWORD
	v_and_b32_e32 v16, 0x7f800000, v2
	v_mov_b32_e32 v17, v43
	v_and_b32_e32 v42, 0x7fffff, v2
	v_or_b32_e32 v3, 0x7b, v0
	v_cmp_ne_u64_e32 vcc, s[52:53], v[16:17]
	s_and_saveexec_b64 s[28:29], vcc
	s_xor_b64 s[30:31], exec, s[28:29]
	s_cbranch_execz .LBB4_3927
; %bb.3918:                             ;   in Loop: Header=BB4_3353 Depth=3
	v_and_b32_e32 v16, 0x7fffffff, v2
	v_mov_b32_e32 v17, v43
	v_cmp_gt_u64_e32 vcc, s[54:55], v[16:17]
	s_and_saveexec_b64 s[68:69], vcc
	s_cbranch_execz .LBB4_3926
; %bb.3919:                             ;   in Loop: Header=BB4_3353 Depth=3
	v_cmp_ne_u32_e32 vcc, 0, v2
	v_mov_b32_e32 v3, 0
	s_and_saveexec_b64 s[70:71], vcc
	s_cbranch_execz .LBB4_3925
; %bb.3920:                             ;   in Loop: Header=BB4_3353 Depth=3
	v_bfe_u32 v2, v2, 23, 8
	v_sub_u32_e32 v7, 0x71, v2
	v_cmp_gt_u32_e32 vcc, s38, v2
	v_add_u32_e32 v3, 0xffffff81, v2
	v_cndmask_b32_e32 v7, 0, v7, vcc
	v_cmp_eq_u32_e32 vcc, 0, v2
	v_mov_b32_e32 v2, 0xffffff82
	v_cndmask_b32_e32 v30, v3, v2, vcc
	v_mov_b32_e32 v2, 0x70
	v_cndmask_b32_e32 v7, v7, v2, vcc
	v_add_u32_e32 v2, 21, v7
	v_or_b32_e32 v16, 0x800000, v42
	v_lshlrev_b64 v[2:3], v2, -1
	v_cndmask_b32_e32 v42, v16, v42, vcc
	v_not_b32_e32 v2, v2
	v_and_b32_e32 v16, v42, v2
	v_add_u32_e32 v2, 20, v7
	v_lshrrev_b64 v[26:27], v7, v[42:43]
	v_not_b32_e32 v3, v3
	v_lshlrev_b64 v[20:21], v2, 1
	v_lshrrev_b32_e32 v2, 23, v26
	v_and_b32_e32 v17, 0, v3
	v_add3_u32 v7, v7, v30, v2
	v_bfe_u32 v2, v26, 21, 1
	v_add_u32_e32 v2, -1, v2
	v_cmp_eq_u64_e32 vcc, v[16:17], v[20:21]
	v_cndmask_b32_e32 v2, 0, v2, vcc
	v_add_u32_e32 v2, v2, v26
	v_and_b32_e32 v2, 0x1fffff, v2
	v_add_co_u32_e32 v16, vcc, v2, v26
	v_add_u32_e32 v3, 14, v7
	v_addc_co_u32_e32 v17, vcc, 0, v27, vcc
	v_cmp_ne_u32_e32 vcc, 0, v3
                                        ; implicit-def: $vgpr2
	s_and_saveexec_b64 s[28:29], vcc
	s_xor_b64 s[28:29], exec, s[28:29]
; %bb.3921:                             ;   in Loop: Header=BB4_3353 Depth=3
	v_add_u32_e32 v2, 15, v7
	v_cmp_lt_u64_e32 vcc, s[56:57], v[16:17]
	v_cndmask_b32_e32 v2, v3, v2, vcc
	v_cndmask_b32_e64 v3, 0, 1, vcc
	v_lshrrev_b64 v[16:17], v3, v[16:17]
; %bb.3922:                             ;   in Loop: Header=BB4_3353 Depth=3
	s_andn2_saveexec_b64 s[28:29], s[28:29]
; %bb.3923:                             ;   in Loop: Header=BB4_3353 Depth=3
	v_bfe_u32 v2, v16, 23, 1
; %bb.3924:                             ;   in Loop: Header=BB4_3353 Depth=3
	s_or_b64 exec, exec, s[28:29]
	v_lshrrev_b64 v[16:17], 21, v[16:17]
	v_cmp_gt_i32_e32 vcc, 32, v2
	v_cndmask_b32_e32 v17, 0, v17, vcc
	v_cndmask_b32_e32 v16, 3, v16, vcc
	v_cmp_eq_u32_e32 vcc, 0, v2
	v_min_i32_e32 v2, 31, v2
	v_cmp_eq_u64_e64 s[28:29], 0, v[16:17]
	v_lshlrev_b32_e32 v2, 2, v2
	v_and_or_b32 v2, v16, 3, v2
	s_and_b64 s[28:29], vcc, s[28:29]
	v_cndmask_b32_e64 v2, v2, 0, s[28:29]
	v_or_b32_e32 v3, v2, v0
.LBB4_3925:                             ;   in Loop: Header=BB4_3353 Depth=3
	s_or_b64 exec, exec, s[70:71]
.LBB4_3926:                             ;   in Loop: Header=BB4_3353 Depth=3
	s_or_b64 exec, exec, s[68:69]
                                        ; implicit-def: $vgpr2
.LBB4_3927:                             ;   in Loop: Header=BB4_3353 Depth=3
	s_andn2_saveexec_b64 s[28:29], s[30:31]
; %bb.3928:                             ;   in Loop: Header=BB4_3353 Depth=3
	v_or_b32_sdwa v0, v2, s39 dst_sel:DWORD dst_unused:UNUSED_PAD src0_sel:BYTE_3 src1_sel:DWORD
	v_cmp_eq_u64_e32 vcc, 0, v[42:43]
	v_cndmask_b32_e32 v3, v0, v3, vcc
; %bb.3929:                             ;   in Loop: Header=BB4_3353 Depth=3
	s_or_b64 exec, exec, s[28:29]
	v_mov_b32_e32 v42, v23
	v_mov_b32_e32 v16, v19
	;; [unrolled: 1-line block ×3, first 2 shown]
	v_cmp_ne_u16_sdwa s[28:29], v23, v43 src0_sel:BYTE_0 src1_sel:DWORD
	s_and_b64 vcc, exec, s[66:67]
	s_cbranch_vccz .LBB4_3947
; %bb.3930:                             ;   in Loop: Header=BB4_3353 Depth=3
	v_mov_b32_e32 v2, 0
	v_mov_b32_e32 v0, 0
	s_and_saveexec_b64 s[30:31], s[28:29]
	s_cbranch_execz .LBB4_3938
; %bb.3931:                             ;   in Loop: Header=BB4_3353 Depth=3
	v_cmp_ne_u16_sdwa vcc, v23, s97 src0_sel:BYTE_0 src1_sel:DWORD
	v_bfrev_b32_e32 v0, 1
	s_and_saveexec_b64 s[68:69], vcc
	s_cbranch_execz .LBB4_3937
; %bb.3932:                             ;   in Loop: Header=BB4_3353 Depth=3
	v_and_b32_e32 v0, 0x7c, v23
	v_and_b32_e32 v7, 3, v23
	v_cmp_ne_u32_e32 vcc, s95, v0
                                        ; implicit-def: $vgpr0
	s_and_saveexec_b64 s[70:71], vcc
	s_xor_b64 s[70:71], exec, s[70:71]
	s_cbranch_execz .LBB4_3934
; %bb.3933:                             ;   in Loop: Header=BB4_3353 Depth=3
	v_ffbh_u32_e32 v20, v7
	v_min_u32_e32 v26, 32, v20
	v_subrev_u32_e32 v20, 29, v26
	v_bfe_u32 v0, v23, 2, 5
	v_lshlrev_b64 v[20:21], v20, v[42:43]
	v_sub_u32_e32 v21, 30, v26
	v_cmp_eq_u32_e32 vcc, 0, v0
	v_and_b32_e32 v20, 3, v20
	v_cndmask_b32_e32 v0, v0, v21, vcc
	v_bfrev_b32_e32 v21, 28
	v_cndmask_b32_e32 v7, v7, v20, vcc
	v_lshlrev_b32_e32 v20, 24, v23
	v_lshl_add_u32 v0, v0, 23, v21
	v_and_or_b32 v0, v20, s96, v0
	v_lshl_or_b32 v0, v7, 21, v0
                                        ; implicit-def: $vgpr7
.LBB4_3934:                             ;   in Loop: Header=BB4_3353 Depth=3
	s_andn2_saveexec_b64 s[70:71], s[70:71]
; %bb.3935:                             ;   in Loop: Header=BB4_3353 Depth=3
	v_mov_b32_e32 v0, -1
	v_cmp_gt_i16_sdwa vcc, sext(v23), v0 src0_sel:BYTE_0 src1_sel:DWORD
	v_cndmask_b32_e32 v0, v6, v1, vcc
	v_cmp_eq_u32_e32 vcc, 0, v7
	v_mov_b32_e32 v7, 0x7f800001
	v_cndmask_b32_e32 v0, v7, v0, vcc
; %bb.3936:                             ;   in Loop: Header=BB4_3353 Depth=3
	s_or_b64 exec, exec, s[70:71]
.LBB4_3937:                             ;   in Loop: Header=BB4_3353 Depth=3
	s_or_b64 exec, exec, s[68:69]
.LBB4_3938:                             ;   in Loop: Header=BB4_3353 Depth=3
	s_or_b64 exec, exec, s[30:31]
	v_cmp_ne_u16_sdwa vcc, v19, v43 src0_sel:BYTE_0 src1_sel:DWORD
	s_and_saveexec_b64 s[30:31], vcc
	s_cbranch_execz .LBB4_3946
; %bb.3939:                             ;   in Loop: Header=BB4_3353 Depth=3
	v_cmp_ne_u16_sdwa vcc, v19, s97 src0_sel:BYTE_0 src1_sel:DWORD
	v_bfrev_b32_e32 v2, 1
	s_and_saveexec_b64 s[68:69], vcc
	s_cbranch_execz .LBB4_3945
; %bb.3940:                             ;   in Loop: Header=BB4_3353 Depth=3
	v_and_b32_e32 v2, 0x7c, v19
	v_and_b32_e32 v7, 3, v19
	v_cmp_ne_u32_e32 vcc, s95, v2
                                        ; implicit-def: $vgpr2
	s_and_saveexec_b64 s[70:71], vcc
	s_xor_b64 s[70:71], exec, s[70:71]
	s_cbranch_execz .LBB4_3942
; %bb.3941:                             ;   in Loop: Header=BB4_3353 Depth=3
	v_ffbh_u32_e32 v20, v7
	v_min_u32_e32 v26, 32, v20
	v_subrev_u32_e32 v20, 29, v26
	v_bfe_u32 v2, v19, 2, 5
	v_lshlrev_b64 v[20:21], v20, v[16:17]
	v_sub_u32_e32 v21, 30, v26
	v_cmp_eq_u32_e32 vcc, 0, v2
	v_and_b32_e32 v20, 3, v20
	v_cndmask_b32_e32 v2, v2, v21, vcc
	v_bfrev_b32_e32 v21, 28
	v_cndmask_b32_e32 v7, v7, v20, vcc
	v_lshlrev_b32_e32 v20, 24, v19
	v_lshl_add_u32 v2, v2, 23, v21
	v_and_or_b32 v2, v20, s96, v2
	v_lshl_or_b32 v2, v7, 21, v2
                                        ; implicit-def: $vgpr7
.LBB4_3942:                             ;   in Loop: Header=BB4_3353 Depth=3
	s_andn2_saveexec_b64 s[70:71], s[70:71]
; %bb.3943:                             ;   in Loop: Header=BB4_3353 Depth=3
	v_mov_b32_e32 v2, -1
	v_cmp_gt_i16_sdwa vcc, sext(v19), v2 src0_sel:BYTE_0 src1_sel:DWORD
	v_cndmask_b32_e32 v2, v6, v1, vcc
	v_cmp_eq_u32_e32 vcc, 0, v7
	v_mov_b32_e32 v7, 0x7f800001
	v_cndmask_b32_e32 v2, v7, v2, vcc
; %bb.3944:                             ;   in Loop: Header=BB4_3353 Depth=3
	s_or_b64 exec, exec, s[70:71]
.LBB4_3945:                             ;   in Loop: Header=BB4_3353 Depth=3
	s_or_b64 exec, exec, s[68:69]
.LBB4_3946:                             ;   in Loop: Header=BB4_3353 Depth=3
	s_or_b64 exec, exec, s[30:31]
	v_max_f32_e32 v2, v2, v2
	v_max_f32_e32 v0, v0, v0
	;; [unrolled: 1-line block ×3, first 2 shown]
	s_branch .LBB4_3965
.LBB4_3947:                             ;   in Loop: Header=BB4_3353 Depth=3
                                        ; implicit-def: $vgpr7
	s_cbranch_execz .LBB4_3965
; %bb.3948:                             ;   in Loop: Header=BB4_3353 Depth=3
	v_mov_b32_e32 v2, 0
	v_mov_b32_e32 v0, 0
	s_and_saveexec_b64 s[30:31], s[28:29]
	s_cbranch_execz .LBB4_3956
; %bb.3949:                             ;   in Loop: Header=BB4_3353 Depth=3
	v_cmp_ne_u16_sdwa vcc, v23, s97 src0_sel:BYTE_0 src1_sel:DWORD
	v_bfrev_b32_e32 v0, 1
	s_and_saveexec_b64 s[28:29], vcc
	s_cbranch_execz .LBB4_3955
; %bb.3950:                             ;   in Loop: Header=BB4_3353 Depth=3
	v_and_b32_e32 v0, 0x7c, v23
	v_and_b32_e32 v7, 3, v23
	v_cmp_ne_u32_e32 vcc, s95, v0
                                        ; implicit-def: $vgpr0
	s_and_saveexec_b64 s[68:69], vcc
	s_xor_b64 s[68:69], exec, s[68:69]
	s_cbranch_execz .LBB4_3952
; %bb.3951:                             ;   in Loop: Header=BB4_3353 Depth=3
	v_ffbh_u32_e32 v20, v7
	v_min_u32_e32 v26, 32, v20
	v_subrev_u32_e32 v20, 29, v26
	v_bfe_u32 v0, v23, 2, 5
	v_lshlrev_b64 v[20:21], v20, v[42:43]
	v_sub_u32_e32 v21, 30, v26
	v_cmp_eq_u32_e32 vcc, 0, v0
	v_and_b32_e32 v20, 3, v20
	v_cndmask_b32_e32 v0, v0, v21, vcc
	v_bfrev_b32_e32 v21, 28
	v_cndmask_b32_e32 v7, v7, v20, vcc
	v_lshlrev_b32_e32 v20, 24, v23
	v_lshl_add_u32 v0, v0, 23, v21
	v_and_or_b32 v0, v20, s96, v0
	v_lshl_or_b32 v0, v7, 21, v0
                                        ; implicit-def: $vgpr7
.LBB4_3952:                             ;   in Loop: Header=BB4_3353 Depth=3
	s_andn2_saveexec_b64 s[68:69], s[68:69]
; %bb.3953:                             ;   in Loop: Header=BB4_3353 Depth=3
	v_mov_b32_e32 v0, -1
	v_cmp_gt_i16_sdwa vcc, sext(v23), v0 src0_sel:BYTE_0 src1_sel:DWORD
	v_cndmask_b32_e32 v0, v6, v1, vcc
	v_cmp_eq_u32_e32 vcc, 0, v7
	v_mov_b32_e32 v7, 0x7f800001
	v_cndmask_b32_e32 v0, v7, v0, vcc
; %bb.3954:                             ;   in Loop: Header=BB4_3353 Depth=3
	s_or_b64 exec, exec, s[68:69]
.LBB4_3955:                             ;   in Loop: Header=BB4_3353 Depth=3
	s_or_b64 exec, exec, s[28:29]
.LBB4_3956:                             ;   in Loop: Header=BB4_3353 Depth=3
	s_or_b64 exec, exec, s[30:31]
	v_cmp_ne_u16_sdwa vcc, v19, v43 src0_sel:BYTE_0 src1_sel:DWORD
	s_and_saveexec_b64 s[28:29], vcc
	s_cbranch_execz .LBB4_3964
; %bb.3957:                             ;   in Loop: Header=BB4_3353 Depth=3
	v_cmp_ne_u16_sdwa vcc, v19, s97 src0_sel:BYTE_0 src1_sel:DWORD
	v_bfrev_b32_e32 v2, 1
	s_and_saveexec_b64 s[30:31], vcc
	s_cbranch_execz .LBB4_3963
; %bb.3958:                             ;   in Loop: Header=BB4_3353 Depth=3
	v_and_b32_e32 v2, 0x7c, v19
	v_and_b32_e32 v7, 3, v19
	v_cmp_ne_u32_e32 vcc, s95, v2
                                        ; implicit-def: $vgpr2
	s_and_saveexec_b64 s[68:69], vcc
	s_xor_b64 s[68:69], exec, s[68:69]
	s_cbranch_execz .LBB4_3960
; %bb.3959:                             ;   in Loop: Header=BB4_3353 Depth=3
	v_ffbh_u32_e32 v20, v7
	v_min_u32_e32 v26, 32, v20
	v_subrev_u32_e32 v20, 29, v26
	v_bfe_u32 v2, v19, 2, 5
	v_lshlrev_b64 v[20:21], v20, v[16:17]
	v_sub_u32_e32 v17, 30, v26
	v_and_b32_e32 v20, 3, v20
	v_cmp_eq_u32_e32 vcc, 0, v2
	v_cndmask_b32_e32 v2, v2, v17, vcc
	v_cndmask_b32_e32 v7, v7, v20, vcc
	v_bfrev_b32_e32 v20, 28
	v_lshlrev_b32_e32 v17, 24, v19
	v_lshl_add_u32 v2, v2, 23, v20
	v_and_or_b32 v2, v17, s96, v2
	v_lshl_or_b32 v2, v7, 21, v2
                                        ; implicit-def: $vgpr7
.LBB4_3960:                             ;   in Loop: Header=BB4_3353 Depth=3
	s_andn2_saveexec_b64 s[68:69], s[68:69]
; %bb.3961:                             ;   in Loop: Header=BB4_3353 Depth=3
	v_mov_b32_e32 v2, -1
	v_cmp_gt_i16_sdwa vcc, sext(v19), v2 src0_sel:BYTE_0 src1_sel:DWORD
	v_cndmask_b32_e32 v2, v6, v1, vcc
	v_cmp_eq_u32_e32 vcc, 0, v7
	v_mov_b32_e32 v7, 0x7f800001
	v_cndmask_b32_e32 v2, v7, v2, vcc
; %bb.3962:                             ;   in Loop: Header=BB4_3353 Depth=3
	s_or_b64 exec, exec, s[68:69]
.LBB4_3963:                             ;   in Loop: Header=BB4_3353 Depth=3
	s_or_b64 exec, exec, s[30:31]
.LBB4_3964:                             ;   in Loop: Header=BB4_3353 Depth=3
	s_or_b64 exec, exec, s[28:29]
	v_max_f32_e32 v2, v2, v2
	v_max_f32_e32 v0, v0, v0
	v_min_f32_e32 v7, v0, v2
.LBB4_3965:                             ;   in Loop: Header=BB4_3353 Depth=3
	v_and_b32_sdwa v0, v7, s97 dst_sel:DWORD dst_unused:UNUSED_PAD src0_sel:BYTE_3 src1_sel:DWORD
	v_and_b32_e32 v26, 0x7f800000, v7
	v_mov_b32_e32 v27, v43
	v_and_b32_e32 v20, 0x7fffff, v7
	v_mov_b32_e32 v21, v43
	v_or_b32_e32 v2, 0x7b, v0
	v_cmp_ne_u64_e32 vcc, s[52:53], v[26:27]
	s_and_saveexec_b64 s[28:29], vcc
	s_xor_b64 s[30:31], exec, s[28:29]
	s_cbranch_execz .LBB4_3975
; %bb.3966:                             ;   in Loop: Header=BB4_3353 Depth=3
	v_and_b32_e32 v26, 0x7fffffff, v7
	v_mov_b32_e32 v27, v43
	v_cmp_gt_u64_e32 vcc, s[54:55], v[26:27]
	s_and_saveexec_b64 s[68:69], vcc
	s_cbranch_execz .LBB4_3974
; %bb.3967:                             ;   in Loop: Header=BB4_3353 Depth=3
	v_cmp_ne_u32_e32 vcc, 0, v7
	v_mov_b32_e32 v2, 0
	s_and_saveexec_b64 s[70:71], vcc
	s_cbranch_execz .LBB4_3973
; %bb.3968:                             ;   in Loop: Header=BB4_3353 Depth=3
	v_bfe_u32 v2, v7, 23, 8
	v_sub_u32_e32 v17, 0x71, v2
	v_cmp_gt_u32_e32 vcc, s38, v2
	v_add_u32_e32 v7, 0xffffff81, v2
	v_cndmask_b32_e32 v17, 0, v17, vcc
	v_cmp_eq_u32_e32 vcc, 0, v2
	v_mov_b32_e32 v2, 0xffffff82
	v_cndmask_b32_e32 v2, v7, v2, vcc
	v_mov_b32_e32 v7, 0x70
	v_cndmask_b32_e32 v7, v17, v7, vcc
	v_or_b32_e32 v26, 0x800000, v20
	v_add_u32_e32 v17, 21, v7
	v_cndmask_b32_e32 v20, v26, v20, vcc
	v_lshlrev_b64 v[26:27], v17, -1
	v_not_b32_e32 v17, v27
	v_not_b32_e32 v26, v26
	v_and_b32_e32 v27, 0, v17
	v_and_b32_e32 v26, v20, v26
	v_add_u32_e32 v17, 20, v7
	v_lshrrev_b64 v[20:21], v7, v[20:21]
	v_lshlrev_b64 v[36:37], v17, 1
	v_lshrrev_b32_e32 v17, 23, v20
	v_add3_u32 v17, v7, v2, v17
	v_bfe_u32 v2, v20, 21, 1
	v_add_u32_e32 v2, -1, v2
	v_cmp_eq_u64_e32 vcc, v[26:27], v[36:37]
	v_cndmask_b32_e32 v2, 0, v2, vcc
	v_add_u32_e32 v2, v2, v20
	v_and_b32_e32 v2, 0x1fffff, v2
	v_add_co_u32_e32 v20, vcc, v2, v20
	v_add_u32_e32 v7, 14, v17
	v_addc_co_u32_e32 v21, vcc, 0, v21, vcc
	v_cmp_ne_u32_e32 vcc, 0, v7
                                        ; implicit-def: $vgpr2
	s_and_saveexec_b64 s[28:29], vcc
	s_xor_b64 s[28:29], exec, s[28:29]
; %bb.3969:                             ;   in Loop: Header=BB4_3353 Depth=3
	v_add_u32_e32 v2, 15, v17
	v_cmp_lt_u64_e32 vcc, s[56:57], v[20:21]
	v_cndmask_b32_e32 v2, v7, v2, vcc
	v_cndmask_b32_e64 v7, 0, 1, vcc
	v_lshrrev_b64 v[20:21], v7, v[20:21]
; %bb.3970:                             ;   in Loop: Header=BB4_3353 Depth=3
	s_andn2_saveexec_b64 s[28:29], s[28:29]
; %bb.3971:                             ;   in Loop: Header=BB4_3353 Depth=3
	v_bfe_u32 v2, v20, 23, 1
; %bb.3972:                             ;   in Loop: Header=BB4_3353 Depth=3
	s_or_b64 exec, exec, s[28:29]
	v_lshrrev_b64 v[20:21], 21, v[20:21]
	v_cmp_gt_i32_e32 vcc, 32, v2
	v_cndmask_b32_e32 v21, 0, v21, vcc
	v_cndmask_b32_e32 v20, 3, v20, vcc
	v_cmp_eq_u32_e32 vcc, 0, v2
	v_min_i32_e32 v2, 31, v2
	v_cmp_eq_u64_e64 s[28:29], 0, v[20:21]
	v_lshlrev_b32_e32 v2, 2, v2
	v_and_or_b32 v2, v20, 3, v2
	s_and_b64 s[28:29], vcc, s[28:29]
	v_cndmask_b32_e64 v2, v2, 0, s[28:29]
	v_or_b32_e32 v2, v2, v0
.LBB4_3973:                             ;   in Loop: Header=BB4_3353 Depth=3
	s_or_b64 exec, exec, s[70:71]
.LBB4_3974:                             ;   in Loop: Header=BB4_3353 Depth=3
	s_or_b64 exec, exec, s[68:69]
                                        ; implicit-def: $vgpr7
                                        ; implicit-def: $vgpr20_vgpr21
.LBB4_3975:                             ;   in Loop: Header=BB4_3353 Depth=3
	s_andn2_saveexec_b64 s[28:29], s[30:31]
; %bb.3976:                             ;   in Loop: Header=BB4_3353 Depth=3
	v_or_b32_sdwa v0, v7, s39 dst_sel:DWORD dst_unused:UNUSED_PAD src0_sel:BYTE_3 src1_sel:DWORD
	v_cmp_eq_u64_e32 vcc, 0, v[20:21]
	v_cndmask_b32_e32 v2, v0, v2, vcc
; %bb.3977:                             ;   in Loop: Header=BB4_3353 Depth=3
	s_or_b64 exec, exec, s[28:29]
	v_lshrrev_b16_e32 v26, 8, v42
	v_lshrrev_b16_e32 v20, 8, v16
	v_cmp_ne_u16_e64 s[28:29], 0, v26
	s_and_b64 vcc, exec, s[66:67]
	s_cbranch_vccz .LBB4_3995
; %bb.3978:                             ;   in Loop: Header=BB4_3353 Depth=3
	v_mov_b32_e32 v7, 0
	v_mov_b32_e32 v0, 0
	s_and_saveexec_b64 s[30:31], s[28:29]
	s_cbranch_execz .LBB4_3986
; %bb.3979:                             ;   in Loop: Header=BB4_3353 Depth=3
	v_cmp_ne_u16_e32 vcc, s97, v26
	v_bfrev_b32_e32 v0, 1
	s_and_saveexec_b64 s[68:69], vcc
	s_cbranch_execz .LBB4_3985
; %bb.3980:                             ;   in Loop: Header=BB4_3353 Depth=3
	v_and_b32_e32 v0, 0x7c, v26
	v_and_b32_e32 v17, 3, v26
	v_cmp_ne_u32_e32 vcc, s95, v0
                                        ; implicit-def: $vgpr0
	s_and_saveexec_b64 s[70:71], vcc
	s_xor_b64 s[70:71], exec, s[70:71]
	s_cbranch_execz .LBB4_3982
; %bb.3981:                             ;   in Loop: Header=BB4_3353 Depth=3
	v_ffbh_u32_e32 v21, v17
	v_min_u32_e32 v21, 32, v21
	v_mov_b32_e32 v27, v43
	v_subrev_u32_e32 v30, 29, v21
	v_bfe_u32 v0, v26, 2, 5
	v_lshlrev_b64 v[36:37], v30, v[26:27]
	v_sub_u32_e32 v21, 30, v21
	v_and_b32_e32 v27, 3, v36
	v_cmp_eq_u32_e32 vcc, 0, v0
	v_cndmask_b32_e32 v0, v0, v21, vcc
	v_cndmask_b32_e32 v17, v17, v27, vcc
	v_bfrev_b32_e32 v27, 28
	v_lshlrev_b32_e32 v21, 16, v42
	v_lshl_add_u32 v0, v0, 23, v27
	v_and_or_b32 v0, v21, s96, v0
	v_lshl_or_b32 v0, v17, 21, v0
                                        ; implicit-def: $vgpr17
.LBB4_3982:                             ;   in Loop: Header=BB4_3353 Depth=3
	s_andn2_saveexec_b64 s[70:71], s[70:71]
; %bb.3983:                             ;   in Loop: Header=BB4_3353 Depth=3
	v_cmp_lt_i16_e32 vcc, -1, v42
	v_cndmask_b32_e32 v0, v6, v1, vcc
	v_cmp_eq_u32_e32 vcc, 0, v17
	v_mov_b32_e32 v17, 0x7f800001
	v_cndmask_b32_e32 v0, v17, v0, vcc
; %bb.3984:                             ;   in Loop: Header=BB4_3353 Depth=3
	s_or_b64 exec, exec, s[70:71]
.LBB4_3985:                             ;   in Loop: Header=BB4_3353 Depth=3
	s_or_b64 exec, exec, s[68:69]
.LBB4_3986:                             ;   in Loop: Header=BB4_3353 Depth=3
	s_or_b64 exec, exec, s[30:31]
	v_cmp_ne_u16_e32 vcc, 0, v20
	s_and_saveexec_b64 s[30:31], vcc
	s_cbranch_execz .LBB4_3994
; %bb.3987:                             ;   in Loop: Header=BB4_3353 Depth=3
	v_cmp_ne_u16_e32 vcc, s97, v20
	v_bfrev_b32_e32 v7, 1
	s_and_saveexec_b64 s[68:69], vcc
	s_cbranch_execz .LBB4_3993
; %bb.3988:                             ;   in Loop: Header=BB4_3353 Depth=3
	v_and_b32_e32 v7, 0x7c, v20
	v_and_b32_e32 v17, 3, v20
	v_cmp_ne_u32_e32 vcc, s95, v7
                                        ; implicit-def: $vgpr7
	s_and_saveexec_b64 s[70:71], vcc
	s_xor_b64 s[70:71], exec, s[70:71]
	s_cbranch_execz .LBB4_3990
; %bb.3989:                             ;   in Loop: Header=BB4_3353 Depth=3
	v_ffbh_u32_e32 v27, v17
	v_min_u32_e32 v27, 32, v27
	v_mov_b32_e32 v21, v43
	v_subrev_u32_e32 v30, 29, v27
	v_bfe_u32 v7, v20, 2, 5
	v_lshlrev_b64 v[36:37], v30, v[20:21]
	v_sub_u32_e32 v21, 30, v27
	v_and_b32_e32 v27, 3, v36
	v_cmp_eq_u32_e32 vcc, 0, v7
	v_cndmask_b32_e32 v7, v7, v21, vcc
	v_cndmask_b32_e32 v17, v17, v27, vcc
	v_bfrev_b32_e32 v27, 28
	v_lshlrev_b32_e32 v21, 16, v16
	v_lshl_add_u32 v7, v7, 23, v27
	v_and_or_b32 v7, v21, s96, v7
	v_lshl_or_b32 v7, v17, 21, v7
                                        ; implicit-def: $vgpr17
.LBB4_3990:                             ;   in Loop: Header=BB4_3353 Depth=3
	s_andn2_saveexec_b64 s[70:71], s[70:71]
; %bb.3991:                             ;   in Loop: Header=BB4_3353 Depth=3
	v_cmp_lt_i16_e32 vcc, -1, v16
	v_cndmask_b32_e32 v7, v6, v1, vcc
	v_cmp_eq_u32_e32 vcc, 0, v17
	v_mov_b32_e32 v17, 0x7f800001
	v_cndmask_b32_e32 v7, v17, v7, vcc
; %bb.3992:                             ;   in Loop: Header=BB4_3353 Depth=3
	s_or_b64 exec, exec, s[70:71]
.LBB4_3993:                             ;   in Loop: Header=BB4_3353 Depth=3
	s_or_b64 exec, exec, s[68:69]
.LBB4_3994:                             ;   in Loop: Header=BB4_3353 Depth=3
	s_or_b64 exec, exec, s[30:31]
	v_max_f32_e32 v7, v7, v7
	v_max_f32_e32 v0, v0, v0
	;; [unrolled: 1-line block ×3, first 2 shown]
	s_branch .LBB4_4013
.LBB4_3995:                             ;   in Loop: Header=BB4_3353 Depth=3
                                        ; implicit-def: $vgpr7
	s_cbranch_execz .LBB4_4013
; %bb.3996:                             ;   in Loop: Header=BB4_3353 Depth=3
	v_mov_b32_e32 v7, 0
	v_mov_b32_e32 v0, 0
	s_and_saveexec_b64 s[30:31], s[28:29]
	s_cbranch_execz .LBB4_4004
; %bb.3997:                             ;   in Loop: Header=BB4_3353 Depth=3
	v_cmp_ne_u16_e32 vcc, s97, v26
	v_bfrev_b32_e32 v0, 1
	s_and_saveexec_b64 s[28:29], vcc
	s_cbranch_execz .LBB4_4003
; %bb.3998:                             ;   in Loop: Header=BB4_3353 Depth=3
	v_and_b32_e32 v0, 0x7c, v26
	v_and_b32_e32 v17, 3, v26
	v_cmp_ne_u32_e32 vcc, s95, v0
                                        ; implicit-def: $vgpr0
	s_and_saveexec_b64 s[68:69], vcc
	s_xor_b64 s[68:69], exec, s[68:69]
	s_cbranch_execz .LBB4_4000
; %bb.3999:                             ;   in Loop: Header=BB4_3353 Depth=3
	v_ffbh_u32_e32 v21, v17
	v_min_u32_e32 v21, 32, v21
	v_mov_b32_e32 v27, v43
	v_subrev_u32_e32 v30, 29, v21
	v_bfe_u32 v0, v26, 2, 5
	v_lshlrev_b64 v[26:27], v30, v[26:27]
	v_sub_u32_e32 v21, 30, v21
	v_and_b32_e32 v26, 3, v26
	v_cmp_eq_u32_e32 vcc, 0, v0
	v_cndmask_b32_e32 v0, v0, v21, vcc
	v_cndmask_b32_e32 v17, v17, v26, vcc
	v_bfrev_b32_e32 v26, 28
	v_lshlrev_b32_e32 v21, 16, v42
	v_lshl_add_u32 v0, v0, 23, v26
	v_and_or_b32 v0, v21, s96, v0
	v_lshl_or_b32 v0, v17, 21, v0
                                        ; implicit-def: $vgpr17
.LBB4_4000:                             ;   in Loop: Header=BB4_3353 Depth=3
	s_andn2_saveexec_b64 s[68:69], s[68:69]
; %bb.4001:                             ;   in Loop: Header=BB4_3353 Depth=3
	v_cmp_lt_i16_e32 vcc, -1, v42
	v_cndmask_b32_e32 v0, v6, v1, vcc
	v_cmp_eq_u32_e32 vcc, 0, v17
	v_mov_b32_e32 v17, 0x7f800001
	v_cndmask_b32_e32 v0, v17, v0, vcc
; %bb.4002:                             ;   in Loop: Header=BB4_3353 Depth=3
	s_or_b64 exec, exec, s[68:69]
.LBB4_4003:                             ;   in Loop: Header=BB4_3353 Depth=3
	s_or_b64 exec, exec, s[28:29]
.LBB4_4004:                             ;   in Loop: Header=BB4_3353 Depth=3
	s_or_b64 exec, exec, s[30:31]
	v_cmp_ne_u16_e32 vcc, 0, v20
	s_and_saveexec_b64 s[28:29], vcc
	s_cbranch_execz .LBB4_4012
; %bb.4005:                             ;   in Loop: Header=BB4_3353 Depth=3
	v_cmp_ne_u16_e32 vcc, s97, v20
	v_bfrev_b32_e32 v7, 1
	s_and_saveexec_b64 s[30:31], vcc
	s_cbranch_execz .LBB4_4011
; %bb.4006:                             ;   in Loop: Header=BB4_3353 Depth=3
	v_and_b32_e32 v7, 0x7c, v20
	v_and_b32_e32 v26, 3, v20
	v_cmp_ne_u32_e32 vcc, s95, v7
                                        ; implicit-def: $vgpr7
	s_and_saveexec_b64 s[68:69], vcc
	s_xor_b64 s[68:69], exec, s[68:69]
	s_cbranch_execz .LBB4_4008
; %bb.4007:                             ;   in Loop: Header=BB4_3353 Depth=3
	v_ffbh_u32_e32 v17, v26
	v_min_u32_e32 v17, 32, v17
	v_mov_b32_e32 v21, v43
	v_subrev_u32_e32 v27, 29, v17
	v_bfe_u32 v7, v20, 2, 5
	v_lshlrev_b64 v[20:21], v27, v[20:21]
	v_sub_u32_e32 v17, 30, v17
	v_and_b32_e32 v20, 3, v20
	v_cmp_eq_u32_e32 vcc, 0, v7
	v_cndmask_b32_e32 v7, v7, v17, vcc
	v_cndmask_b32_e32 v17, v26, v20, vcc
	v_bfrev_b32_e32 v20, 28
	v_lshlrev_b32_e32 v16, 16, v16
	v_lshl_add_u32 v7, v7, 23, v20
	v_and_or_b32 v7, v16, s96, v7
	v_lshl_or_b32 v7, v17, 21, v7
                                        ; implicit-def: $vgpr26
                                        ; implicit-def: $vgpr16_vgpr17
.LBB4_4008:                             ;   in Loop: Header=BB4_3353 Depth=3
	s_andn2_saveexec_b64 s[68:69], s[68:69]
; %bb.4009:                             ;   in Loop: Header=BB4_3353 Depth=3
	v_cmp_lt_i16_e32 vcc, -1, v16
	v_cndmask_b32_e32 v7, v6, v1, vcc
	v_cmp_eq_u32_e32 vcc, 0, v26
	v_mov_b32_e32 v16, 0x7f800001
	v_cndmask_b32_e32 v7, v16, v7, vcc
; %bb.4010:                             ;   in Loop: Header=BB4_3353 Depth=3
	s_or_b64 exec, exec, s[68:69]
.LBB4_4011:                             ;   in Loop: Header=BB4_3353 Depth=3
	s_or_b64 exec, exec, s[30:31]
.LBB4_4012:                             ;   in Loop: Header=BB4_3353 Depth=3
	s_or_b64 exec, exec, s[28:29]
	v_max_f32_e32 v7, v7, v7
	v_max_f32_e32 v0, v0, v0
	v_min_f32_e32 v7, v0, v7
.LBB4_4013:                             ;   in Loop: Header=BB4_3353 Depth=3
	v_and_b32_sdwa v0, v7, s97 dst_sel:DWORD dst_unused:UNUSED_PAD src0_sel:BYTE_3 src1_sel:DWORD
	v_and_b32_e32 v16, 0x7f800000, v7
	v_mov_b32_e32 v17, v43
	v_and_b32_e32 v42, 0x7fffff, v7
	v_or_b32_e32 v26, 0x7b, v0
	v_cmp_ne_u64_e32 vcc, s[52:53], v[16:17]
	s_and_saveexec_b64 s[28:29], vcc
	s_xor_b64 s[30:31], exec, s[28:29]
	s_cbranch_execz .LBB4_4023
; %bb.4014:                             ;   in Loop: Header=BB4_3353 Depth=3
	v_and_b32_e32 v16, 0x7fffffff, v7
	v_mov_b32_e32 v17, v43
	v_cmp_gt_u64_e32 vcc, s[54:55], v[16:17]
	s_and_saveexec_b64 s[68:69], vcc
	s_cbranch_execz .LBB4_4022
; %bb.4015:                             ;   in Loop: Header=BB4_3353 Depth=3
	v_cmp_ne_u32_e32 vcc, 0, v7
	v_mov_b32_e32 v26, 0
	s_and_saveexec_b64 s[70:71], vcc
	s_cbranch_execz .LBB4_4021
; %bb.4016:                             ;   in Loop: Header=BB4_3353 Depth=3
	v_bfe_u32 v7, v7, 23, 8
	v_sub_u32_e32 v17, 0x71, v7
	v_cmp_gt_u32_e32 vcc, s38, v7
	v_add_u32_e32 v16, 0xffffff81, v7
	v_cndmask_b32_e32 v17, 0, v17, vcc
	v_cmp_eq_u32_e32 vcc, 0, v7
	v_mov_b32_e32 v7, 0xffffff82
	v_cndmask_b32_e32 v7, v16, v7, vcc
	v_mov_b32_e32 v16, 0x70
	v_or_b32_e32 v20, 0x800000, v42
	v_cndmask_b32_e32 v21, v17, v16, vcc
	v_cndmask_b32_e32 v42, v20, v42, vcc
	v_add_u32_e32 v16, 21, v21
	v_lshlrev_b64 v[16:17], v16, -1
	v_add_u32_e32 v20, 20, v21
	v_lshrrev_b64 v[36:37], v21, v[42:43]
	v_not_b32_e32 v17, v17
	v_not_b32_e32 v16, v16
	v_lshlrev_b64 v[26:27], v20, 1
	v_lshrrev_b32_e32 v20, 23, v36
	v_and_b32_e32 v17, 0, v17
	v_and_b32_e32 v16, v42, v16
	v_add3_u32 v21, v21, v7, v20
	v_bfe_u32 v7, v36, 21, 1
	v_add_u32_e32 v7, -1, v7
	v_cmp_eq_u64_e32 vcc, v[16:17], v[26:27]
	v_cndmask_b32_e32 v7, 0, v7, vcc
	v_add_u32_e32 v7, v7, v36
	v_and_b32_e32 v7, 0x1fffff, v7
	v_add_co_u32_e32 v16, vcc, v7, v36
	v_add_u32_e32 v20, 14, v21
	v_addc_co_u32_e32 v17, vcc, 0, v37, vcc
	v_cmp_ne_u32_e32 vcc, 0, v20
                                        ; implicit-def: $vgpr7
	s_and_saveexec_b64 s[28:29], vcc
	s_xor_b64 s[28:29], exec, s[28:29]
; %bb.4017:                             ;   in Loop: Header=BB4_3353 Depth=3
	v_add_u32_e32 v7, 15, v21
	v_cmp_lt_u64_e32 vcc, s[56:57], v[16:17]
	v_cndmask_b32_e32 v7, v20, v7, vcc
	v_cndmask_b32_e64 v20, 0, 1, vcc
	v_lshrrev_b64 v[16:17], v20, v[16:17]
; %bb.4018:                             ;   in Loop: Header=BB4_3353 Depth=3
	s_andn2_saveexec_b64 s[28:29], s[28:29]
; %bb.4019:                             ;   in Loop: Header=BB4_3353 Depth=3
	v_bfe_u32 v7, v16, 23, 1
; %bb.4020:                             ;   in Loop: Header=BB4_3353 Depth=3
	s_or_b64 exec, exec, s[28:29]
	v_lshrrev_b64 v[16:17], 21, v[16:17]
	v_cmp_gt_i32_e32 vcc, 32, v7
	v_cndmask_b32_e32 v17, 0, v17, vcc
	v_cndmask_b32_e32 v16, 3, v16, vcc
	v_cmp_eq_u32_e32 vcc, 0, v7
	v_min_i32_e32 v7, 31, v7
	v_cmp_eq_u64_e64 s[28:29], 0, v[16:17]
	v_lshlrev_b32_e32 v7, 2, v7
	v_and_or_b32 v7, v16, 3, v7
	s_and_b64 s[28:29], vcc, s[28:29]
	v_cndmask_b32_e64 v7, v7, 0, s[28:29]
	v_or_b32_e32 v26, v7, v0
.LBB4_4021:                             ;   in Loop: Header=BB4_3353 Depth=3
	s_or_b64 exec, exec, s[70:71]
.LBB4_4022:                             ;   in Loop: Header=BB4_3353 Depth=3
	s_or_b64 exec, exec, s[68:69]
                                        ; implicit-def: $vgpr7
.LBB4_4023:                             ;   in Loop: Header=BB4_3353 Depth=3
	s_andn2_saveexec_b64 s[28:29], s[30:31]
; %bb.4024:                             ;   in Loop: Header=BB4_3353 Depth=3
	v_or_b32_sdwa v0, v7, s39 dst_sel:DWORD dst_unused:UNUSED_PAD src0_sel:BYTE_3 src1_sel:DWORD
	v_cmp_eq_u64_e32 vcc, 0, v[42:43]
	v_cndmask_b32_e32 v26, v0, v26, vcc
; %bb.4025:                             ;   in Loop: Header=BB4_3353 Depth=3
	s_or_b64 exec, exec, s[28:29]
	v_lshrrev_b32_e32 v20, 16, v23
	v_lshrrev_b32_e32 v16, 16, v19
	v_cmp_ne_u16_sdwa s[28:29], v20, v43 src0_sel:BYTE_0 src1_sel:DWORD
	s_and_b64 vcc, exec, s[66:67]
	s_cbranch_vccz .LBB4_4043
; %bb.4026:                             ;   in Loop: Header=BB4_3353 Depth=3
	v_mov_b32_e32 v7, 0
	v_mov_b32_e32 v0, 0
	s_and_saveexec_b64 s[30:31], s[28:29]
	s_cbranch_execz .LBB4_4034
; %bb.4027:                             ;   in Loop: Header=BB4_3353 Depth=3
	v_cmp_ne_u16_sdwa vcc, v20, s97 src0_sel:BYTE_0 src1_sel:DWORD
	v_bfrev_b32_e32 v0, 1
	s_and_saveexec_b64 s[68:69], vcc
	s_cbranch_execz .LBB4_4033
; %bb.4028:                             ;   in Loop: Header=BB4_3353 Depth=3
	v_and_b32_e32 v0, 0x7c0000, v23
	v_bfe_u32 v17, v23, 16, 2
	v_cmp_ne_u32_e32 vcc, s36, v0
                                        ; implicit-def: $vgpr0
	s_and_saveexec_b64 s[70:71], vcc
	s_xor_b64 s[70:71], exec, s[70:71]
	s_cbranch_execz .LBB4_4030
; %bb.4029:                             ;   in Loop: Header=BB4_3353 Depth=3
	v_ffbh_u32_e32 v21, v17
	v_min_u32_e32 v21, 32, v21
	v_subrev_u32_e32 v27, 29, v21
	v_bfe_u32 v0, v23, 18, 5
	v_lshlrev_b64 v[36:37], v27, v[20:21]
	v_sub_u32_e32 v21, 30, v21
	v_and_b32_e32 v27, 3, v36
	v_cmp_eq_u32_e32 vcc, 0, v0
	v_cndmask_b32_e32 v0, v0, v21, vcc
	v_cndmask_b32_e32 v17, v17, v27, vcc
	v_bfrev_b32_e32 v27, 28
	v_lshlrev_b32_e32 v21, 24, v20
	v_lshl_add_u32 v0, v0, 23, v27
	v_and_or_b32 v0, v21, s96, v0
	v_lshl_or_b32 v0, v17, 21, v0
                                        ; implicit-def: $vgpr17
.LBB4_4030:                             ;   in Loop: Header=BB4_3353 Depth=3
	s_andn2_saveexec_b64 s[70:71], s[70:71]
; %bb.4031:                             ;   in Loop: Header=BB4_3353 Depth=3
	v_mov_b32_e32 v0, -1
	v_cmp_gt_i16_sdwa vcc, sext(v20), v0 src0_sel:BYTE_0 src1_sel:DWORD
	v_cndmask_b32_e32 v0, v6, v1, vcc
	v_cmp_eq_u32_e32 vcc, 0, v17
	v_mov_b32_e32 v17, 0x7f800001
	v_cndmask_b32_e32 v0, v17, v0, vcc
; %bb.4032:                             ;   in Loop: Header=BB4_3353 Depth=3
	s_or_b64 exec, exec, s[70:71]
.LBB4_4033:                             ;   in Loop: Header=BB4_3353 Depth=3
	s_or_b64 exec, exec, s[68:69]
.LBB4_4034:                             ;   in Loop: Header=BB4_3353 Depth=3
	s_or_b64 exec, exec, s[30:31]
	v_cmp_ne_u16_sdwa vcc, v16, v43 src0_sel:BYTE_0 src1_sel:DWORD
	s_and_saveexec_b64 s[30:31], vcc
	s_cbranch_execz .LBB4_4042
; %bb.4035:                             ;   in Loop: Header=BB4_3353 Depth=3
	v_cmp_ne_u16_sdwa vcc, v16, s97 src0_sel:BYTE_0 src1_sel:DWORD
	v_bfrev_b32_e32 v7, 1
	s_and_saveexec_b64 s[68:69], vcc
	s_cbranch_execz .LBB4_4041
; %bb.4036:                             ;   in Loop: Header=BB4_3353 Depth=3
	v_and_b32_e32 v7, 0x7c0000, v19
	v_bfe_u32 v17, v19, 16, 2
	v_cmp_ne_u32_e32 vcc, s36, v7
                                        ; implicit-def: $vgpr7
	s_and_saveexec_b64 s[70:71], vcc
	s_xor_b64 s[70:71], exec, s[70:71]
	s_cbranch_execz .LBB4_4038
; %bb.4037:                             ;   in Loop: Header=BB4_3353 Depth=3
	v_ffbh_u32_e32 v21, v17
	v_min_u32_e32 v21, 32, v21
	v_subrev_u32_e32 v27, 29, v21
	v_bfe_u32 v7, v19, 18, 5
	v_lshlrev_b64 v[36:37], v27, v[16:17]
	v_sub_u32_e32 v21, 30, v21
	v_and_b32_e32 v27, 3, v36
	v_cmp_eq_u32_e32 vcc, 0, v7
	v_cndmask_b32_e32 v7, v7, v21, vcc
	v_cndmask_b32_e32 v17, v17, v27, vcc
	v_bfrev_b32_e32 v27, 28
	v_lshlrev_b32_e32 v21, 24, v16
	v_lshl_add_u32 v7, v7, 23, v27
	v_and_or_b32 v7, v21, s96, v7
	v_lshl_or_b32 v7, v17, 21, v7
                                        ; implicit-def: $vgpr17
.LBB4_4038:                             ;   in Loop: Header=BB4_3353 Depth=3
	s_andn2_saveexec_b64 s[70:71], s[70:71]
; %bb.4039:                             ;   in Loop: Header=BB4_3353 Depth=3
	v_mov_b32_e32 v7, -1
	v_cmp_gt_i16_sdwa vcc, sext(v16), v7 src0_sel:BYTE_0 src1_sel:DWORD
	v_cndmask_b32_e32 v7, v6, v1, vcc
	v_cmp_eq_u32_e32 vcc, 0, v17
	v_mov_b32_e32 v17, 0x7f800001
	v_cndmask_b32_e32 v7, v17, v7, vcc
; %bb.4040:                             ;   in Loop: Header=BB4_3353 Depth=3
	s_or_b64 exec, exec, s[70:71]
.LBB4_4041:                             ;   in Loop: Header=BB4_3353 Depth=3
	s_or_b64 exec, exec, s[68:69]
.LBB4_4042:                             ;   in Loop: Header=BB4_3353 Depth=3
	s_or_b64 exec, exec, s[30:31]
	v_max_f32_e32 v7, v7, v7
	v_max_f32_e32 v0, v0, v0
	;; [unrolled: 1-line block ×3, first 2 shown]
	s_branch .LBB4_4061
.LBB4_4043:                             ;   in Loop: Header=BB4_3353 Depth=3
                                        ; implicit-def: $vgpr7
	s_cbranch_execz .LBB4_4061
; %bb.4044:                             ;   in Loop: Header=BB4_3353 Depth=3
	v_mov_b32_e32 v7, 0
	v_mov_b32_e32 v0, 0
	s_and_saveexec_b64 s[30:31], s[28:29]
	s_cbranch_execz .LBB4_4052
; %bb.4045:                             ;   in Loop: Header=BB4_3353 Depth=3
	v_cmp_ne_u16_sdwa vcc, v20, s97 src0_sel:BYTE_0 src1_sel:DWORD
	v_bfrev_b32_e32 v0, 1
	s_and_saveexec_b64 s[28:29], vcc
	s_cbranch_execz .LBB4_4051
; %bb.4046:                             ;   in Loop: Header=BB4_3353 Depth=3
	v_and_b32_e32 v0, 0x7c0000, v23
	v_bfe_u32 v17, v23, 16, 2
	v_cmp_ne_u32_e32 vcc, s36, v0
                                        ; implicit-def: $vgpr0
	s_and_saveexec_b64 s[68:69], vcc
	s_xor_b64 s[68:69], exec, s[68:69]
	s_cbranch_execz .LBB4_4048
; %bb.4047:                             ;   in Loop: Header=BB4_3353 Depth=3
	v_ffbh_u32_e32 v21, v17
	v_min_u32_e32 v21, 32, v21
	v_bfe_u32 v0, v23, 18, 5
	v_subrev_u32_e32 v27, 29, v21
	v_lshlrev_b64 v[36:37], v27, v[20:21]
	v_sub_u32_e32 v21, 30, v21
	v_cmp_eq_u32_e32 vcc, 0, v0
	v_cndmask_b32_e32 v0, v0, v21, vcc
	v_bfrev_b32_e32 v21, 28
	v_and_b32_e32 v27, 3, v36
	v_lshlrev_b32_e32 v20, 24, v20
	v_lshl_add_u32 v0, v0, 23, v21
	v_cndmask_b32_e32 v17, v17, v27, vcc
	v_and_or_b32 v0, v20, s96, v0
	v_lshl_or_b32 v0, v17, 21, v0
                                        ; implicit-def: $vgpr17
                                        ; implicit-def: $vgpr20
.LBB4_4048:                             ;   in Loop: Header=BB4_3353 Depth=3
	s_andn2_saveexec_b64 s[68:69], s[68:69]
; %bb.4049:                             ;   in Loop: Header=BB4_3353 Depth=3
	v_mov_b32_e32 v0, -1
	v_cmp_gt_i16_sdwa vcc, sext(v20), v0 src0_sel:BYTE_0 src1_sel:DWORD
	v_cndmask_b32_e32 v0, v6, v1, vcc
	v_cmp_eq_u32_e32 vcc, 0, v17
	v_mov_b32_e32 v17, 0x7f800001
	v_cndmask_b32_e32 v0, v17, v0, vcc
; %bb.4050:                             ;   in Loop: Header=BB4_3353 Depth=3
	s_or_b64 exec, exec, s[68:69]
.LBB4_4051:                             ;   in Loop: Header=BB4_3353 Depth=3
	s_or_b64 exec, exec, s[28:29]
.LBB4_4052:                             ;   in Loop: Header=BB4_3353 Depth=3
	s_or_b64 exec, exec, s[30:31]
	v_cmp_ne_u16_sdwa vcc, v16, v43 src0_sel:BYTE_0 src1_sel:DWORD
	s_and_saveexec_b64 s[28:29], vcc
	s_cbranch_execz .LBB4_4060
; %bb.4053:                             ;   in Loop: Header=BB4_3353 Depth=3
	v_cmp_ne_u16_sdwa vcc, v16, s97 src0_sel:BYTE_0 src1_sel:DWORD
	v_bfrev_b32_e32 v7, 1
	s_and_saveexec_b64 s[30:31], vcc
	s_cbranch_execz .LBB4_4059
; %bb.4054:                             ;   in Loop: Header=BB4_3353 Depth=3
	v_and_b32_e32 v7, 0x7c0000, v19
	v_bfe_u32 v17, v19, 16, 2
	v_cmp_ne_u32_e32 vcc, s36, v7
                                        ; implicit-def: $vgpr7
	s_and_saveexec_b64 s[68:69], vcc
	s_xor_b64 s[68:69], exec, s[68:69]
	s_cbranch_execz .LBB4_4056
; %bb.4055:                             ;   in Loop: Header=BB4_3353 Depth=3
	v_ffbh_u32_e32 v20, v17
	v_min_u32_e32 v27, 32, v20
	v_subrev_u32_e32 v20, 29, v27
	v_bfe_u32 v7, v19, 18, 5
	v_lshlrev_b64 v[20:21], v20, v[16:17]
	v_sub_u32_e32 v21, 30, v27
	v_and_b32_e32 v20, 3, v20
	v_cmp_eq_u32_e32 vcc, 0, v7
	v_cndmask_b32_e32 v7, v7, v21, vcc
	v_cndmask_b32_e32 v17, v17, v20, vcc
	v_bfrev_b32_e32 v20, 28
	v_lshlrev_b32_e32 v16, 24, v16
	v_lshl_add_u32 v7, v7, 23, v20
	v_and_or_b32 v7, v16, s96, v7
	v_lshl_or_b32 v7, v17, 21, v7
                                        ; implicit-def: $vgpr17
                                        ; implicit-def: $vgpr16
.LBB4_4056:                             ;   in Loop: Header=BB4_3353 Depth=3
	s_andn2_saveexec_b64 s[68:69], s[68:69]
; %bb.4057:                             ;   in Loop: Header=BB4_3353 Depth=3
	v_mov_b32_e32 v7, -1
	v_cmp_gt_i16_sdwa vcc, sext(v16), v7 src0_sel:BYTE_0 src1_sel:DWORD
	v_cndmask_b32_e32 v7, v6, v1, vcc
	v_cmp_eq_u32_e32 vcc, 0, v17
	v_mov_b32_e32 v16, 0x7f800001
	v_cndmask_b32_e32 v7, v16, v7, vcc
; %bb.4058:                             ;   in Loop: Header=BB4_3353 Depth=3
	s_or_b64 exec, exec, s[68:69]
.LBB4_4059:                             ;   in Loop: Header=BB4_3353 Depth=3
	s_or_b64 exec, exec, s[30:31]
.LBB4_4060:                             ;   in Loop: Header=BB4_3353 Depth=3
	s_or_b64 exec, exec, s[28:29]
	v_max_f32_e32 v7, v7, v7
	v_max_f32_e32 v0, v0, v0
	v_min_f32_e32 v7, v0, v7
.LBB4_4061:                             ;   in Loop: Header=BB4_3353 Depth=3
	v_and_b32_sdwa v0, v7, s97 dst_sel:DWORD dst_unused:UNUSED_PAD src0_sel:BYTE_3 src1_sel:DWORD
	v_and_b32_e32 v16, 0x7f800000, v7
	v_mov_b32_e32 v17, v43
	v_and_b32_e32 v42, 0x7fffff, v7
	v_or_b32_e32 v27, 0x7b, v0
	v_cmp_ne_u64_e32 vcc, s[52:53], v[16:17]
	s_and_saveexec_b64 s[28:29], vcc
	s_xor_b64 s[30:31], exec, s[28:29]
	s_cbranch_execz .LBB4_4071
; %bb.4062:                             ;   in Loop: Header=BB4_3353 Depth=3
	v_and_b32_e32 v16, 0x7fffffff, v7
	v_mov_b32_e32 v17, v43
	v_cmp_gt_u64_e32 vcc, s[54:55], v[16:17]
	s_and_saveexec_b64 s[68:69], vcc
	s_cbranch_execz .LBB4_4070
; %bb.4063:                             ;   in Loop: Header=BB4_3353 Depth=3
	v_cmp_ne_u32_e32 vcc, 0, v7
	v_mov_b32_e32 v27, 0
	s_and_saveexec_b64 s[70:71], vcc
	s_cbranch_execz .LBB4_4069
; %bb.4064:                             ;   in Loop: Header=BB4_3353 Depth=3
	v_bfe_u32 v7, v7, 23, 8
	v_sub_u32_e32 v17, 0x71, v7
	v_cmp_gt_u32_e32 vcc, s38, v7
	v_add_u32_e32 v16, 0xffffff81, v7
	v_cndmask_b32_e32 v17, 0, v17, vcc
	v_cmp_eq_u32_e32 vcc, 0, v7
	v_mov_b32_e32 v7, 0xffffff82
	v_cndmask_b32_e32 v7, v16, v7, vcc
	v_mov_b32_e32 v16, 0x70
	v_or_b32_e32 v20, 0x800000, v42
	v_cndmask_b32_e32 v21, v17, v16, vcc
	v_cndmask_b32_e32 v42, v20, v42, vcc
	v_add_u32_e32 v16, 21, v21
	v_lshlrev_b64 v[16:17], v16, -1
	v_add_u32_e32 v20, 20, v21
	v_lshrrev_b64 v[50:51], v21, v[42:43]
	v_not_b32_e32 v17, v17
	v_not_b32_e32 v16, v16
	v_lshlrev_b64 v[36:37], v20, 1
	v_lshrrev_b32_e32 v20, 23, v50
	v_and_b32_e32 v17, 0, v17
	v_and_b32_e32 v16, v42, v16
	v_add3_u32 v21, v21, v7, v20
	v_bfe_u32 v7, v50, 21, 1
	v_add_u32_e32 v7, -1, v7
	v_cmp_eq_u64_e32 vcc, v[16:17], v[36:37]
	v_cndmask_b32_e32 v7, 0, v7, vcc
	v_add_u32_e32 v7, v7, v50
	v_and_b32_e32 v7, 0x1fffff, v7
	v_add_co_u32_e32 v16, vcc, v7, v50
	v_add_u32_e32 v20, 14, v21
	v_addc_co_u32_e32 v17, vcc, 0, v51, vcc
	v_cmp_ne_u32_e32 vcc, 0, v20
                                        ; implicit-def: $vgpr7
	s_and_saveexec_b64 s[28:29], vcc
	s_xor_b64 s[28:29], exec, s[28:29]
; %bb.4065:                             ;   in Loop: Header=BB4_3353 Depth=3
	v_add_u32_e32 v7, 15, v21
	v_cmp_lt_u64_e32 vcc, s[56:57], v[16:17]
	v_cndmask_b32_e32 v7, v20, v7, vcc
	v_cndmask_b32_e64 v20, 0, 1, vcc
	v_lshrrev_b64 v[16:17], v20, v[16:17]
; %bb.4066:                             ;   in Loop: Header=BB4_3353 Depth=3
	s_andn2_saveexec_b64 s[28:29], s[28:29]
; %bb.4067:                             ;   in Loop: Header=BB4_3353 Depth=3
	v_bfe_u32 v7, v16, 23, 1
; %bb.4068:                             ;   in Loop: Header=BB4_3353 Depth=3
	s_or_b64 exec, exec, s[28:29]
	v_lshrrev_b64 v[16:17], 21, v[16:17]
	v_cmp_gt_i32_e32 vcc, 32, v7
	v_cndmask_b32_e32 v17, 0, v17, vcc
	v_cndmask_b32_e32 v16, 3, v16, vcc
	v_cmp_eq_u32_e32 vcc, 0, v7
	v_min_i32_e32 v7, 31, v7
	v_cmp_eq_u64_e64 s[28:29], 0, v[16:17]
	v_lshlrev_b32_e32 v7, 2, v7
	v_and_or_b32 v7, v16, 3, v7
	s_and_b64 s[28:29], vcc, s[28:29]
	v_cndmask_b32_e64 v7, v7, 0, s[28:29]
	v_or_b32_e32 v27, v7, v0
.LBB4_4069:                             ;   in Loop: Header=BB4_3353 Depth=3
	s_or_b64 exec, exec, s[70:71]
.LBB4_4070:                             ;   in Loop: Header=BB4_3353 Depth=3
	s_or_b64 exec, exec, s[68:69]
                                        ; implicit-def: $vgpr7
.LBB4_4071:                             ;   in Loop: Header=BB4_3353 Depth=3
	s_andn2_saveexec_b64 s[28:29], s[30:31]
; %bb.4072:                             ;   in Loop: Header=BB4_3353 Depth=3
	v_or_b32_sdwa v0, v7, s39 dst_sel:DWORD dst_unused:UNUSED_PAD src0_sel:BYTE_3 src1_sel:DWORD
	v_cmp_eq_u64_e32 vcc, 0, v[42:43]
	v_cndmask_b32_e32 v27, v0, v27, vcc
; %bb.4073:                             ;   in Loop: Header=BB4_3353 Depth=3
	s_or_b64 exec, exec, s[28:29]
	v_lshrrev_b32_e32 v20, 24, v23
	v_lshrrev_b32_e32 v16, 24, v19
	v_cmp_lt_u64_e64 s[28:29], s[42:43], v[22:23]
	s_and_b64 vcc, exec, s[66:67]
	s_cbranch_vccz .LBB4_4091
; %bb.4074:                             ;   in Loop: Header=BB4_3353 Depth=3
	v_mov_b32_e32 v7, 0
	v_mov_b32_e32 v0, 0
	s_and_saveexec_b64 s[30:31], s[28:29]
	s_cbranch_execz .LBB4_4082
; %bb.4075:                             ;   in Loop: Header=BB4_3353 Depth=3
	v_cmp_ne_u32_e32 vcc, s97, v20
	v_bfrev_b32_e32 v0, 1
	s_and_saveexec_b64 s[68:69], vcc
	s_cbranch_execz .LBB4_4081
; %bb.4076:                             ;   in Loop: Header=BB4_3353 Depth=3
	v_and_b32_e32 v0, 0x7c000000, v23
	v_bfe_u32 v17, v23, 24, 2
	v_cmp_ne_u32_e32 vcc, s37, v0
                                        ; implicit-def: $vgpr0
	s_and_saveexec_b64 s[70:71], vcc
	s_xor_b64 s[70:71], exec, s[70:71]
	s_cbranch_execz .LBB4_4078
; %bb.4077:                             ;   in Loop: Header=BB4_3353 Depth=3
	v_ffbh_u32_e32 v21, v17
	v_min_u32_e32 v21, 32, v21
	v_bfe_u32 v0, v23, 26, 5
	v_subrev_u32_e32 v30, 29, v21
	v_lshlrev_b64 v[36:37], v30, v[20:21]
	v_sub_u32_e32 v21, 30, v21
	v_cmp_eq_u32_e32 vcc, 0, v0
	v_cndmask_b32_e32 v0, v0, v21, vcc
	v_bfrev_b32_e32 v21, 28
	v_and_b32_e32 v30, 3, v36
	v_lshl_add_u32 v0, v0, 23, v21
	v_cndmask_b32_e32 v17, v17, v30, vcc
	v_and_or_b32 v0, v23, s96, v0
	v_lshl_or_b32 v0, v17, 21, v0
                                        ; implicit-def: $vgpr17
.LBB4_4078:                             ;   in Loop: Header=BB4_3353 Depth=3
	s_andn2_saveexec_b64 s[70:71], s[70:71]
; %bb.4079:                             ;   in Loop: Header=BB4_3353 Depth=3
	v_cmp_lt_i64_e32 vcc, -1, v[22:23]
	v_cndmask_b32_e32 v0, v6, v1, vcc
	v_cmp_eq_u32_e32 vcc, 0, v17
	v_mov_b32_e32 v17, 0x7f800001
	v_cndmask_b32_e32 v0, v17, v0, vcc
; %bb.4080:                             ;   in Loop: Header=BB4_3353 Depth=3
	s_or_b64 exec, exec, s[70:71]
.LBB4_4081:                             ;   in Loop: Header=BB4_3353 Depth=3
	s_or_b64 exec, exec, s[68:69]
.LBB4_4082:                             ;   in Loop: Header=BB4_3353 Depth=3
	s_or_b64 exec, exec, s[30:31]
	v_cmp_lt_u64_e32 vcc, s[42:43], v[18:19]
	s_and_saveexec_b64 s[30:31], vcc
	s_cbranch_execz .LBB4_4090
; %bb.4083:                             ;   in Loop: Header=BB4_3353 Depth=3
	v_cmp_ne_u32_e32 vcc, s97, v16
	v_bfrev_b32_e32 v7, 1
	s_and_saveexec_b64 s[68:69], vcc
	s_cbranch_execz .LBB4_4089
; %bb.4084:                             ;   in Loop: Header=BB4_3353 Depth=3
	v_and_b32_e32 v7, 0x7c000000, v19
	v_bfe_u32 v17, v19, 24, 2
	v_cmp_ne_u32_e32 vcc, s37, v7
                                        ; implicit-def: $vgpr7
	s_and_saveexec_b64 s[70:71], vcc
	s_xor_b64 s[70:71], exec, s[70:71]
	s_cbranch_execz .LBB4_4086
; %bb.4085:                             ;   in Loop: Header=BB4_3353 Depth=3
	v_ffbh_u32_e32 v21, v17
	v_bfe_u32 v7, v19, 26, 5
	v_min_u32_e32 v21, 32, v21
	v_subrev_u32_e32 v30, 29, v21
	v_sub_u32_e32 v21, 30, v21
	v_cmp_eq_u32_e32 vcc, 0, v7
	v_lshlrev_b64 v[36:37], v30, v[16:17]
	v_cndmask_b32_e32 v7, v7, v21, vcc
	v_bfrev_b32_e32 v21, 28
	v_and_b32_e32 v30, 3, v36
	v_lshl_add_u32 v7, v7, 23, v21
	v_cndmask_b32_e32 v17, v17, v30, vcc
	v_and_or_b32 v7, v19, s96, v7
	v_lshl_or_b32 v7, v17, 21, v7
                                        ; implicit-def: $vgpr17
.LBB4_4086:                             ;   in Loop: Header=BB4_3353 Depth=3
	s_andn2_saveexec_b64 s[70:71], s[70:71]
; %bb.4087:                             ;   in Loop: Header=BB4_3353 Depth=3
	v_cmp_lt_i64_e32 vcc, -1, v[18:19]
	v_cndmask_b32_e32 v7, v6, v1, vcc
	v_cmp_eq_u32_e32 vcc, 0, v17
	v_mov_b32_e32 v17, 0x7f800001
	v_cndmask_b32_e32 v7, v17, v7, vcc
; %bb.4088:                             ;   in Loop: Header=BB4_3353 Depth=3
	s_or_b64 exec, exec, s[70:71]
.LBB4_4089:                             ;   in Loop: Header=BB4_3353 Depth=3
	s_or_b64 exec, exec, s[68:69]
.LBB4_4090:                             ;   in Loop: Header=BB4_3353 Depth=3
	s_or_b64 exec, exec, s[30:31]
	v_max_f32_e32 v7, v7, v7
	v_max_f32_e32 v0, v0, v0
	;; [unrolled: 1-line block ×3, first 2 shown]
	s_branch .LBB4_4109
.LBB4_4091:                             ;   in Loop: Header=BB4_3353 Depth=3
                                        ; implicit-def: $vgpr7
	s_cbranch_execz .LBB4_4109
; %bb.4092:                             ;   in Loop: Header=BB4_3353 Depth=3
	v_mov_b32_e32 v7, 0
	v_mov_b32_e32 v0, 0
	s_and_saveexec_b64 s[30:31], s[28:29]
	s_cbranch_execz .LBB4_4100
; %bb.4093:                             ;   in Loop: Header=BB4_3353 Depth=3
	v_cmp_ne_u32_e32 vcc, s97, v20
	v_bfrev_b32_e32 v0, 1
	s_and_saveexec_b64 s[28:29], vcc
	s_cbranch_execz .LBB4_4099
; %bb.4094:                             ;   in Loop: Header=BB4_3353 Depth=3
	v_and_b32_e32 v0, 0x7c000000, v23
	v_bfe_u32 v17, v23, 24, 2
	v_cmp_ne_u32_e32 vcc, s37, v0
                                        ; implicit-def: $vgpr0
	s_and_saveexec_b64 s[68:69], vcc
	s_xor_b64 s[68:69], exec, s[68:69]
	s_cbranch_execz .LBB4_4096
; %bb.4095:                             ;   in Loop: Header=BB4_3353 Depth=3
	v_ffbh_u32_e32 v21, v17
	v_min_u32_e32 v22, 32, v21
	v_subrev_u32_e32 v21, 29, v22
	v_bfe_u32 v0, v23, 26, 5
	v_lshlrev_b64 v[20:21], v21, v[20:21]
	v_sub_u32_e32 v21, 30, v22
	v_and_b32_e32 v20, 3, v20
	v_cmp_eq_u32_e32 vcc, 0, v0
	v_cndmask_b32_e32 v0, v0, v21, vcc
	v_cndmask_b32_e32 v17, v17, v20, vcc
	v_bfrev_b32_e32 v20, 28
	v_lshl_add_u32 v0, v0, 23, v20
	v_and_or_b32 v0, v23, s96, v0
	v_lshl_or_b32 v0, v17, 21, v0
                                        ; implicit-def: $vgpr17
                                        ; implicit-def: $vgpr22_vgpr23
.LBB4_4096:                             ;   in Loop: Header=BB4_3353 Depth=3
	s_andn2_saveexec_b64 s[68:69], s[68:69]
; %bb.4097:                             ;   in Loop: Header=BB4_3353 Depth=3
	v_cmp_lt_i64_e32 vcc, -1, v[22:23]
	v_cndmask_b32_e32 v0, v6, v1, vcc
	v_cmp_eq_u32_e32 vcc, 0, v17
	v_mov_b32_e32 v17, 0x7f800001
	v_cndmask_b32_e32 v0, v17, v0, vcc
; %bb.4098:                             ;   in Loop: Header=BB4_3353 Depth=3
	s_or_b64 exec, exec, s[68:69]
.LBB4_4099:                             ;   in Loop: Header=BB4_3353 Depth=3
	s_or_b64 exec, exec, s[28:29]
.LBB4_4100:                             ;   in Loop: Header=BB4_3353 Depth=3
	s_or_b64 exec, exec, s[30:31]
	v_cmp_lt_u64_e32 vcc, s[42:43], v[18:19]
	s_and_saveexec_b64 s[28:29], vcc
	s_cbranch_execz .LBB4_4108
; %bb.4101:                             ;   in Loop: Header=BB4_3353 Depth=3
	v_cmp_ne_u32_e32 vcc, s97, v16
	v_bfrev_b32_e32 v7, 1
	s_and_saveexec_b64 s[30:31], vcc
	s_cbranch_execz .LBB4_4107
; %bb.4102:                             ;   in Loop: Header=BB4_3353 Depth=3
	v_and_b32_e32 v7, 0x7c000000, v19
	v_bfe_u32 v17, v19, 24, 2
	v_cmp_ne_u32_e32 vcc, s37, v7
                                        ; implicit-def: $vgpr7
	s_and_saveexec_b64 s[68:69], vcc
	s_xor_b64 s[68:69], exec, s[68:69]
	s_cbranch_execz .LBB4_4104
; %bb.4103:                             ;   in Loop: Header=BB4_3353 Depth=3
	v_ffbh_u32_e32 v18, v17
	v_min_u32_e32 v18, 32, v18
	v_subrev_u32_e32 v20, 29, v18
	v_bfe_u32 v7, v19, 26, 5
	v_lshlrev_b64 v[20:21], v20, v[16:17]
	v_sub_u32_e32 v16, 30, v18
	v_and_b32_e32 v18, 3, v20
	v_cmp_eq_u32_e32 vcc, 0, v7
	v_cndmask_b32_e32 v7, v7, v16, vcc
	v_cndmask_b32_e32 v16, v17, v18, vcc
	v_bfrev_b32_e32 v17, 28
	v_lshl_add_u32 v7, v7, 23, v17
	v_and_or_b32 v7, v19, s96, v7
	v_lshl_or_b32 v7, v16, 21, v7
                                        ; implicit-def: $vgpr17
                                        ; implicit-def: $vgpr18_vgpr19
.LBB4_4104:                             ;   in Loop: Header=BB4_3353 Depth=3
	s_andn2_saveexec_b64 s[68:69], s[68:69]
; %bb.4105:                             ;   in Loop: Header=BB4_3353 Depth=3
	v_cmp_lt_i64_e32 vcc, -1, v[18:19]
	v_cndmask_b32_e32 v7, v6, v1, vcc
	v_cmp_eq_u32_e32 vcc, 0, v17
	v_mov_b32_e32 v16, 0x7f800001
	v_cndmask_b32_e32 v7, v16, v7, vcc
; %bb.4106:                             ;   in Loop: Header=BB4_3353 Depth=3
	s_or_b64 exec, exec, s[68:69]
.LBB4_4107:                             ;   in Loop: Header=BB4_3353 Depth=3
	s_or_b64 exec, exec, s[30:31]
.LBB4_4108:                             ;   in Loop: Header=BB4_3353 Depth=3
	s_or_b64 exec, exec, s[28:29]
	v_max_f32_e32 v7, v7, v7
	v_max_f32_e32 v0, v0, v0
	v_min_f32_e32 v7, v0, v7
.LBB4_4109:                             ;   in Loop: Header=BB4_3353 Depth=3
	v_and_b32_sdwa v0, v7, s97 dst_sel:DWORD dst_unused:UNUSED_PAD src0_sel:BYTE_3 src1_sel:DWORD
	v_and_b32_e32 v16, 0x7f800000, v7
	v_mov_b32_e32 v17, v43
	v_and_b32_e32 v42, 0x7fffff, v7
	v_or_b32_e32 v22, 0x7b, v0
	v_cmp_ne_u64_e32 vcc, s[52:53], v[16:17]
	s_and_saveexec_b64 s[28:29], vcc
	s_xor_b64 s[30:31], exec, s[28:29]
	s_cbranch_execz .LBB4_4119
; %bb.4110:                             ;   in Loop: Header=BB4_3353 Depth=3
	v_and_b32_e32 v16, 0x7fffffff, v7
	v_mov_b32_e32 v17, v43
	v_cmp_gt_u64_e32 vcc, s[54:55], v[16:17]
	s_and_saveexec_b64 s[68:69], vcc
	s_cbranch_execz .LBB4_4118
; %bb.4111:                             ;   in Loop: Header=BB4_3353 Depth=3
	v_cmp_ne_u32_e32 vcc, 0, v7
	v_mov_b32_e32 v22, 0
	s_and_saveexec_b64 s[70:71], vcc
	s_cbranch_execz .LBB4_4117
; %bb.4112:                             ;   in Loop: Header=BB4_3353 Depth=3
	v_bfe_u32 v7, v7, 23, 8
	v_sub_u32_e32 v17, 0x71, v7
	v_cmp_gt_u32_e32 vcc, s38, v7
	v_add_u32_e32 v16, 0xffffff81, v7
	v_cndmask_b32_e32 v17, 0, v17, vcc
	v_cmp_eq_u32_e32 vcc, 0, v7
	v_mov_b32_e32 v7, 0xffffff82
	v_cndmask_b32_e32 v7, v16, v7, vcc
	v_mov_b32_e32 v16, 0x70
	v_or_b32_e32 v18, 0x800000, v42
	v_cndmask_b32_e32 v19, v17, v16, vcc
	v_cndmask_b32_e32 v42, v18, v42, vcc
	v_add_u32_e32 v16, 21, v19
	v_lshlrev_b64 v[16:17], v16, -1
	v_add_u32_e32 v18, 20, v19
	v_lshrrev_b64 v[22:23], v19, v[42:43]
	v_not_b32_e32 v17, v17
	v_not_b32_e32 v16, v16
	v_lshlrev_b64 v[20:21], v18, 1
	v_lshrrev_b32_e32 v18, 23, v22
	v_and_b32_e32 v17, 0, v17
	v_and_b32_e32 v16, v42, v16
	v_add3_u32 v19, v19, v7, v18
	v_bfe_u32 v7, v22, 21, 1
	v_add_u32_e32 v7, -1, v7
	v_cmp_eq_u64_e32 vcc, v[16:17], v[20:21]
	v_cndmask_b32_e32 v7, 0, v7, vcc
	v_add_u32_e32 v7, v7, v22
	v_and_b32_e32 v7, 0x1fffff, v7
	v_add_co_u32_e32 v16, vcc, v7, v22
	v_add_u32_e32 v18, 14, v19
	v_addc_co_u32_e32 v17, vcc, 0, v23, vcc
	v_cmp_ne_u32_e32 vcc, 0, v18
                                        ; implicit-def: $vgpr7
	s_and_saveexec_b64 s[28:29], vcc
	s_xor_b64 s[28:29], exec, s[28:29]
; %bb.4113:                             ;   in Loop: Header=BB4_3353 Depth=3
	v_add_u32_e32 v7, 15, v19
	v_cmp_lt_u64_e32 vcc, s[56:57], v[16:17]
	v_cndmask_b32_e32 v7, v18, v7, vcc
	v_cndmask_b32_e64 v18, 0, 1, vcc
	v_lshrrev_b64 v[16:17], v18, v[16:17]
; %bb.4114:                             ;   in Loop: Header=BB4_3353 Depth=3
	s_andn2_saveexec_b64 s[28:29], s[28:29]
; %bb.4115:                             ;   in Loop: Header=BB4_3353 Depth=3
	v_bfe_u32 v7, v16, 23, 1
; %bb.4116:                             ;   in Loop: Header=BB4_3353 Depth=3
	s_or_b64 exec, exec, s[28:29]
	v_lshrrev_b64 v[16:17], 21, v[16:17]
	v_cmp_gt_i32_e32 vcc, 32, v7
	v_cndmask_b32_e32 v17, 0, v17, vcc
	v_cndmask_b32_e32 v16, 3, v16, vcc
	v_cmp_eq_u32_e32 vcc, 0, v7
	v_min_i32_e32 v7, 31, v7
	v_lshlrev_b32_e32 v7, 2, v7
	v_cmp_eq_u64_e64 s[28:29], 0, v[16:17]
	v_and_b32_e32 v7, 0xfc, v7
	v_and_or_b32 v7, v16, 3, v7
	s_and_b64 s[28:29], vcc, s[28:29]
	v_cndmask_b32_e64 v7, v7, 0, s[28:29]
	v_or_b32_e32 v22, v7, v0
.LBB4_4117:                             ;   in Loop: Header=BB4_3353 Depth=3
	s_or_b64 exec, exec, s[70:71]
.LBB4_4118:                             ;   in Loop: Header=BB4_3353 Depth=3
	s_or_b64 exec, exec, s[68:69]
                                        ; implicit-def: $vgpr7
.LBB4_4119:                             ;   in Loop: Header=BB4_3353 Depth=3
	s_andn2_saveexec_b64 s[28:29], s[30:31]
; %bb.4120:                             ;   in Loop: Header=BB4_3353 Depth=3
	v_or_b32_sdwa v0, v7, s39 dst_sel:DWORD dst_unused:UNUSED_PAD src0_sel:BYTE_3 src1_sel:DWORD
	v_cmp_eq_u64_e32 vcc, 0, v[42:43]
	v_cndmask_b32_e32 v22, v0, v22, vcc
; %bb.4121:                             ;   in Loop: Header=BB4_3353 Depth=3
	s_or_b64 exec, exec, s[28:29]
	v_cndmask_b32_e64 v0, 0, 1, s[66:67]
	v_cmp_ne_u32_e64 s[28:29], 1, v0
	s_andn2_b64 vcc, exec, s[66:67]
	v_cmp_ne_u16_sdwa s[30:31], v12, v43 src0_sel:BYTE_0 src1_sel:DWORD
	s_cbranch_vccnz .LBB4_4139
; %bb.4122:                             ;   in Loop: Header=BB4_3353 Depth=3
	v_mov_b32_e32 v7, 0
	v_mov_b32_e32 v0, 0
	s_and_saveexec_b64 s[68:69], s[30:31]
	s_cbranch_execz .LBB4_4130
; %bb.4123:                             ;   in Loop: Header=BB4_3353 Depth=3
	v_cmp_ne_u16_sdwa vcc, sext(v12), s94 src0_sel:BYTE_0 src1_sel:DWORD
	v_bfrev_b32_e32 v0, 1
	s_and_saveexec_b64 s[70:71], vcc
	s_cbranch_execz .LBB4_4129
; %bb.4124:                             ;   in Loop: Header=BB4_3353 Depth=3
	v_and_b32_e32 v0, 0x7c, v12
	v_and_b32_e32 v16, 3, v12
	v_cmp_ne_u32_e32 vcc, s95, v0
                                        ; implicit-def: $vgpr0
	s_and_saveexec_b64 s[72:73], vcc
	s_xor_b64 s[72:73], exec, s[72:73]
	s_cbranch_execz .LBB4_4126
; %bb.4125:                             ;   in Loop: Header=BB4_3353 Depth=3
	v_ffbh_u32_e32 v17, v16
	v_min_u32_e32 v17, 32, v17
	v_subrev_u32_e32 v18, 29, v17
	v_bfe_u32 v0, v12, 2, 5
	v_lshlrev_b64 v[18:19], v18, v[12:13]
	v_sub_u32_e32 v17, 30, v17
	v_and_b32_e32 v18, 3, v18
	v_cmp_eq_u32_e32 vcc, 0, v0
	v_cndmask_b32_e32 v0, v0, v17, vcc
	v_cndmask_b32_e32 v16, v16, v18, vcc
	v_bfrev_b32_e32 v18, 28
	v_lshlrev_b32_e32 v17, 24, v12
	v_lshl_add_u32 v0, v0, 23, v18
	v_and_or_b32 v0, v17, s96, v0
	v_lshl_or_b32 v0, v16, 21, v0
                                        ; implicit-def: $vgpr16
.LBB4_4126:                             ;   in Loop: Header=BB4_3353 Depth=3
	s_andn2_saveexec_b64 s[72:73], s[72:73]
; %bb.4127:                             ;   in Loop: Header=BB4_3353 Depth=3
	v_mov_b32_e32 v0, -1
	v_cmp_gt_i16_sdwa vcc, sext(v12), v0 src0_sel:BYTE_0 src1_sel:DWORD
	v_cndmask_b32_e32 v0, v6, v1, vcc
	v_cmp_eq_u32_e32 vcc, 0, v16
	v_mov_b32_e32 v16, 0x7f800001
	v_cndmask_b32_e32 v0, v16, v0, vcc
; %bb.4128:                             ;   in Loop: Header=BB4_3353 Depth=3
	s_or_b64 exec, exec, s[72:73]
.LBB4_4129:                             ;   in Loop: Header=BB4_3353 Depth=3
	s_or_b64 exec, exec, s[70:71]
.LBB4_4130:                             ;   in Loop: Header=BB4_3353 Depth=3
	s_or_b64 exec, exec, s[68:69]
	v_cmp_ne_u16_sdwa vcc, sext(v8), v43 src0_sel:BYTE_0 src1_sel:DWORD
	s_and_saveexec_b64 s[68:69], vcc
	s_cbranch_execz .LBB4_4138
; %bb.4131:                             ;   in Loop: Header=BB4_3353 Depth=3
	v_cmp_ne_u16_sdwa vcc, sext(v8), s94 src0_sel:BYTE_0 src1_sel:DWORD
	v_bfrev_b32_e32 v7, 1
	s_and_saveexec_b64 s[70:71], vcc
	s_cbranch_execz .LBB4_4137
; %bb.4132:                             ;   in Loop: Header=BB4_3353 Depth=3
	v_and_b32_e32 v7, 0x7c, v8
	v_and_b32_e32 v16, 3, v8
	v_cmp_ne_u32_e32 vcc, s95, v7
                                        ; implicit-def: $vgpr7
	s_and_saveexec_b64 s[72:73], vcc
	s_xor_b64 s[72:73], exec, s[72:73]
	s_cbranch_execz .LBB4_4134
; %bb.4133:                             ;   in Loop: Header=BB4_3353 Depth=3
	v_ffbh_u32_e32 v17, v16
	v_min_u32_e32 v17, 32, v17
	v_subrev_u32_e32 v18, 29, v17
	v_bfe_u32 v7, v8, 2, 5
	v_lshlrev_b64 v[18:19], v18, v[8:9]
	v_sub_u32_e32 v17, 30, v17
	v_and_b32_e32 v18, 3, v18
	v_cmp_eq_u32_e32 vcc, 0, v7
	v_cndmask_b32_e32 v7, v7, v17, vcc
	v_cndmask_b32_e32 v16, v16, v18, vcc
	v_bfrev_b32_e32 v18, 28
	v_lshlrev_b32_e32 v17, 24, v8
	v_lshl_add_u32 v7, v7, 23, v18
	v_and_or_b32 v7, v17, s96, v7
	v_lshl_or_b32 v7, v16, 21, v7
                                        ; implicit-def: $vgpr16
.LBB4_4134:                             ;   in Loop: Header=BB4_3353 Depth=3
	s_andn2_saveexec_b64 s[72:73], s[72:73]
; %bb.4135:                             ;   in Loop: Header=BB4_3353 Depth=3
	v_mov_b32_e32 v7, -1
	v_cmp_gt_i16_sdwa vcc, sext(v8), v7 src0_sel:BYTE_0 src1_sel:DWORD
	v_cndmask_b32_e32 v7, v6, v1, vcc
	v_cmp_eq_u32_e32 vcc, 0, v16
	v_mov_b32_e32 v16, 0x7f800001
	v_cndmask_b32_e32 v7, v16, v7, vcc
; %bb.4136:                             ;   in Loop: Header=BB4_3353 Depth=3
	s_or_b64 exec, exec, s[72:73]
.LBB4_4137:                             ;   in Loop: Header=BB4_3353 Depth=3
	s_or_b64 exec, exec, s[70:71]
.LBB4_4138:                             ;   in Loop: Header=BB4_3353 Depth=3
	s_or_b64 exec, exec, s[68:69]
	v_max_f32_e32 v7, v7, v7
	v_max_f32_e32 v0, v0, v0
	;; [unrolled: 1-line block ×3, first 2 shown]
	s_branch .LBB4_4157
.LBB4_4139:                             ;   in Loop: Header=BB4_3353 Depth=3
                                        ; implicit-def: $vgpr7
	s_cbranch_execz .LBB4_4157
; %bb.4140:                             ;   in Loop: Header=BB4_3353 Depth=3
	v_mov_b32_e32 v7, 0
	v_mov_b32_e32 v0, 0
	s_and_saveexec_b64 s[68:69], s[30:31]
	s_cbranch_execz .LBB4_4148
; %bb.4141:                             ;   in Loop: Header=BB4_3353 Depth=3
	v_cmp_ne_u16_sdwa vcc, sext(v12), s94 src0_sel:BYTE_0 src1_sel:DWORD
	v_bfrev_b32_e32 v0, 1
	s_and_saveexec_b64 s[30:31], vcc
	s_cbranch_execz .LBB4_4147
; %bb.4142:                             ;   in Loop: Header=BB4_3353 Depth=3
	v_and_b32_e32 v0, 0x7c, v12
	v_and_b32_e32 v16, 3, v12
	v_cmp_ne_u32_e32 vcc, s95, v0
                                        ; implicit-def: $vgpr0
	s_and_saveexec_b64 s[70:71], vcc
	s_xor_b64 s[70:71], exec, s[70:71]
	s_cbranch_execz .LBB4_4144
; %bb.4143:                             ;   in Loop: Header=BB4_3353 Depth=3
	v_ffbh_u32_e32 v17, v16
	v_min_u32_e32 v17, 32, v17
	v_subrev_u32_e32 v18, 29, v17
	v_bfe_u32 v0, v12, 2, 5
	v_lshlrev_b64 v[18:19], v18, v[12:13]
	v_sub_u32_e32 v17, 30, v17
	v_and_b32_e32 v18, 3, v18
	v_cmp_eq_u32_e32 vcc, 0, v0
	v_cndmask_b32_e32 v0, v0, v17, vcc
	v_cndmask_b32_e32 v16, v16, v18, vcc
	v_bfrev_b32_e32 v18, 28
	v_lshlrev_b32_e32 v17, 24, v12
	v_lshl_add_u32 v0, v0, 23, v18
	v_and_or_b32 v0, v17, s96, v0
	v_lshl_or_b32 v0, v16, 21, v0
                                        ; implicit-def: $vgpr16
.LBB4_4144:                             ;   in Loop: Header=BB4_3353 Depth=3
	s_andn2_saveexec_b64 s[70:71], s[70:71]
; %bb.4145:                             ;   in Loop: Header=BB4_3353 Depth=3
	v_mov_b32_e32 v0, -1
	v_cmp_gt_i16_sdwa vcc, sext(v12), v0 src0_sel:BYTE_0 src1_sel:DWORD
	v_cndmask_b32_e32 v0, v6, v1, vcc
	v_cmp_eq_u32_e32 vcc, 0, v16
	v_mov_b32_e32 v16, 0x7f800001
	v_cndmask_b32_e32 v0, v16, v0, vcc
; %bb.4146:                             ;   in Loop: Header=BB4_3353 Depth=3
	s_or_b64 exec, exec, s[70:71]
.LBB4_4147:                             ;   in Loop: Header=BB4_3353 Depth=3
	s_or_b64 exec, exec, s[30:31]
.LBB4_4148:                             ;   in Loop: Header=BB4_3353 Depth=3
	s_or_b64 exec, exec, s[68:69]
	v_cmp_ne_u16_sdwa vcc, sext(v8), v43 src0_sel:BYTE_0 src1_sel:DWORD
	s_and_saveexec_b64 s[30:31], vcc
	s_cbranch_execz .LBB4_4156
; %bb.4149:                             ;   in Loop: Header=BB4_3353 Depth=3
	v_cmp_ne_u16_sdwa vcc, sext(v8), s94 src0_sel:BYTE_0 src1_sel:DWORD
	v_bfrev_b32_e32 v7, 1
	s_and_saveexec_b64 s[68:69], vcc
	s_cbranch_execz .LBB4_4155
; %bb.4150:                             ;   in Loop: Header=BB4_3353 Depth=3
	v_and_b32_e32 v7, 0x7c, v8
	v_and_b32_e32 v16, 3, v8
	v_cmp_ne_u32_e32 vcc, s95, v7
                                        ; implicit-def: $vgpr7
	s_and_saveexec_b64 s[70:71], vcc
	s_xor_b64 s[70:71], exec, s[70:71]
	s_cbranch_execz .LBB4_4152
; %bb.4151:                             ;   in Loop: Header=BB4_3353 Depth=3
	v_ffbh_u32_e32 v17, v16
	v_min_u32_e32 v17, 32, v17
	v_subrev_u32_e32 v18, 29, v17
	v_bfe_u32 v7, v8, 2, 5
	v_lshlrev_b64 v[18:19], v18, v[8:9]
	v_sub_u32_e32 v17, 30, v17
	v_and_b32_e32 v18, 3, v18
	v_cmp_eq_u32_e32 vcc, 0, v7
	v_cndmask_b32_e32 v7, v7, v17, vcc
	v_cndmask_b32_e32 v16, v16, v18, vcc
	v_bfrev_b32_e32 v18, 28
	v_lshlrev_b32_e32 v17, 24, v8
	v_lshl_add_u32 v7, v7, 23, v18
	v_and_or_b32 v7, v17, s96, v7
	v_lshl_or_b32 v7, v16, 21, v7
                                        ; implicit-def: $vgpr16
.LBB4_4152:                             ;   in Loop: Header=BB4_3353 Depth=3
	s_andn2_saveexec_b64 s[70:71], s[70:71]
; %bb.4153:                             ;   in Loop: Header=BB4_3353 Depth=3
	v_mov_b32_e32 v7, -1
	v_cmp_gt_i16_sdwa vcc, sext(v8), v7 src0_sel:BYTE_0 src1_sel:DWORD
	v_cndmask_b32_e32 v7, v6, v1, vcc
	v_cmp_eq_u32_e32 vcc, 0, v16
	v_mov_b32_e32 v16, 0x7f800001
	v_cndmask_b32_e32 v7, v16, v7, vcc
; %bb.4154:                             ;   in Loop: Header=BB4_3353 Depth=3
	s_or_b64 exec, exec, s[70:71]
.LBB4_4155:                             ;   in Loop: Header=BB4_3353 Depth=3
	s_or_b64 exec, exec, s[68:69]
.LBB4_4156:                             ;   in Loop: Header=BB4_3353 Depth=3
	s_or_b64 exec, exec, s[30:31]
	v_max_f32_e32 v7, v7, v7
	v_max_f32_e32 v0, v0, v0
	v_min_f32_e32 v7, v0, v7
.LBB4_4157:                             ;   in Loop: Header=BB4_3353 Depth=3
	v_and_b32_sdwa v0, v7, s97 dst_sel:DWORD dst_unused:UNUSED_PAD src0_sel:BYTE_3 src1_sel:DWORD
	v_and_b32_e32 v16, 0x7f800000, v7
	v_mov_b32_e32 v17, v43
	v_and_b32_e32 v42, 0x7fffff, v7
	v_or_b32_e32 v23, 0x7b, v0
	v_cmp_ne_u64_e32 vcc, s[52:53], v[16:17]
	s_and_saveexec_b64 s[30:31], vcc
	s_xor_b64 s[68:69], exec, s[30:31]
	s_cbranch_execz .LBB4_4167
; %bb.4158:                             ;   in Loop: Header=BB4_3353 Depth=3
	v_and_b32_e32 v16, 0x7fffffff, v7
	v_mov_b32_e32 v17, v43
	v_cmp_gt_u64_e32 vcc, s[54:55], v[16:17]
	s_and_saveexec_b64 s[70:71], vcc
	s_cbranch_execz .LBB4_4166
; %bb.4159:                             ;   in Loop: Header=BB4_3353 Depth=3
	v_cmp_ne_u32_e32 vcc, 0, v7
	v_mov_b32_e32 v23, 0
	s_and_saveexec_b64 s[72:73], vcc
	s_cbranch_execz .LBB4_4165
; %bb.4160:                             ;   in Loop: Header=BB4_3353 Depth=3
	v_bfe_u32 v7, v7, 23, 8
	v_cmp_eq_u32_e32 vcc, 0, v7
	v_add_u32_e32 v16, 0xffffff81, v7
	v_cmp_gt_u32_e64 s[30:31], s38, v7
	v_sub_u32_e32 v7, 0x71, v7
	v_mov_b32_e32 v18, 0xffffff82
	v_cndmask_b32_e64 v7, 0, v7, s[30:31]
	v_cndmask_b32_e32 v20, v16, v18, vcc
	v_mov_b32_e32 v16, 0x70
	v_cndmask_b32_e32 v7, v7, v16, vcc
	v_or_b32_e32 v17, 0x800000, v42
	v_add_u32_e32 v16, 21, v7
	v_cndmask_b32_e32 v42, v17, v42, vcc
	v_lshlrev_b64 v[16:17], v16, -1
	v_not_b32_e32 v17, v17
	v_not_b32_e32 v16, v16
	v_add_u32_e32 v18, 20, v7
	v_and_b32_e32 v17, 0, v17
	v_and_b32_e32 v16, v42, v16
	v_lshlrev_b64 v[18:19], v18, 1
	v_cmp_eq_u64_e32 vcc, v[16:17], v[18:19]
	v_lshrrev_b64 v[16:17], v7, v[42:43]
	v_lshrrev_b32_e32 v18, 23, v16
	v_add3_u32 v19, v7, v20, v18
	v_bfe_u32 v7, v16, 21, 1
	v_add_u32_e32 v7, -1, v7
	v_cndmask_b32_e32 v7, 0, v7, vcc
	v_add_u32_e32 v7, v7, v16
	v_and_b32_e32 v7, 0x1fffff, v7
	v_add_co_u32_e32 v16, vcc, v7, v16
	v_add_u32_e32 v18, 14, v19
	v_addc_co_u32_e32 v17, vcc, 0, v17, vcc
	v_cmp_ne_u32_e32 vcc, 0, v18
                                        ; implicit-def: $vgpr7
	s_and_saveexec_b64 s[30:31], vcc
	s_xor_b64 s[30:31], exec, s[30:31]
; %bb.4161:                             ;   in Loop: Header=BB4_3353 Depth=3
	v_add_u32_e32 v7, 15, v19
	v_cmp_lt_u64_e32 vcc, s[56:57], v[16:17]
	v_cndmask_b32_e32 v7, v18, v7, vcc
	v_cndmask_b32_e64 v18, 0, 1, vcc
	v_lshrrev_b64 v[16:17], v18, v[16:17]
; %bb.4162:                             ;   in Loop: Header=BB4_3353 Depth=3
	s_andn2_saveexec_b64 vcc, s[30:31]
; %bb.4163:                             ;   in Loop: Header=BB4_3353 Depth=3
	v_bfe_u32 v7, v16, 23, 1
; %bb.4164:                             ;   in Loop: Header=BB4_3353 Depth=3
	s_or_b64 exec, exec, vcc
	v_lshrrev_b64 v[16:17], 21, v[16:17]
	v_cmp_gt_i32_e32 vcc, 32, v7
	v_cndmask_b32_e32 v17, 0, v17, vcc
	v_cndmask_b32_e32 v16, 3, v16, vcc
	v_cmp_eq_u32_e32 vcc, 0, v7
	v_min_i32_e32 v7, 31, v7
	v_cmp_eq_u64_e64 s[30:31], 0, v[16:17]
	v_lshlrev_b32_e32 v7, 2, v7
	v_and_or_b32 v7, v16, 3, v7
	s_and_b64 vcc, vcc, s[30:31]
	v_cndmask_b32_e64 v7, v7, 0, vcc
	v_or_b32_e32 v23, v7, v0
.LBB4_4165:                             ;   in Loop: Header=BB4_3353 Depth=3
	s_or_b64 exec, exec, s[72:73]
.LBB4_4166:                             ;   in Loop: Header=BB4_3353 Depth=3
	s_or_b64 exec, exec, s[70:71]
                                        ; implicit-def: $vgpr7
.LBB4_4167:                             ;   in Loop: Header=BB4_3353 Depth=3
	s_andn2_saveexec_b64 s[30:31], s[68:69]
; %bb.4168:                             ;   in Loop: Header=BB4_3353 Depth=3
	v_or_b32_sdwa v0, v7, s39 dst_sel:DWORD dst_unused:UNUSED_PAD src0_sel:BYTE_3 src1_sel:DWORD
	v_cmp_eq_u64_e32 vcc, 0, v[42:43]
	v_cndmask_b32_e32 v23, v0, v23, vcc
; %bb.4169:                             ;   in Loop: Header=BB4_3353 Depth=3
	s_or_b64 exec, exec, s[30:31]
	v_lshrrev_b16_e32 v42, 8, v12
	v_lshrrev_b16_e32 v16, 8, v8
	s_and_b64 vcc, exec, s[28:29]
	v_cmp_ne_u16_e64 s[30:31], 0, v42
	s_cbranch_vccnz .LBB4_4187
; %bb.4170:                             ;   in Loop: Header=BB4_3353 Depth=3
	v_mov_b32_e32 v7, 0
	v_mov_b32_e32 v0, 0
	s_and_saveexec_b64 s[68:69], s[30:31]
	s_cbranch_execz .LBB4_4178
; %bb.4171:                             ;   in Loop: Header=BB4_3353 Depth=3
	v_cmp_ne_u16_e32 vcc, s97, v42
	v_bfrev_b32_e32 v0, 1
	s_and_saveexec_b64 s[70:71], vcc
	s_cbranch_execz .LBB4_4177
; %bb.4172:                             ;   in Loop: Header=BB4_3353 Depth=3
	v_and_b32_e32 v0, 0x7c, v42
	v_and_b32_e32 v17, 3, v42
	v_cmp_ne_u32_e32 vcc, s95, v0
                                        ; implicit-def: $vgpr0
	s_and_saveexec_b64 s[72:73], vcc
	s_xor_b64 s[72:73], exec, s[72:73]
	s_cbranch_execz .LBB4_4174
; %bb.4173:                             ;   in Loop: Header=BB4_3353 Depth=3
	v_ffbh_u32_e32 v18, v17
	v_min_u32_e32 v20, 32, v18
	v_subrev_u32_e32 v18, 29, v20
	v_bfe_u32 v0, v42, 2, 5
	v_lshlrev_b64 v[18:19], v18, v[42:43]
	v_sub_u32_e32 v19, 30, v20
	v_cmp_eq_u32_e32 vcc, 0, v0
	v_and_b32_e32 v18, 3, v18
	v_cndmask_b32_e32 v0, v0, v19, vcc
	v_bfrev_b32_e32 v19, 28
	v_cndmask_b32_e32 v17, v17, v18, vcc
	v_lshlrev_b32_e32 v18, 16, v12
	v_lshl_add_u32 v0, v0, 23, v19
	v_and_or_b32 v0, v18, s96, v0
	v_lshl_or_b32 v0, v17, 21, v0
                                        ; implicit-def: $vgpr17
.LBB4_4174:                             ;   in Loop: Header=BB4_3353 Depth=3
	s_andn2_saveexec_b64 s[72:73], s[72:73]
; %bb.4175:                             ;   in Loop: Header=BB4_3353 Depth=3
	v_cmp_lt_i16_e32 vcc, -1, v12
	v_cndmask_b32_e32 v0, v6, v1, vcc
	v_cmp_eq_u32_e32 vcc, 0, v17
	v_mov_b32_e32 v17, 0x7f800001
	v_cndmask_b32_e32 v0, v17, v0, vcc
; %bb.4176:                             ;   in Loop: Header=BB4_3353 Depth=3
	s_or_b64 exec, exec, s[72:73]
.LBB4_4177:                             ;   in Loop: Header=BB4_3353 Depth=3
	s_or_b64 exec, exec, s[70:71]
.LBB4_4178:                             ;   in Loop: Header=BB4_3353 Depth=3
	s_or_b64 exec, exec, s[68:69]
	v_cmp_ne_u16_e32 vcc, 0, v16
	s_and_saveexec_b64 s[68:69], vcc
	s_cbranch_execz .LBB4_4186
; %bb.4179:                             ;   in Loop: Header=BB4_3353 Depth=3
	v_cmp_ne_u16_e32 vcc, s97, v16
	v_bfrev_b32_e32 v7, 1
	s_and_saveexec_b64 s[70:71], vcc
	s_cbranch_execz .LBB4_4185
; %bb.4180:                             ;   in Loop: Header=BB4_3353 Depth=3
	v_and_b32_e32 v7, 0x7c, v16
	v_and_b32_e32 v18, 3, v16
	v_cmp_ne_u32_e32 vcc, s95, v7
                                        ; implicit-def: $vgpr7
	s_and_saveexec_b64 s[72:73], vcc
	s_xor_b64 s[72:73], exec, s[72:73]
	s_cbranch_execz .LBB4_4182
; %bb.4181:                             ;   in Loop: Header=BB4_3353 Depth=3
	v_ffbh_u32_e32 v19, v18
	v_min_u32_e32 v19, 32, v19
	v_mov_b32_e32 v17, v43
	v_subrev_u32_e32 v20, 29, v19
	v_bfe_u32 v7, v16, 2, 5
	v_lshlrev_b64 v[20:21], v20, v[16:17]
	v_sub_u32_e32 v17, 30, v19
	v_and_b32_e32 v19, 3, v20
	v_cmp_eq_u32_e32 vcc, 0, v7
	v_cndmask_b32_e32 v7, v7, v17, vcc
	v_cndmask_b32_e32 v17, v18, v19, vcc
	v_bfrev_b32_e32 v19, 28
	v_lshlrev_b32_e32 v18, 16, v8
	v_lshl_add_u32 v7, v7, 23, v19
	v_and_or_b32 v7, v18, s96, v7
	v_lshl_or_b32 v7, v17, 21, v7
                                        ; implicit-def: $vgpr18
.LBB4_4182:                             ;   in Loop: Header=BB4_3353 Depth=3
	s_andn2_saveexec_b64 s[72:73], s[72:73]
; %bb.4183:                             ;   in Loop: Header=BB4_3353 Depth=3
	v_cmp_lt_i16_e32 vcc, -1, v8
	v_cndmask_b32_e32 v7, v6, v1, vcc
	v_cmp_eq_u32_e32 vcc, 0, v18
	v_mov_b32_e32 v17, 0x7f800001
	v_cndmask_b32_e32 v7, v17, v7, vcc
; %bb.4184:                             ;   in Loop: Header=BB4_3353 Depth=3
	s_or_b64 exec, exec, s[72:73]
.LBB4_4185:                             ;   in Loop: Header=BB4_3353 Depth=3
	s_or_b64 exec, exec, s[70:71]
.LBB4_4186:                             ;   in Loop: Header=BB4_3353 Depth=3
	s_or_b64 exec, exec, s[68:69]
	v_max_f32_e32 v7, v7, v7
	v_max_f32_e32 v0, v0, v0
	;; [unrolled: 1-line block ×3, first 2 shown]
	s_branch .LBB4_4205
.LBB4_4187:                             ;   in Loop: Header=BB4_3353 Depth=3
                                        ; implicit-def: $vgpr7
	s_cbranch_execz .LBB4_4205
; %bb.4188:                             ;   in Loop: Header=BB4_3353 Depth=3
	v_mov_b32_e32 v7, 0
	v_mov_b32_e32 v0, 0
	s_and_saveexec_b64 s[68:69], s[30:31]
	s_cbranch_execz .LBB4_4196
; %bb.4189:                             ;   in Loop: Header=BB4_3353 Depth=3
	v_cmp_ne_u16_e32 vcc, s97, v42
	v_bfrev_b32_e32 v0, 1
	s_and_saveexec_b64 s[30:31], vcc
	s_cbranch_execz .LBB4_4195
; %bb.4190:                             ;   in Loop: Header=BB4_3353 Depth=3
	v_and_b32_e32 v0, 0x7c, v42
	v_and_b32_e32 v17, 3, v42
	v_cmp_ne_u32_e32 vcc, s95, v0
                                        ; implicit-def: $vgpr0
	s_and_saveexec_b64 s[70:71], vcc
	s_xor_b64 s[70:71], exec, s[70:71]
	s_cbranch_execz .LBB4_4192
; %bb.4191:                             ;   in Loop: Header=BB4_3353 Depth=3
	v_ffbh_u32_e32 v18, v17
	v_min_u32_e32 v20, 32, v18
	v_subrev_u32_e32 v18, 29, v20
	v_bfe_u32 v0, v42, 2, 5
	v_lshlrev_b64 v[18:19], v18, v[42:43]
	v_sub_u32_e32 v19, 30, v20
	v_cmp_eq_u32_e32 vcc, 0, v0
	v_and_b32_e32 v18, 3, v18
	v_cndmask_b32_e32 v0, v0, v19, vcc
	v_bfrev_b32_e32 v19, 28
	v_cndmask_b32_e32 v17, v17, v18, vcc
	v_lshlrev_b32_e32 v18, 16, v12
	v_lshl_add_u32 v0, v0, 23, v19
	v_and_or_b32 v0, v18, s96, v0
	v_lshl_or_b32 v0, v17, 21, v0
                                        ; implicit-def: $vgpr17
.LBB4_4192:                             ;   in Loop: Header=BB4_3353 Depth=3
	s_andn2_saveexec_b64 s[70:71], s[70:71]
; %bb.4193:                             ;   in Loop: Header=BB4_3353 Depth=3
	v_cmp_lt_i16_e32 vcc, -1, v12
	v_cndmask_b32_e32 v0, v6, v1, vcc
	v_cmp_eq_u32_e32 vcc, 0, v17
	v_mov_b32_e32 v17, 0x7f800001
	v_cndmask_b32_e32 v0, v17, v0, vcc
; %bb.4194:                             ;   in Loop: Header=BB4_3353 Depth=3
	s_or_b64 exec, exec, s[70:71]
.LBB4_4195:                             ;   in Loop: Header=BB4_3353 Depth=3
	s_or_b64 exec, exec, s[30:31]
.LBB4_4196:                             ;   in Loop: Header=BB4_3353 Depth=3
	s_or_b64 exec, exec, s[68:69]
	v_cmp_ne_u16_e32 vcc, 0, v16
	s_and_saveexec_b64 s[30:31], vcc
	s_cbranch_execz .LBB4_4204
; %bb.4197:                             ;   in Loop: Header=BB4_3353 Depth=3
	v_cmp_ne_u16_e32 vcc, s97, v16
	v_bfrev_b32_e32 v7, 1
	s_and_saveexec_b64 s[68:69], vcc
	s_cbranch_execz .LBB4_4203
; %bb.4198:                             ;   in Loop: Header=BB4_3353 Depth=3
	v_and_b32_e32 v7, 0x7c, v16
	v_and_b32_e32 v18, 3, v16
	v_cmp_ne_u32_e32 vcc, s95, v7
                                        ; implicit-def: $vgpr7
	s_and_saveexec_b64 s[70:71], vcc
	s_xor_b64 s[70:71], exec, s[70:71]
	s_cbranch_execz .LBB4_4200
; %bb.4199:                             ;   in Loop: Header=BB4_3353 Depth=3
	v_ffbh_u32_e32 v19, v18
	v_min_u32_e32 v19, 32, v19
	v_mov_b32_e32 v17, v43
	v_subrev_u32_e32 v20, 29, v19
	v_bfe_u32 v7, v16, 2, 5
	v_lshlrev_b64 v[16:17], v20, v[16:17]
	v_sub_u32_e32 v17, 30, v19
	v_and_b32_e32 v16, 3, v16
	v_cmp_eq_u32_e32 vcc, 0, v7
	v_cndmask_b32_e32 v7, v7, v17, vcc
	v_cndmask_b32_e32 v16, v18, v16, vcc
	v_bfrev_b32_e32 v18, 28
	v_lshlrev_b32_e32 v17, 16, v8
	v_lshl_add_u32 v7, v7, 23, v18
	v_and_or_b32 v7, v17, s96, v7
	v_lshl_or_b32 v7, v16, 21, v7
                                        ; implicit-def: $vgpr18
.LBB4_4200:                             ;   in Loop: Header=BB4_3353 Depth=3
	s_andn2_saveexec_b64 s[70:71], s[70:71]
; %bb.4201:                             ;   in Loop: Header=BB4_3353 Depth=3
	v_cmp_lt_i16_e32 vcc, -1, v8
	v_cndmask_b32_e32 v7, v6, v1, vcc
	v_cmp_eq_u32_e32 vcc, 0, v18
	v_mov_b32_e32 v16, 0x7f800001
	v_cndmask_b32_e32 v7, v16, v7, vcc
; %bb.4202:                             ;   in Loop: Header=BB4_3353 Depth=3
	s_or_b64 exec, exec, s[70:71]
.LBB4_4203:                             ;   in Loop: Header=BB4_3353 Depth=3
	s_or_b64 exec, exec, s[68:69]
.LBB4_4204:                             ;   in Loop: Header=BB4_3353 Depth=3
	s_or_b64 exec, exec, s[30:31]
	v_max_f32_e32 v7, v7, v7
	v_max_f32_e32 v0, v0, v0
	v_min_f32_e32 v7, v0, v7
.LBB4_4205:                             ;   in Loop: Header=BB4_3353 Depth=3
	v_and_b32_sdwa v0, v7, s97 dst_sel:DWORD dst_unused:UNUSED_PAD src0_sel:BYTE_3 src1_sel:DWORD
	v_and_b32_e32 v16, 0x7f800000, v7
	v_mov_b32_e32 v17, v43
	v_and_b32_e32 v42, 0x7fffff, v7
	v_or_b32_e32 v46, 0x7b, v0
	v_cmp_ne_u64_e32 vcc, s[52:53], v[16:17]
	s_and_saveexec_b64 s[30:31], vcc
	s_xor_b64 s[68:69], exec, s[30:31]
	s_cbranch_execz .LBB4_4215
; %bb.4206:                             ;   in Loop: Header=BB4_3353 Depth=3
	v_and_b32_e32 v16, 0x7fffffff, v7
	v_mov_b32_e32 v17, v43
	v_cmp_gt_u64_e32 vcc, s[54:55], v[16:17]
	s_and_saveexec_b64 s[70:71], vcc
	s_cbranch_execz .LBB4_4214
; %bb.4207:                             ;   in Loop: Header=BB4_3353 Depth=3
	v_cmp_ne_u32_e32 vcc, 0, v7
	v_mov_b32_e32 v46, 0
	s_and_saveexec_b64 s[72:73], vcc
	s_cbranch_execz .LBB4_4213
; %bb.4208:                             ;   in Loop: Header=BB4_3353 Depth=3
	v_bfe_u32 v7, v7, 23, 8
	v_cmp_eq_u32_e32 vcc, 0, v7
	v_add_u32_e32 v16, 0xffffff81, v7
	v_cmp_gt_u32_e64 s[30:31], s38, v7
	v_sub_u32_e32 v7, 0x71, v7
	v_mov_b32_e32 v18, 0xffffff82
	v_cndmask_b32_e64 v7, 0, v7, s[30:31]
	v_cndmask_b32_e32 v20, v16, v18, vcc
	v_mov_b32_e32 v16, 0x70
	v_cndmask_b32_e32 v7, v7, v16, vcc
	v_or_b32_e32 v17, 0x800000, v42
	v_add_u32_e32 v16, 21, v7
	v_cndmask_b32_e32 v42, v17, v42, vcc
	v_lshlrev_b64 v[16:17], v16, -1
	v_not_b32_e32 v17, v17
	v_not_b32_e32 v16, v16
	v_add_u32_e32 v18, 20, v7
	v_and_b32_e32 v17, 0, v17
	v_and_b32_e32 v16, v42, v16
	v_lshlrev_b64 v[18:19], v18, 1
	v_cmp_eq_u64_e32 vcc, v[16:17], v[18:19]
	v_lshrrev_b64 v[16:17], v7, v[42:43]
	v_lshrrev_b32_e32 v18, 23, v16
	v_add3_u32 v19, v7, v20, v18
	v_bfe_u32 v7, v16, 21, 1
	v_add_u32_e32 v7, -1, v7
	v_cndmask_b32_e32 v7, 0, v7, vcc
	v_add_u32_e32 v7, v7, v16
	v_and_b32_e32 v7, 0x1fffff, v7
	v_add_co_u32_e32 v16, vcc, v7, v16
	v_add_u32_e32 v18, 14, v19
	v_addc_co_u32_e32 v17, vcc, 0, v17, vcc
	v_cmp_ne_u32_e32 vcc, 0, v18
                                        ; implicit-def: $vgpr7
	s_and_saveexec_b64 s[30:31], vcc
	s_xor_b64 s[30:31], exec, s[30:31]
; %bb.4209:                             ;   in Loop: Header=BB4_3353 Depth=3
	v_add_u32_e32 v7, 15, v19
	v_cmp_lt_u64_e32 vcc, s[56:57], v[16:17]
	v_cndmask_b32_e32 v7, v18, v7, vcc
	v_cndmask_b32_e64 v18, 0, 1, vcc
	v_lshrrev_b64 v[16:17], v18, v[16:17]
; %bb.4210:                             ;   in Loop: Header=BB4_3353 Depth=3
	s_andn2_saveexec_b64 vcc, s[30:31]
; %bb.4211:                             ;   in Loop: Header=BB4_3353 Depth=3
	v_bfe_u32 v7, v16, 23, 1
; %bb.4212:                             ;   in Loop: Header=BB4_3353 Depth=3
	s_or_b64 exec, exec, vcc
	v_lshrrev_b64 v[16:17], 21, v[16:17]
	v_cmp_gt_i32_e32 vcc, 32, v7
	v_cndmask_b32_e32 v17, 0, v17, vcc
	v_cndmask_b32_e32 v16, 3, v16, vcc
	v_cmp_eq_u32_e32 vcc, 0, v7
	v_min_i32_e32 v7, 31, v7
	v_cmp_eq_u64_e64 s[30:31], 0, v[16:17]
	v_lshlrev_b32_e32 v7, 2, v7
	v_and_or_b32 v7, v16, 3, v7
	s_and_b64 vcc, vcc, s[30:31]
	v_cndmask_b32_e64 v7, v7, 0, vcc
	v_or_b32_e32 v46, v7, v0
.LBB4_4213:                             ;   in Loop: Header=BB4_3353 Depth=3
	s_or_b64 exec, exec, s[72:73]
.LBB4_4214:                             ;   in Loop: Header=BB4_3353 Depth=3
	s_or_b64 exec, exec, s[70:71]
                                        ; implicit-def: $vgpr7
.LBB4_4215:                             ;   in Loop: Header=BB4_3353 Depth=3
	s_andn2_saveexec_b64 s[30:31], s[68:69]
; %bb.4216:                             ;   in Loop: Header=BB4_3353 Depth=3
	v_or_b32_sdwa v0, v7, s39 dst_sel:DWORD dst_unused:UNUSED_PAD src0_sel:BYTE_3 src1_sel:DWORD
	v_cmp_eq_u64_e32 vcc, 0, v[42:43]
	v_cndmask_b32_e32 v46, v0, v46, vcc
; %bb.4217:                             ;   in Loop: Header=BB4_3353 Depth=3
	s_or_b64 exec, exec, s[30:31]
	v_lshrrev_b32_e32 v18, 16, v12
	v_lshrrev_b32_e32 v16, 16, v8
	s_and_b64 vcc, exec, s[28:29]
	v_cmp_ne_u16_sdwa s[30:31], v18, v43 src0_sel:BYTE_0 src1_sel:DWORD
	s_cbranch_vccnz .LBB4_4235
; %bb.4218:                             ;   in Loop: Header=BB4_3353 Depth=3
	v_mov_b32_e32 v7, 0
	v_mov_b32_e32 v0, 0
	s_and_saveexec_b64 s[68:69], s[30:31]
	s_cbranch_execz .LBB4_4226
; %bb.4219:                             ;   in Loop: Header=BB4_3353 Depth=3
	v_cmp_ne_u16_sdwa vcc, v18, s97 src0_sel:BYTE_0 src1_sel:DWORD
	v_bfrev_b32_e32 v0, 1
	s_and_saveexec_b64 s[70:71], vcc
	s_cbranch_execz .LBB4_4225
; %bb.4220:                             ;   in Loop: Header=BB4_3353 Depth=3
	v_and_b32_e32 v0, 0x7c0000, v12
	v_bfe_u32 v17, v12, 16, 2
	v_cmp_ne_u32_e32 vcc, s36, v0
                                        ; implicit-def: $vgpr0
	s_and_saveexec_b64 s[72:73], vcc
	s_xor_b64 s[72:73], exec, s[72:73]
	s_cbranch_execz .LBB4_4222
; %bb.4221:                             ;   in Loop: Header=BB4_3353 Depth=3
	v_ffbh_u32_e32 v19, v17
	v_min_u32_e32 v19, 32, v19
	v_subrev_u32_e32 v20, 29, v19
	v_bfe_u32 v0, v12, 18, 5
	v_lshlrev_b64 v[20:21], v20, v[18:19]
	v_sub_u32_e32 v19, 30, v19
	v_and_b32_e32 v20, 3, v20
	v_cmp_eq_u32_e32 vcc, 0, v0
	v_cndmask_b32_e32 v0, v0, v19, vcc
	v_cndmask_b32_e32 v17, v17, v20, vcc
	v_bfrev_b32_e32 v20, 28
	v_lshlrev_b32_e32 v19, 24, v18
	v_lshl_add_u32 v0, v0, 23, v20
	v_and_or_b32 v0, v19, s96, v0
	v_lshl_or_b32 v0, v17, 21, v0
                                        ; implicit-def: $vgpr17
.LBB4_4222:                             ;   in Loop: Header=BB4_3353 Depth=3
	s_andn2_saveexec_b64 s[72:73], s[72:73]
; %bb.4223:                             ;   in Loop: Header=BB4_3353 Depth=3
	v_mov_b32_e32 v0, -1
	v_cmp_gt_i16_sdwa vcc, sext(v18), v0 src0_sel:BYTE_0 src1_sel:DWORD
	v_cndmask_b32_e32 v0, v6, v1, vcc
	v_cmp_eq_u32_e32 vcc, 0, v17
	v_mov_b32_e32 v17, 0x7f800001
	v_cndmask_b32_e32 v0, v17, v0, vcc
; %bb.4224:                             ;   in Loop: Header=BB4_3353 Depth=3
	s_or_b64 exec, exec, s[72:73]
.LBB4_4225:                             ;   in Loop: Header=BB4_3353 Depth=3
	s_or_b64 exec, exec, s[70:71]
.LBB4_4226:                             ;   in Loop: Header=BB4_3353 Depth=3
	s_or_b64 exec, exec, s[68:69]
	v_cmp_ne_u16_sdwa vcc, v16, v43 src0_sel:BYTE_0 src1_sel:DWORD
	s_and_saveexec_b64 s[68:69], vcc
	s_cbranch_execz .LBB4_4234
; %bb.4227:                             ;   in Loop: Header=BB4_3353 Depth=3
	v_cmp_ne_u16_sdwa vcc, v16, s97 src0_sel:BYTE_0 src1_sel:DWORD
	v_bfrev_b32_e32 v7, 1
	s_and_saveexec_b64 s[70:71], vcc
	s_cbranch_execz .LBB4_4233
; %bb.4228:                             ;   in Loop: Header=BB4_3353 Depth=3
	v_and_b32_e32 v7, 0x7c0000, v8
	v_bfe_u32 v17, v8, 16, 2
	v_cmp_ne_u32_e32 vcc, s36, v7
                                        ; implicit-def: $vgpr7
	s_and_saveexec_b64 s[72:73], vcc
	s_xor_b64 s[72:73], exec, s[72:73]
	s_cbranch_execz .LBB4_4230
; %bb.4229:                             ;   in Loop: Header=BB4_3353 Depth=3
	v_ffbh_u32_e32 v19, v17
	v_min_u32_e32 v19, 32, v19
	v_subrev_u32_e32 v20, 29, v19
	v_bfe_u32 v7, v8, 18, 5
	v_lshlrev_b64 v[20:21], v20, v[16:17]
	v_sub_u32_e32 v19, 30, v19
	v_and_b32_e32 v20, 3, v20
	v_cmp_eq_u32_e32 vcc, 0, v7
	v_cndmask_b32_e32 v7, v7, v19, vcc
	v_cndmask_b32_e32 v17, v17, v20, vcc
	v_bfrev_b32_e32 v20, 28
	v_lshlrev_b32_e32 v19, 24, v16
	v_lshl_add_u32 v7, v7, 23, v20
	v_and_or_b32 v7, v19, s96, v7
	v_lshl_or_b32 v7, v17, 21, v7
                                        ; implicit-def: $vgpr17
.LBB4_4230:                             ;   in Loop: Header=BB4_3353 Depth=3
	s_andn2_saveexec_b64 s[72:73], s[72:73]
; %bb.4231:                             ;   in Loop: Header=BB4_3353 Depth=3
	v_mov_b32_e32 v7, -1
	v_cmp_gt_i16_sdwa vcc, sext(v16), v7 src0_sel:BYTE_0 src1_sel:DWORD
	v_cndmask_b32_e32 v7, v6, v1, vcc
	v_cmp_eq_u32_e32 vcc, 0, v17
	v_mov_b32_e32 v17, 0x7f800001
	v_cndmask_b32_e32 v7, v17, v7, vcc
; %bb.4232:                             ;   in Loop: Header=BB4_3353 Depth=3
	s_or_b64 exec, exec, s[72:73]
.LBB4_4233:                             ;   in Loop: Header=BB4_3353 Depth=3
	s_or_b64 exec, exec, s[70:71]
.LBB4_4234:                             ;   in Loop: Header=BB4_3353 Depth=3
	s_or_b64 exec, exec, s[68:69]
	v_max_f32_e32 v7, v7, v7
	v_max_f32_e32 v0, v0, v0
	;; [unrolled: 1-line block ×3, first 2 shown]
	s_branch .LBB4_4253
.LBB4_4235:                             ;   in Loop: Header=BB4_3353 Depth=3
                                        ; implicit-def: $vgpr17
	s_cbranch_execz .LBB4_4253
; %bb.4236:                             ;   in Loop: Header=BB4_3353 Depth=3
	v_mov_b32_e32 v7, 0
	v_mov_b32_e32 v0, 0
	s_and_saveexec_b64 s[68:69], s[30:31]
	s_cbranch_execz .LBB4_4244
; %bb.4237:                             ;   in Loop: Header=BB4_3353 Depth=3
	v_cmp_ne_u16_sdwa vcc, v18, s97 src0_sel:BYTE_0 src1_sel:DWORD
	v_bfrev_b32_e32 v0, 1
	s_and_saveexec_b64 s[30:31], vcc
	s_cbranch_execz .LBB4_4243
; %bb.4238:                             ;   in Loop: Header=BB4_3353 Depth=3
	v_and_b32_e32 v0, 0x7c0000, v12
	v_bfe_u32 v17, v12, 16, 2
	v_cmp_ne_u32_e32 vcc, s36, v0
                                        ; implicit-def: $vgpr0
	s_and_saveexec_b64 s[70:71], vcc
	s_xor_b64 s[70:71], exec, s[70:71]
	s_cbranch_execz .LBB4_4240
; %bb.4239:                             ;   in Loop: Header=BB4_3353 Depth=3
	v_ffbh_u32_e32 v19, v17
	v_min_u32_e32 v19, 32, v19
	v_bfe_u32 v0, v12, 18, 5
	v_subrev_u32_e32 v20, 29, v19
	v_lshlrev_b64 v[20:21], v20, v[18:19]
	v_sub_u32_e32 v19, 30, v19
	v_cmp_eq_u32_e32 vcc, 0, v0
	v_cndmask_b32_e32 v0, v0, v19, vcc
	v_bfrev_b32_e32 v19, 28
	v_and_b32_e32 v20, 3, v20
	v_lshlrev_b32_e32 v18, 24, v18
	v_lshl_add_u32 v0, v0, 23, v19
	v_cndmask_b32_e32 v17, v17, v20, vcc
	v_and_or_b32 v0, v18, s96, v0
	v_lshl_or_b32 v0, v17, 21, v0
                                        ; implicit-def: $vgpr17
                                        ; implicit-def: $vgpr18
.LBB4_4240:                             ;   in Loop: Header=BB4_3353 Depth=3
	s_andn2_saveexec_b64 s[70:71], s[70:71]
; %bb.4241:                             ;   in Loop: Header=BB4_3353 Depth=3
	v_mov_b32_e32 v0, -1
	v_cmp_gt_i16_sdwa vcc, sext(v18), v0 src0_sel:BYTE_0 src1_sel:DWORD
	v_cndmask_b32_e32 v0, v6, v1, vcc
	v_cmp_eq_u32_e32 vcc, 0, v17
	v_mov_b32_e32 v17, 0x7f800001
	v_cndmask_b32_e32 v0, v17, v0, vcc
; %bb.4242:                             ;   in Loop: Header=BB4_3353 Depth=3
	s_or_b64 exec, exec, s[70:71]
.LBB4_4243:                             ;   in Loop: Header=BB4_3353 Depth=3
	s_or_b64 exec, exec, s[30:31]
.LBB4_4244:                             ;   in Loop: Header=BB4_3353 Depth=3
	s_or_b64 exec, exec, s[68:69]
	v_cmp_ne_u16_sdwa vcc, v16, v43 src0_sel:BYTE_0 src1_sel:DWORD
	s_and_saveexec_b64 s[30:31], vcc
	s_cbranch_execz .LBB4_4252
; %bb.4245:                             ;   in Loop: Header=BB4_3353 Depth=3
	v_cmp_ne_u16_sdwa vcc, v16, s97 src0_sel:BYTE_0 src1_sel:DWORD
	v_bfrev_b32_e32 v7, 1
	s_and_saveexec_b64 s[68:69], vcc
	s_cbranch_execz .LBB4_4251
; %bb.4246:                             ;   in Loop: Header=BB4_3353 Depth=3
	v_and_b32_e32 v7, 0x7c0000, v8
	v_bfe_u32 v17, v8, 16, 2
	v_cmp_ne_u32_e32 vcc, s36, v7
                                        ; implicit-def: $vgpr7
	s_and_saveexec_b64 s[70:71], vcc
	s_xor_b64 s[70:71], exec, s[70:71]
	s_cbranch_execz .LBB4_4248
; %bb.4247:                             ;   in Loop: Header=BB4_3353 Depth=3
	v_ffbh_u32_e32 v18, v17
	v_min_u32_e32 v20, 32, v18
	v_subrev_u32_e32 v18, 29, v20
	v_bfe_u32 v7, v8, 18, 5
	v_lshlrev_b64 v[18:19], v18, v[16:17]
	v_sub_u32_e32 v19, 30, v20
	v_and_b32_e32 v18, 3, v18
	v_cmp_eq_u32_e32 vcc, 0, v7
	v_cndmask_b32_e32 v7, v7, v19, vcc
	v_cndmask_b32_e32 v17, v17, v18, vcc
	v_bfrev_b32_e32 v18, 28
	v_lshlrev_b32_e32 v16, 24, v16
	v_lshl_add_u32 v7, v7, 23, v18
	v_and_or_b32 v7, v16, s96, v7
	v_lshl_or_b32 v7, v17, 21, v7
                                        ; implicit-def: $vgpr17
                                        ; implicit-def: $vgpr16
.LBB4_4248:                             ;   in Loop: Header=BB4_3353 Depth=3
	s_andn2_saveexec_b64 s[70:71], s[70:71]
; %bb.4249:                             ;   in Loop: Header=BB4_3353 Depth=3
	v_mov_b32_e32 v7, -1
	v_cmp_gt_i16_sdwa vcc, sext(v16), v7 src0_sel:BYTE_0 src1_sel:DWORD
	v_cndmask_b32_e32 v7, v6, v1, vcc
	v_cmp_eq_u32_e32 vcc, 0, v17
	v_mov_b32_e32 v16, 0x7f800001
	v_cndmask_b32_e32 v7, v16, v7, vcc
; %bb.4250:                             ;   in Loop: Header=BB4_3353 Depth=3
	s_or_b64 exec, exec, s[70:71]
.LBB4_4251:                             ;   in Loop: Header=BB4_3353 Depth=3
	s_or_b64 exec, exec, s[68:69]
.LBB4_4252:                             ;   in Loop: Header=BB4_3353 Depth=3
	s_or_b64 exec, exec, s[30:31]
	v_max_f32_e32 v7, v7, v7
	v_max_f32_e32 v0, v0, v0
	v_min_f32_e32 v17, v0, v7
.LBB4_4253:                             ;   in Loop: Header=BB4_3353 Depth=3
	v_and_b32_sdwa v0, v17, s97 dst_sel:DWORD dst_unused:UNUSED_PAD src0_sel:BYTE_3 src1_sel:DWORD
	v_and_b32_e32 v18, 0x7f800000, v17
	v_mov_b32_e32 v19, v43
	v_and_b32_e32 v42, 0x7fffff, v17
	v_or_b32_e32 v7, 0x7b, v0
	v_cmp_ne_u64_e32 vcc, s[52:53], v[18:19]
	s_and_saveexec_b64 s[30:31], vcc
	s_xor_b64 s[68:69], exec, s[30:31]
	s_cbranch_execz .LBB4_4263
; %bb.4254:                             ;   in Loop: Header=BB4_3353 Depth=3
	v_and_b32_e32 v18, 0x7fffffff, v17
	v_mov_b32_e32 v19, v43
	v_cmp_gt_u64_e32 vcc, s[54:55], v[18:19]
	s_and_saveexec_b64 s[70:71], vcc
	s_cbranch_execz .LBB4_4262
; %bb.4255:                             ;   in Loop: Header=BB4_3353 Depth=3
	v_cmp_ne_u32_e32 vcc, 0, v17
	v_mov_b32_e32 v7, 0
	s_and_saveexec_b64 s[72:73], vcc
	s_cbranch_execz .LBB4_4261
; %bb.4256:                             ;   in Loop: Header=BB4_3353 Depth=3
	v_bfe_u32 v7, v17, 23, 8
	v_cmp_eq_u32_e32 vcc, 0, v7
	v_add_u32_e32 v16, 0xffffff81, v7
	v_cmp_gt_u32_e64 s[30:31], s38, v7
	v_sub_u32_e32 v7, 0x71, v7
	v_mov_b32_e32 v18, 0xffffff82
	v_cndmask_b32_e64 v7, 0, v7, s[30:31]
	v_cndmask_b32_e32 v20, v16, v18, vcc
	v_mov_b32_e32 v16, 0x70
	v_cndmask_b32_e32 v7, v7, v16, vcc
	v_or_b32_e32 v17, 0x800000, v42
	v_add_u32_e32 v16, 21, v7
	v_cndmask_b32_e32 v42, v17, v42, vcc
	v_lshlrev_b64 v[16:17], v16, -1
	v_not_b32_e32 v17, v17
	v_not_b32_e32 v16, v16
	v_add_u32_e32 v18, 20, v7
	v_and_b32_e32 v17, 0, v17
	v_and_b32_e32 v16, v42, v16
	v_lshlrev_b64 v[18:19], v18, 1
	v_cmp_eq_u64_e32 vcc, v[16:17], v[18:19]
	v_lshrrev_b64 v[16:17], v7, v[42:43]
	v_lshrrev_b32_e32 v18, 23, v16
	v_add3_u32 v19, v7, v20, v18
	v_bfe_u32 v7, v16, 21, 1
	v_add_u32_e32 v7, -1, v7
	v_cndmask_b32_e32 v7, 0, v7, vcc
	v_add_u32_e32 v7, v7, v16
	v_and_b32_e32 v7, 0x1fffff, v7
	v_add_co_u32_e32 v16, vcc, v7, v16
	v_add_u32_e32 v18, 14, v19
	v_addc_co_u32_e32 v17, vcc, 0, v17, vcc
	v_cmp_ne_u32_e32 vcc, 0, v18
                                        ; implicit-def: $vgpr7
	s_and_saveexec_b64 s[30:31], vcc
	s_xor_b64 s[30:31], exec, s[30:31]
; %bb.4257:                             ;   in Loop: Header=BB4_3353 Depth=3
	v_add_u32_e32 v7, 15, v19
	v_cmp_lt_u64_e32 vcc, s[56:57], v[16:17]
	v_cndmask_b32_e32 v7, v18, v7, vcc
	v_cndmask_b32_e64 v18, 0, 1, vcc
	v_lshrrev_b64 v[16:17], v18, v[16:17]
; %bb.4258:                             ;   in Loop: Header=BB4_3353 Depth=3
	s_andn2_saveexec_b64 vcc, s[30:31]
; %bb.4259:                             ;   in Loop: Header=BB4_3353 Depth=3
	v_bfe_u32 v7, v16, 23, 1
; %bb.4260:                             ;   in Loop: Header=BB4_3353 Depth=3
	s_or_b64 exec, exec, vcc
	v_lshrrev_b64 v[16:17], 21, v[16:17]
	v_cmp_gt_i32_e32 vcc, 32, v7
	v_cndmask_b32_e32 v17, 0, v17, vcc
	v_cndmask_b32_e32 v16, 3, v16, vcc
	v_cmp_eq_u32_e32 vcc, 0, v7
	v_min_i32_e32 v7, 31, v7
	v_cmp_eq_u64_e64 s[30:31], 0, v[16:17]
	v_lshlrev_b32_e32 v7, 2, v7
	v_and_or_b32 v7, v16, 3, v7
	s_and_b64 vcc, vcc, s[30:31]
	v_cndmask_b32_e64 v7, v7, 0, vcc
	v_or_b32_e32 v7, v7, v0
.LBB4_4261:                             ;   in Loop: Header=BB4_3353 Depth=3
	s_or_b64 exec, exec, s[72:73]
.LBB4_4262:                             ;   in Loop: Header=BB4_3353 Depth=3
	s_or_b64 exec, exec, s[70:71]
                                        ; implicit-def: $vgpr17
.LBB4_4263:                             ;   in Loop: Header=BB4_3353 Depth=3
	s_andn2_saveexec_b64 s[30:31], s[68:69]
; %bb.4264:                             ;   in Loop: Header=BB4_3353 Depth=3
	v_or_b32_sdwa v0, v17, s39 dst_sel:DWORD dst_unused:UNUSED_PAD src0_sel:BYTE_3 src1_sel:DWORD
	v_cmp_eq_u64_e32 vcc, 0, v[42:43]
	v_cndmask_b32_e32 v7, v0, v7, vcc
; %bb.4265:                             ;   in Loop: Header=BB4_3353 Depth=3
	s_or_b64 exec, exec, s[30:31]
	v_lshrrev_b32_e32 v18, 24, v12
	v_lshrrev_b32_e32 v16, 24, v8
	s_and_b64 vcc, exec, s[28:29]
	v_cmp_lt_u32_e64 s[30:31], s43, v12
	s_cbranch_vccnz .LBB4_4283
; %bb.4266:                             ;   in Loop: Header=BB4_3353 Depth=3
	v_mov_b32_e32 v17, 0
	v_mov_b32_e32 v0, 0
	s_and_saveexec_b64 s[68:69], s[30:31]
	s_cbranch_execz .LBB4_4274
; %bb.4267:                             ;   in Loop: Header=BB4_3353 Depth=3
	v_cmp_ne_u32_e32 vcc, s97, v18
	v_bfrev_b32_e32 v0, 1
	s_and_saveexec_b64 s[70:71], vcc
	s_cbranch_execz .LBB4_4273
; %bb.4268:                             ;   in Loop: Header=BB4_3353 Depth=3
	v_and_b32_e32 v0, 0x7c000000, v12
	v_bfe_u32 v19, v12, 24, 2
	v_cmp_ne_u32_e32 vcc, s37, v0
                                        ; implicit-def: $vgpr0
	s_and_saveexec_b64 s[72:73], vcc
	s_xor_b64 s[72:73], exec, s[72:73]
	s_cbranch_execz .LBB4_4270
; %bb.4269:                             ;   in Loop: Header=BB4_3353 Depth=3
	v_ffbh_u32_e32 v20, v19
	v_min_u32_e32 v30, 32, v20
	v_subrev_u32_e32 v20, 29, v30
	v_bfe_u32 v0, v12, 26, 5
	v_lshlrev_b64 v[20:21], v20, v[18:19]
	v_sub_u32_e32 v21, 30, v30
	v_and_b32_e32 v20, 3, v20
	v_cmp_eq_u32_e32 vcc, 0, v0
	v_cndmask_b32_e32 v0, v0, v21, vcc
	v_cndmask_b32_e32 v19, v19, v20, vcc
	v_bfrev_b32_e32 v20, 28
	v_lshl_add_u32 v0, v0, 23, v20
	v_and_or_b32 v0, v12, s96, v0
	v_lshl_or_b32 v0, v19, 21, v0
                                        ; implicit-def: $vgpr19
.LBB4_4270:                             ;   in Loop: Header=BB4_3353 Depth=3
	s_andn2_saveexec_b64 s[72:73], s[72:73]
; %bb.4271:                             ;   in Loop: Header=BB4_3353 Depth=3
	v_cmp_lt_i32_e32 vcc, -1, v12
	v_cndmask_b32_e32 v0, v6, v1, vcc
	v_cmp_eq_u32_e32 vcc, 0, v19
	v_mov_b32_e32 v19, 0x7f800001
	v_cndmask_b32_e32 v0, v19, v0, vcc
; %bb.4272:                             ;   in Loop: Header=BB4_3353 Depth=3
	s_or_b64 exec, exec, s[72:73]
.LBB4_4273:                             ;   in Loop: Header=BB4_3353 Depth=3
	s_or_b64 exec, exec, s[70:71]
.LBB4_4274:                             ;   in Loop: Header=BB4_3353 Depth=3
	s_or_b64 exec, exec, s[68:69]
	v_cmp_lt_u32_e32 vcc, s43, v8
	s_and_saveexec_b64 s[68:69], vcc
	s_cbranch_execz .LBB4_4282
; %bb.4275:                             ;   in Loop: Header=BB4_3353 Depth=3
	v_cmp_ne_u32_e32 vcc, s97, v16
	v_bfrev_b32_e32 v17, 1
	s_and_saveexec_b64 s[70:71], vcc
	s_cbranch_execz .LBB4_4281
; %bb.4276:                             ;   in Loop: Header=BB4_3353 Depth=3
	v_and_b32_e32 v17, 0x7c000000, v8
	v_bfe_u32 v19, v8, 24, 2
	v_cmp_ne_u32_e32 vcc, s37, v17
                                        ; implicit-def: $vgpr17
	s_and_saveexec_b64 s[72:73], vcc
	s_xor_b64 s[72:73], exec, s[72:73]
	s_cbranch_execz .LBB4_4278
; %bb.4277:                             ;   in Loop: Header=BB4_3353 Depth=3
	v_ffbh_u32_e32 v20, v19
	v_min_u32_e32 v30, 32, v20
	v_bfe_u32 v17, v8, 26, 5
	v_subrev_u32_e32 v20, 29, v30
	v_lshlrev_b64 v[20:21], v20, v[16:17]
	v_sub_u32_e32 v21, 30, v30
	v_and_b32_e32 v20, 3, v20
	v_cmp_eq_u32_e32 vcc, 0, v17
	v_cndmask_b32_e32 v17, v17, v21, vcc
	v_cndmask_b32_e32 v19, v19, v20, vcc
	v_bfrev_b32_e32 v20, 28
	v_lshl_add_u32 v17, v17, 23, v20
	v_and_or_b32 v17, v8, s96, v17
	v_lshl_or_b32 v17, v19, 21, v17
                                        ; implicit-def: $vgpr19
.LBB4_4278:                             ;   in Loop: Header=BB4_3353 Depth=3
	s_andn2_saveexec_b64 s[72:73], s[72:73]
; %bb.4279:                             ;   in Loop: Header=BB4_3353 Depth=3
	v_cmp_lt_i32_e32 vcc, -1, v8
	v_cndmask_b32_e32 v17, v6, v1, vcc
	v_cmp_eq_u32_e32 vcc, 0, v19
	v_mov_b32_e32 v19, 0x7f800001
	v_cndmask_b32_e32 v17, v19, v17, vcc
; %bb.4280:                             ;   in Loop: Header=BB4_3353 Depth=3
	s_or_b64 exec, exec, s[72:73]
.LBB4_4281:                             ;   in Loop: Header=BB4_3353 Depth=3
	s_or_b64 exec, exec, s[70:71]
.LBB4_4282:                             ;   in Loop: Header=BB4_3353 Depth=3
	s_or_b64 exec, exec, s[68:69]
	v_max_f32_e32 v17, v17, v17
	v_max_f32_e32 v0, v0, v0
	;; [unrolled: 1-line block ×3, first 2 shown]
	s_branch .LBB4_4301
.LBB4_4283:                             ;   in Loop: Header=BB4_3353 Depth=3
                                        ; implicit-def: $vgpr17
	s_cbranch_execz .LBB4_4301
; %bb.4284:                             ;   in Loop: Header=BB4_3353 Depth=3
	v_mov_b32_e32 v17, 0
	v_mov_b32_e32 v0, 0
	s_and_saveexec_b64 s[68:69], s[30:31]
	s_cbranch_execz .LBB4_4292
; %bb.4285:                             ;   in Loop: Header=BB4_3353 Depth=3
	v_cmp_ne_u32_e32 vcc, s97, v18
	v_bfrev_b32_e32 v0, 1
	s_and_saveexec_b64 s[30:31], vcc
	s_cbranch_execz .LBB4_4291
; %bb.4286:                             ;   in Loop: Header=BB4_3353 Depth=3
	v_and_b32_e32 v0, 0x7c000000, v12
	v_bfe_u32 v19, v12, 24, 2
	v_cmp_ne_u32_e32 vcc, s37, v0
                                        ; implicit-def: $vgpr0
	s_and_saveexec_b64 s[70:71], vcc
	s_xor_b64 s[70:71], exec, s[70:71]
	s_cbranch_execz .LBB4_4288
; %bb.4287:                             ;   in Loop: Header=BB4_3353 Depth=3
	v_ffbh_u32_e32 v20, v19
	v_min_u32_e32 v30, 32, v20
	v_subrev_u32_e32 v20, 29, v30
	v_bfe_u32 v0, v12, 26, 5
	v_lshlrev_b64 v[20:21], v20, v[18:19]
	v_sub_u32_e32 v18, 30, v30
	v_and_b32_e32 v20, 3, v20
	v_cmp_eq_u32_e32 vcc, 0, v0
	v_cndmask_b32_e32 v0, v0, v18, vcc
	v_cndmask_b32_e32 v18, v19, v20, vcc
	v_bfrev_b32_e32 v19, 28
	v_lshl_add_u32 v0, v0, 23, v19
	v_and_or_b32 v0, v12, s96, v0
	v_lshl_or_b32 v0, v18, 21, v0
                                        ; implicit-def: $vgpr19
.LBB4_4288:                             ;   in Loop: Header=BB4_3353 Depth=3
	s_andn2_saveexec_b64 s[70:71], s[70:71]
; %bb.4289:                             ;   in Loop: Header=BB4_3353 Depth=3
	v_cmp_lt_i32_e32 vcc, -1, v12
	v_cndmask_b32_e32 v0, v6, v1, vcc
	v_cmp_eq_u32_e32 vcc, 0, v19
	v_mov_b32_e32 v18, 0x7f800001
	v_cndmask_b32_e32 v0, v18, v0, vcc
; %bb.4290:                             ;   in Loop: Header=BB4_3353 Depth=3
	s_or_b64 exec, exec, s[70:71]
.LBB4_4291:                             ;   in Loop: Header=BB4_3353 Depth=3
	s_or_b64 exec, exec, s[30:31]
.LBB4_4292:                             ;   in Loop: Header=BB4_3353 Depth=3
	s_or_b64 exec, exec, s[68:69]
	v_cmp_lt_u32_e32 vcc, s43, v8
	s_and_saveexec_b64 s[30:31], vcc
	s_cbranch_execz .LBB4_4300
; %bb.4293:                             ;   in Loop: Header=BB4_3353 Depth=3
	v_cmp_ne_u32_e32 vcc, s97, v16
	v_bfrev_b32_e32 v17, 1
	s_and_saveexec_b64 s[68:69], vcc
	s_cbranch_execz .LBB4_4299
; %bb.4294:                             ;   in Loop: Header=BB4_3353 Depth=3
	v_and_b32_e32 v17, 0x7c000000, v8
	v_bfe_u32 v18, v8, 24, 2
	v_cmp_ne_u32_e32 vcc, s37, v17
                                        ; implicit-def: $vgpr17
	s_and_saveexec_b64 s[70:71], vcc
	s_xor_b64 s[70:71], exec, s[70:71]
	s_cbranch_execz .LBB4_4296
; %bb.4295:                             ;   in Loop: Header=BB4_3353 Depth=3
	v_ffbh_u32_e32 v17, v18
	v_min_u32_e32 v20, 32, v17
	v_subrev_u32_e32 v17, 29, v20
	v_bfe_u32 v19, v8, 26, 5
	v_lshlrev_b64 v[16:17], v17, v[16:17]
	v_sub_u32_e32 v17, 30, v20
	v_and_b32_e32 v16, 3, v16
	v_cmp_eq_u32_e32 vcc, 0, v19
	v_cndmask_b32_e32 v17, v19, v17, vcc
	v_cndmask_b32_e32 v16, v18, v16, vcc
	v_bfrev_b32_e32 v18, 28
	v_lshl_add_u32 v17, v17, 23, v18
	v_and_or_b32 v17, v8, s96, v17
	v_lshl_or_b32 v17, v16, 21, v17
                                        ; implicit-def: $vgpr18
.LBB4_4296:                             ;   in Loop: Header=BB4_3353 Depth=3
	s_andn2_saveexec_b64 s[70:71], s[70:71]
; %bb.4297:                             ;   in Loop: Header=BB4_3353 Depth=3
	v_cmp_lt_i32_e32 vcc, -1, v8
	v_cndmask_b32_e32 v16, v6, v1, vcc
	v_cmp_eq_u32_e32 vcc, 0, v18
	v_mov_b32_e32 v17, 0x7f800001
	v_cndmask_b32_e32 v17, v17, v16, vcc
; %bb.4298:                             ;   in Loop: Header=BB4_3353 Depth=3
	s_or_b64 exec, exec, s[70:71]
.LBB4_4299:                             ;   in Loop: Header=BB4_3353 Depth=3
	s_or_b64 exec, exec, s[68:69]
.LBB4_4300:                             ;   in Loop: Header=BB4_3353 Depth=3
	s_or_b64 exec, exec, s[30:31]
	v_max_f32_e32 v16, v17, v17
	v_max_f32_e32 v0, v0, v0
	v_min_f32_e32 v17, v0, v16
.LBB4_4301:                             ;   in Loop: Header=BB4_3353 Depth=3
	v_and_b32_sdwa v0, v17, s97 dst_sel:DWORD dst_unused:UNUSED_PAD src0_sel:BYTE_3 src1_sel:DWORD
	v_and_b32_e32 v18, 0x7f800000, v17
	v_mov_b32_e32 v19, v43
	v_and_b32_e32 v42, 0x7fffff, v17
	v_or_b32_e32 v30, 0x7b, v0
	v_cmp_ne_u64_e32 vcc, s[52:53], v[18:19]
	s_and_saveexec_b64 s[30:31], vcc
	s_xor_b64 s[68:69], exec, s[30:31]
	s_cbranch_execz .LBB4_4311
; %bb.4302:                             ;   in Loop: Header=BB4_3353 Depth=3
	v_and_b32_e32 v18, 0x7fffffff, v17
	v_mov_b32_e32 v19, v43
	v_cmp_gt_u64_e32 vcc, s[54:55], v[18:19]
	s_and_saveexec_b64 s[70:71], vcc
	s_cbranch_execz .LBB4_4310
; %bb.4303:                             ;   in Loop: Header=BB4_3353 Depth=3
	v_cmp_ne_u32_e32 vcc, 0, v17
	v_mov_b32_e32 v30, 0
	s_and_saveexec_b64 s[72:73], vcc
	s_cbranch_execz .LBB4_4309
; %bb.4304:                             ;   in Loop: Header=BB4_3353 Depth=3
	v_bfe_u32 v16, v17, 23, 8
	v_cmp_eq_u32_e32 vcc, 0, v16
	v_add_u32_e32 v17, 0xffffff81, v16
	v_cmp_gt_u32_e64 s[30:31], s38, v16
	v_sub_u32_e32 v16, 0x71, v16
	v_mov_b32_e32 v19, 0xffffff82
	v_cndmask_b32_e64 v16, 0, v16, s[30:31]
	v_cndmask_b32_e32 v20, v17, v19, vcc
	v_mov_b32_e32 v17, 0x70
	v_cndmask_b32_e32 v21, v16, v17, vcc
	v_add_u32_e32 v16, 21, v21
	v_or_b32_e32 v18, 0x800000, v42
	v_lshlrev_b64 v[16:17], v16, -1
	v_cndmask_b32_e32 v42, v18, v42, vcc
	v_not_b32_e32 v17, v17
	v_not_b32_e32 v16, v16
	v_add_u32_e32 v18, 20, v21
	v_and_b32_e32 v17, 0, v17
	v_and_b32_e32 v16, v42, v16
	v_lshlrev_b64 v[18:19], v18, 1
	v_cmp_eq_u64_e32 vcc, v[16:17], v[18:19]
	v_lshrrev_b64 v[16:17], v21, v[42:43]
	v_lshrrev_b32_e32 v18, 23, v16
	v_add3_u32 v20, v21, v20, v18
	v_bfe_u32 v18, v16, 21, 1
	v_add_u32_e32 v18, -1, v18
	v_cndmask_b32_e32 v18, 0, v18, vcc
	v_add_u32_e32 v18, v18, v16
	v_and_b32_e32 v18, 0x1fffff, v18
	v_add_co_u32_e32 v16, vcc, v18, v16
	v_add_u32_e32 v19, 14, v20
	v_addc_co_u32_e32 v17, vcc, 0, v17, vcc
	v_cmp_ne_u32_e32 vcc, 0, v19
                                        ; implicit-def: $vgpr18
	s_and_saveexec_b64 s[30:31], vcc
	s_xor_b64 s[30:31], exec, s[30:31]
; %bb.4305:                             ;   in Loop: Header=BB4_3353 Depth=3
	v_add_u32_e32 v18, 15, v20
	v_cmp_lt_u64_e32 vcc, s[56:57], v[16:17]
	v_cndmask_b32_e32 v18, v19, v18, vcc
	v_cndmask_b32_e64 v19, 0, 1, vcc
	v_lshrrev_b64 v[16:17], v19, v[16:17]
; %bb.4306:                             ;   in Loop: Header=BB4_3353 Depth=3
	s_andn2_saveexec_b64 vcc, s[30:31]
; %bb.4307:                             ;   in Loop: Header=BB4_3353 Depth=3
	v_bfe_u32 v18, v16, 23, 1
; %bb.4308:                             ;   in Loop: Header=BB4_3353 Depth=3
	s_or_b64 exec, exec, vcc
	v_lshrrev_b64 v[16:17], 21, v[16:17]
	v_cmp_gt_i32_e32 vcc, 32, v18
	v_cndmask_b32_e32 v17, 0, v17, vcc
	v_cndmask_b32_e32 v16, 3, v16, vcc
	v_cmp_eq_u64_e64 s[30:31], 0, v[16:17]
	v_min_i32_e32 v17, 31, v18
	v_cmp_eq_u32_e32 vcc, 0, v18
	v_lshlrev_b32_e32 v17, 2, v17
	v_and_or_b32 v16, v16, 3, v17
	s_and_b64 vcc, vcc, s[30:31]
	v_cndmask_b32_e64 v16, v16, 0, vcc
	v_or_b32_e32 v30, v16, v0
.LBB4_4309:                             ;   in Loop: Header=BB4_3353 Depth=3
	s_or_b64 exec, exec, s[72:73]
.LBB4_4310:                             ;   in Loop: Header=BB4_3353 Depth=3
	s_or_b64 exec, exec, s[70:71]
                                        ; implicit-def: $vgpr17
.LBB4_4311:                             ;   in Loop: Header=BB4_3353 Depth=3
	s_andn2_saveexec_b64 s[30:31], s[68:69]
; %bb.4312:                             ;   in Loop: Header=BB4_3353 Depth=3
	v_or_b32_sdwa v0, v17, s39 dst_sel:DWORD dst_unused:UNUSED_PAD src0_sel:BYTE_3 src1_sel:DWORD
	v_cmp_eq_u64_e32 vcc, 0, v[42:43]
	v_cndmask_b32_e32 v30, v0, v30, vcc
; %bb.4313:                             ;   in Loop: Header=BB4_3353 Depth=3
	s_or_b64 exec, exec, s[30:31]
	v_mov_b32_e32 v42, v13
	v_mov_b32_e32 v16, v9
	;; [unrolled: 1-line block ×3, first 2 shown]
	s_and_b64 vcc, exec, s[28:29]
	v_cmp_ne_u16_sdwa s[30:31], v13, v43 src0_sel:BYTE_0 src1_sel:DWORD
	s_cbranch_vccnz .LBB4_4331
; %bb.4314:                             ;   in Loop: Header=BB4_3353 Depth=3
	v_mov_b32_e32 v18, 0
	v_mov_b32_e32 v0, 0
	s_and_saveexec_b64 s[68:69], s[30:31]
	s_cbranch_execz .LBB4_4322
; %bb.4315:                             ;   in Loop: Header=BB4_3353 Depth=3
	v_cmp_ne_u16_sdwa vcc, v13, s97 src0_sel:BYTE_0 src1_sel:DWORD
	v_bfrev_b32_e32 v0, 1
	s_and_saveexec_b64 s[70:71], vcc
	s_cbranch_execz .LBB4_4321
; %bb.4316:                             ;   in Loop: Header=BB4_3353 Depth=3
	v_and_b32_e32 v0, 0x7c, v13
	v_and_b32_e32 v19, 3, v13
	v_cmp_ne_u32_e32 vcc, s95, v0
                                        ; implicit-def: $vgpr0
	s_and_saveexec_b64 s[72:73], vcc
	s_xor_b64 s[72:73], exec, s[72:73]
	s_cbranch_execz .LBB4_4318
; %bb.4317:                             ;   in Loop: Header=BB4_3353 Depth=3
	v_ffbh_u32_e32 v20, v19
	v_min_u32_e32 v32, 32, v20
	v_subrev_u32_e32 v20, 29, v32
	v_bfe_u32 v0, v13, 2, 5
	v_lshlrev_b64 v[20:21], v20, v[42:43]
	v_sub_u32_e32 v21, 30, v32
	v_cmp_eq_u32_e32 vcc, 0, v0
	v_and_b32_e32 v20, 3, v20
	v_cndmask_b32_e32 v0, v0, v21, vcc
	v_bfrev_b32_e32 v21, 28
	v_cndmask_b32_e32 v19, v19, v20, vcc
	v_lshlrev_b32_e32 v20, 24, v13
	v_lshl_add_u32 v0, v0, 23, v21
	v_and_or_b32 v0, v20, s96, v0
	v_lshl_or_b32 v0, v19, 21, v0
                                        ; implicit-def: $vgpr19
.LBB4_4318:                             ;   in Loop: Header=BB4_3353 Depth=3
	s_andn2_saveexec_b64 s[72:73], s[72:73]
; %bb.4319:                             ;   in Loop: Header=BB4_3353 Depth=3
	v_mov_b32_e32 v0, -1
	v_cmp_gt_i16_sdwa vcc, sext(v13), v0 src0_sel:BYTE_0 src1_sel:DWORD
	v_cndmask_b32_e32 v0, v6, v1, vcc
	v_cmp_eq_u32_e32 vcc, 0, v19
	v_mov_b32_e32 v19, 0x7f800001
	v_cndmask_b32_e32 v0, v19, v0, vcc
; %bb.4320:                             ;   in Loop: Header=BB4_3353 Depth=3
	s_or_b64 exec, exec, s[72:73]
.LBB4_4321:                             ;   in Loop: Header=BB4_3353 Depth=3
	s_or_b64 exec, exec, s[70:71]
.LBB4_4322:                             ;   in Loop: Header=BB4_3353 Depth=3
	s_or_b64 exec, exec, s[68:69]
	v_cmp_ne_u16_sdwa vcc, v9, v43 src0_sel:BYTE_0 src1_sel:DWORD
	s_and_saveexec_b64 s[68:69], vcc
	s_cbranch_execz .LBB4_4330
; %bb.4323:                             ;   in Loop: Header=BB4_3353 Depth=3
	v_cmp_ne_u16_sdwa vcc, v9, s97 src0_sel:BYTE_0 src1_sel:DWORD
	v_bfrev_b32_e32 v18, 1
	s_and_saveexec_b64 s[70:71], vcc
	s_cbranch_execz .LBB4_4329
; %bb.4324:                             ;   in Loop: Header=BB4_3353 Depth=3
	v_and_b32_e32 v18, 0x7c, v9
	v_and_b32_e32 v19, 3, v9
	v_cmp_ne_u32_e32 vcc, s95, v18
                                        ; implicit-def: $vgpr18
	s_and_saveexec_b64 s[72:73], vcc
	s_xor_b64 s[72:73], exec, s[72:73]
	s_cbranch_execz .LBB4_4326
; %bb.4325:                             ;   in Loop: Header=BB4_3353 Depth=3
	v_ffbh_u32_e32 v20, v19
	v_min_u32_e32 v32, 32, v20
	v_subrev_u32_e32 v20, 29, v32
	v_bfe_u32 v18, v9, 2, 5
	v_lshlrev_b64 v[20:21], v20, v[16:17]
	v_sub_u32_e32 v21, 30, v32
	v_cmp_eq_u32_e32 vcc, 0, v18
	v_and_b32_e32 v20, 3, v20
	v_cndmask_b32_e32 v18, v18, v21, vcc
	v_bfrev_b32_e32 v21, 28
	v_cndmask_b32_e32 v19, v19, v20, vcc
	v_lshlrev_b32_e32 v20, 24, v9
	v_lshl_add_u32 v18, v18, 23, v21
	v_and_or_b32 v18, v20, s96, v18
	v_lshl_or_b32 v18, v19, 21, v18
                                        ; implicit-def: $vgpr19
.LBB4_4326:                             ;   in Loop: Header=BB4_3353 Depth=3
	s_andn2_saveexec_b64 s[72:73], s[72:73]
; %bb.4327:                             ;   in Loop: Header=BB4_3353 Depth=3
	v_mov_b32_e32 v18, -1
	v_cmp_gt_i16_sdwa vcc, sext(v9), v18 src0_sel:BYTE_0 src1_sel:DWORD
	v_cndmask_b32_e32 v18, v6, v1, vcc
	v_cmp_eq_u32_e32 vcc, 0, v19
	v_mov_b32_e32 v19, 0x7f800001
	v_cndmask_b32_e32 v18, v19, v18, vcc
; %bb.4328:                             ;   in Loop: Header=BB4_3353 Depth=3
	s_or_b64 exec, exec, s[72:73]
.LBB4_4329:                             ;   in Loop: Header=BB4_3353 Depth=3
	s_or_b64 exec, exec, s[70:71]
.LBB4_4330:                             ;   in Loop: Header=BB4_3353 Depth=3
	s_or_b64 exec, exec, s[68:69]
	v_max_f32_e32 v18, v18, v18
	v_max_f32_e32 v0, v0, v0
	;; [unrolled: 1-line block ×3, first 2 shown]
	s_branch .LBB4_4349
.LBB4_4331:                             ;   in Loop: Header=BB4_3353 Depth=3
                                        ; implicit-def: $vgpr20
	s_cbranch_execz .LBB4_4349
; %bb.4332:                             ;   in Loop: Header=BB4_3353 Depth=3
	v_mov_b32_e32 v18, 0
	v_mov_b32_e32 v0, 0
	s_and_saveexec_b64 s[68:69], s[30:31]
	s_cbranch_execz .LBB4_4340
; %bb.4333:                             ;   in Loop: Header=BB4_3353 Depth=3
	v_cmp_ne_u16_sdwa vcc, v13, s97 src0_sel:BYTE_0 src1_sel:DWORD
	v_bfrev_b32_e32 v0, 1
	s_and_saveexec_b64 s[30:31], vcc
	s_cbranch_execz .LBB4_4339
; %bb.4334:                             ;   in Loop: Header=BB4_3353 Depth=3
	v_and_b32_e32 v0, 0x7c, v13
	v_and_b32_e32 v19, 3, v13
	v_cmp_ne_u32_e32 vcc, s95, v0
                                        ; implicit-def: $vgpr0
	s_and_saveexec_b64 s[70:71], vcc
	s_xor_b64 s[70:71], exec, s[70:71]
	s_cbranch_execz .LBB4_4336
; %bb.4335:                             ;   in Loop: Header=BB4_3353 Depth=3
	v_ffbh_u32_e32 v20, v19
	v_min_u32_e32 v32, 32, v20
	v_subrev_u32_e32 v20, 29, v32
	v_bfe_u32 v0, v13, 2, 5
	v_lshlrev_b64 v[20:21], v20, v[42:43]
	v_sub_u32_e32 v21, 30, v32
	v_cmp_eq_u32_e32 vcc, 0, v0
	v_and_b32_e32 v20, 3, v20
	v_cndmask_b32_e32 v0, v0, v21, vcc
	v_bfrev_b32_e32 v21, 28
	v_cndmask_b32_e32 v19, v19, v20, vcc
	v_lshlrev_b32_e32 v20, 24, v13
	v_lshl_add_u32 v0, v0, 23, v21
	v_and_or_b32 v0, v20, s96, v0
	v_lshl_or_b32 v0, v19, 21, v0
                                        ; implicit-def: $vgpr19
.LBB4_4336:                             ;   in Loop: Header=BB4_3353 Depth=3
	s_andn2_saveexec_b64 s[70:71], s[70:71]
; %bb.4337:                             ;   in Loop: Header=BB4_3353 Depth=3
	v_mov_b32_e32 v0, -1
	v_cmp_gt_i16_sdwa vcc, sext(v13), v0 src0_sel:BYTE_0 src1_sel:DWORD
	v_cndmask_b32_e32 v0, v6, v1, vcc
	v_cmp_eq_u32_e32 vcc, 0, v19
	v_mov_b32_e32 v19, 0x7f800001
	v_cndmask_b32_e32 v0, v19, v0, vcc
; %bb.4338:                             ;   in Loop: Header=BB4_3353 Depth=3
	s_or_b64 exec, exec, s[70:71]
.LBB4_4339:                             ;   in Loop: Header=BB4_3353 Depth=3
	s_or_b64 exec, exec, s[30:31]
.LBB4_4340:                             ;   in Loop: Header=BB4_3353 Depth=3
	s_or_b64 exec, exec, s[68:69]
	v_cmp_ne_u16_sdwa vcc, v9, v43 src0_sel:BYTE_0 src1_sel:DWORD
	s_and_saveexec_b64 s[30:31], vcc
	s_cbranch_execz .LBB4_4348
; %bb.4341:                             ;   in Loop: Header=BB4_3353 Depth=3
	v_cmp_ne_u16_sdwa vcc, v9, s97 src0_sel:BYTE_0 src1_sel:DWORD
	v_bfrev_b32_e32 v18, 1
	s_and_saveexec_b64 s[68:69], vcc
	s_cbranch_execz .LBB4_4347
; %bb.4342:                             ;   in Loop: Header=BB4_3353 Depth=3
	v_and_b32_e32 v18, 0x7c, v9
	v_and_b32_e32 v19, 3, v9
	v_cmp_ne_u32_e32 vcc, s95, v18
                                        ; implicit-def: $vgpr18
	s_and_saveexec_b64 s[70:71], vcc
	s_xor_b64 s[70:71], exec, s[70:71]
	s_cbranch_execz .LBB4_4344
; %bb.4343:                             ;   in Loop: Header=BB4_3353 Depth=3
	v_ffbh_u32_e32 v20, v19
	v_min_u32_e32 v32, 32, v20
	v_subrev_u32_e32 v20, 29, v32
	v_bfe_u32 v18, v9, 2, 5
	v_lshlrev_b64 v[20:21], v20, v[16:17]
	v_sub_u32_e32 v17, 30, v32
	v_and_b32_e32 v20, 3, v20
	v_cmp_eq_u32_e32 vcc, 0, v18
	v_cndmask_b32_e32 v17, v18, v17, vcc
	v_cndmask_b32_e32 v18, v19, v20, vcc
	v_bfrev_b32_e32 v20, 28
	v_lshlrev_b32_e32 v19, 24, v9
	v_lshl_add_u32 v17, v17, 23, v20
	v_and_or_b32 v17, v19, s96, v17
	v_lshl_or_b32 v18, v18, 21, v17
                                        ; implicit-def: $vgpr19
.LBB4_4344:                             ;   in Loop: Header=BB4_3353 Depth=3
	s_andn2_saveexec_b64 s[70:71], s[70:71]
; %bb.4345:                             ;   in Loop: Header=BB4_3353 Depth=3
	v_mov_b32_e32 v17, -1
	v_cmp_gt_i16_sdwa vcc, sext(v9), v17 src0_sel:BYTE_0 src1_sel:DWORD
	v_cndmask_b32_e32 v17, v6, v1, vcc
	v_cmp_eq_u32_e32 vcc, 0, v19
	v_mov_b32_e32 v18, 0x7f800001
	v_cndmask_b32_e32 v18, v18, v17, vcc
; %bb.4346:                             ;   in Loop: Header=BB4_3353 Depth=3
	s_or_b64 exec, exec, s[70:71]
.LBB4_4347:                             ;   in Loop: Header=BB4_3353 Depth=3
	s_or_b64 exec, exec, s[68:69]
.LBB4_4348:                             ;   in Loop: Header=BB4_3353 Depth=3
	s_or_b64 exec, exec, s[30:31]
	v_max_f32_e32 v17, v18, v18
	v_max_f32_e32 v0, v0, v0
	v_min_f32_e32 v20, v0, v17
.LBB4_4349:                             ;   in Loop: Header=BB4_3353 Depth=3
	v_and_b32_sdwa v0, v20, s97 dst_sel:DWORD dst_unused:UNUSED_PAD src0_sel:BYTE_3 src1_sel:DWORD
	v_and_b32_e32 v36, 0x7f800000, v20
	v_mov_b32_e32 v37, v43
	v_and_b32_e32 v18, 0x7fffff, v20
	v_mov_b32_e32 v19, v43
	v_or_b32_e32 v60, 0x7b, v0
	v_cmp_ne_u64_e32 vcc, s[52:53], v[36:37]
	s_and_saveexec_b64 s[30:31], vcc
	s_xor_b64 s[68:69], exec, s[30:31]
	s_cbranch_execz .LBB4_4359
; %bb.4350:                             ;   in Loop: Header=BB4_3353 Depth=3
	v_and_b32_e32 v36, 0x7fffffff, v20
	v_mov_b32_e32 v37, v43
	v_cmp_gt_u64_e32 vcc, s[54:55], v[36:37]
	s_and_saveexec_b64 s[70:71], vcc
	s_cbranch_execz .LBB4_4358
; %bb.4351:                             ;   in Loop: Header=BB4_3353 Depth=3
	v_cmp_ne_u32_e32 vcc, 0, v20
	v_mov_b32_e32 v60, 0
	s_and_saveexec_b64 s[72:73], vcc
	s_cbranch_execz .LBB4_4357
; %bb.4352:                             ;   in Loop: Header=BB4_3353 Depth=3
	v_bfe_u32 v17, v20, 23, 8
	v_cmp_eq_u32_e32 vcc, 0, v17
	v_add_u32_e32 v20, 0xffffff81, v17
	v_cmp_gt_u32_e64 s[30:31], s38, v17
	v_sub_u32_e32 v17, 0x71, v17
	v_mov_b32_e32 v32, 0xffffff82
	v_cndmask_b32_e64 v17, 0, v17, s[30:31]
	v_cndmask_b32_e32 v32, v20, v32, vcc
	v_mov_b32_e32 v20, 0x70
	v_cndmask_b32_e32 v17, v17, v20, vcc
	v_or_b32_e32 v21, 0x800000, v18
	v_add_u32_e32 v20, 21, v17
	v_cndmask_b32_e32 v18, v21, v18, vcc
	v_lshlrev_b64 v[20:21], v20, -1
	v_not_b32_e32 v21, v21
	v_not_b32_e32 v20, v20
	v_add_u32_e32 v33, 20, v17
	v_and_b32_e32 v21, 0, v21
	v_and_b32_e32 v20, v18, v20
	v_lshlrev_b64 v[36:37], v33, 1
	v_lshrrev_b64 v[18:19], v17, v[18:19]
	v_cmp_eq_u64_e32 vcc, v[20:21], v[36:37]
	v_lshrrev_b32_e32 v20, 23, v18
	v_add3_u32 v21, v17, v32, v20
	v_bfe_u32 v17, v18, 21, 1
	v_add_u32_e32 v17, -1, v17
	v_cndmask_b32_e32 v17, 0, v17, vcc
	v_add_u32_e32 v17, v17, v18
	v_and_b32_e32 v17, 0x1fffff, v17
	v_add_co_u32_e32 v18, vcc, v17, v18
	v_add_u32_e32 v20, 14, v21
	v_addc_co_u32_e32 v19, vcc, 0, v19, vcc
	v_cmp_ne_u32_e32 vcc, 0, v20
                                        ; implicit-def: $vgpr17
	s_and_saveexec_b64 s[30:31], vcc
	s_xor_b64 s[30:31], exec, s[30:31]
; %bb.4353:                             ;   in Loop: Header=BB4_3353 Depth=3
	v_add_u32_e32 v17, 15, v21
	v_cmp_lt_u64_e32 vcc, s[56:57], v[18:19]
	v_cndmask_b32_e32 v17, v20, v17, vcc
	v_cndmask_b32_e64 v20, 0, 1, vcc
	v_lshrrev_b64 v[18:19], v20, v[18:19]
; %bb.4354:                             ;   in Loop: Header=BB4_3353 Depth=3
	s_andn2_saveexec_b64 vcc, s[30:31]
; %bb.4355:                             ;   in Loop: Header=BB4_3353 Depth=3
	v_bfe_u32 v17, v18, 23, 1
; %bb.4356:                             ;   in Loop: Header=BB4_3353 Depth=3
	s_or_b64 exec, exec, vcc
	v_lshrrev_b64 v[18:19], 21, v[18:19]
	v_cmp_gt_i32_e32 vcc, 32, v17
	v_cndmask_b32_e32 v19, 0, v19, vcc
	v_cndmask_b32_e32 v18, 3, v18, vcc
	v_cmp_eq_u32_e32 vcc, 0, v17
	v_min_i32_e32 v17, 31, v17
	v_cmp_eq_u64_e64 s[30:31], 0, v[18:19]
	v_lshlrev_b32_e32 v17, 2, v17
	v_and_or_b32 v17, v18, 3, v17
	s_and_b64 vcc, vcc, s[30:31]
	v_cndmask_b32_e64 v17, v17, 0, vcc
	v_or_b32_e32 v60, v17, v0
.LBB4_4357:                             ;   in Loop: Header=BB4_3353 Depth=3
	s_or_b64 exec, exec, s[72:73]
.LBB4_4358:                             ;   in Loop: Header=BB4_3353 Depth=3
	s_or_b64 exec, exec, s[70:71]
                                        ; implicit-def: $vgpr20
                                        ; implicit-def: $vgpr18_vgpr19
.LBB4_4359:                             ;   in Loop: Header=BB4_3353 Depth=3
	s_andn2_saveexec_b64 s[30:31], s[68:69]
; %bb.4360:                             ;   in Loop: Header=BB4_3353 Depth=3
	v_or_b32_sdwa v0, v20, s39 dst_sel:DWORD dst_unused:UNUSED_PAD src0_sel:BYTE_3 src1_sel:DWORD
	v_cmp_eq_u64_e32 vcc, 0, v[18:19]
	v_cndmask_b32_e32 v60, v0, v60, vcc
; %bb.4361:                             ;   in Loop: Header=BB4_3353 Depth=3
	s_or_b64 exec, exec, s[30:31]
	v_lshrrev_b16_e32 v20, 8, v42
	v_lshrrev_b16_e32 v18, 8, v16
	s_and_b64 vcc, exec, s[28:29]
	v_cmp_ne_u16_e64 s[30:31], 0, v20
	s_cbranch_vccnz .LBB4_4379
; %bb.4362:                             ;   in Loop: Header=BB4_3353 Depth=3
	v_mov_b32_e32 v17, 0
	v_mov_b32_e32 v0, 0
	s_and_saveexec_b64 s[68:69], s[30:31]
	s_cbranch_execz .LBB4_4370
; %bb.4363:                             ;   in Loop: Header=BB4_3353 Depth=3
	v_cmp_ne_u16_e32 vcc, s97, v20
	v_bfrev_b32_e32 v0, 1
	s_and_saveexec_b64 s[70:71], vcc
	s_cbranch_execz .LBB4_4369
; %bb.4364:                             ;   in Loop: Header=BB4_3353 Depth=3
	v_and_b32_e32 v0, 0x7c, v20
	v_and_b32_e32 v19, 3, v20
	v_cmp_ne_u32_e32 vcc, s95, v0
                                        ; implicit-def: $vgpr0
	s_and_saveexec_b64 s[72:73], vcc
	s_xor_b64 s[72:73], exec, s[72:73]
	s_cbranch_execz .LBB4_4366
; %bb.4365:                             ;   in Loop: Header=BB4_3353 Depth=3
	v_ffbh_u32_e32 v32, v19
	v_min_u32_e32 v32, 32, v32
	v_mov_b32_e32 v21, v43
	v_subrev_u32_e32 v33, 29, v32
	v_bfe_u32 v0, v20, 2, 5
	v_lshlrev_b64 v[36:37], v33, v[20:21]
	v_sub_u32_e32 v21, 30, v32
	v_and_b32_e32 v32, 3, v36
	v_cmp_eq_u32_e32 vcc, 0, v0
	v_cndmask_b32_e32 v0, v0, v21, vcc
	v_cndmask_b32_e32 v19, v19, v32, vcc
	v_bfrev_b32_e32 v32, 28
	v_lshlrev_b32_e32 v21, 16, v42
	v_lshl_add_u32 v0, v0, 23, v32
	v_and_or_b32 v0, v21, s96, v0
	v_lshl_or_b32 v0, v19, 21, v0
                                        ; implicit-def: $vgpr19
.LBB4_4366:                             ;   in Loop: Header=BB4_3353 Depth=3
	s_andn2_saveexec_b64 s[72:73], s[72:73]
; %bb.4367:                             ;   in Loop: Header=BB4_3353 Depth=3
	v_cmp_lt_i16_e32 vcc, -1, v42
	v_cndmask_b32_e32 v0, v6, v1, vcc
	v_cmp_eq_u32_e32 vcc, 0, v19
	v_mov_b32_e32 v19, 0x7f800001
	v_cndmask_b32_e32 v0, v19, v0, vcc
; %bb.4368:                             ;   in Loop: Header=BB4_3353 Depth=3
	s_or_b64 exec, exec, s[72:73]
.LBB4_4369:                             ;   in Loop: Header=BB4_3353 Depth=3
	s_or_b64 exec, exec, s[70:71]
.LBB4_4370:                             ;   in Loop: Header=BB4_3353 Depth=3
	s_or_b64 exec, exec, s[68:69]
	v_cmp_ne_u16_e32 vcc, 0, v18
	s_and_saveexec_b64 s[68:69], vcc
	s_cbranch_execz .LBB4_4378
; %bb.4371:                             ;   in Loop: Header=BB4_3353 Depth=3
	v_cmp_ne_u16_e32 vcc, s97, v18
	v_bfrev_b32_e32 v17, 1
	s_and_saveexec_b64 s[70:71], vcc
	s_cbranch_execz .LBB4_4377
; %bb.4372:                             ;   in Loop: Header=BB4_3353 Depth=3
	v_and_b32_e32 v17, 0x7c, v18
	v_and_b32_e32 v21, 3, v18
	v_cmp_ne_u32_e32 vcc, s95, v17
                                        ; implicit-def: $vgpr17
	s_and_saveexec_b64 s[72:73], vcc
	s_xor_b64 s[72:73], exec, s[72:73]
	s_cbranch_execz .LBB4_4374
; %bb.4373:                             ;   in Loop: Header=BB4_3353 Depth=3
	v_ffbh_u32_e32 v32, v21
	v_min_u32_e32 v32, 32, v32
	v_mov_b32_e32 v19, v43
	v_subrev_u32_e32 v33, 29, v32
	v_bfe_u32 v17, v18, 2, 5
	v_lshlrev_b64 v[36:37], v33, v[18:19]
	v_sub_u32_e32 v19, 30, v32
	v_and_b32_e32 v32, 3, v36
	v_cmp_eq_u32_e32 vcc, 0, v17
	v_cndmask_b32_e32 v17, v17, v19, vcc
	v_cndmask_b32_e32 v19, v21, v32, vcc
	v_bfrev_b32_e32 v32, 28
	v_lshlrev_b32_e32 v21, 16, v16
	v_lshl_add_u32 v17, v17, 23, v32
	v_and_or_b32 v17, v21, s96, v17
	v_lshl_or_b32 v17, v19, 21, v17
                                        ; implicit-def: $vgpr21
.LBB4_4374:                             ;   in Loop: Header=BB4_3353 Depth=3
	s_andn2_saveexec_b64 s[72:73], s[72:73]
; %bb.4375:                             ;   in Loop: Header=BB4_3353 Depth=3
	v_cmp_lt_i16_e32 vcc, -1, v16
	v_cndmask_b32_e32 v17, v6, v1, vcc
	v_cmp_eq_u32_e32 vcc, 0, v21
	v_mov_b32_e32 v19, 0x7f800001
	v_cndmask_b32_e32 v17, v19, v17, vcc
; %bb.4376:                             ;   in Loop: Header=BB4_3353 Depth=3
	s_or_b64 exec, exec, s[72:73]
.LBB4_4377:                             ;   in Loop: Header=BB4_3353 Depth=3
	s_or_b64 exec, exec, s[70:71]
.LBB4_4378:                             ;   in Loop: Header=BB4_3353 Depth=3
	s_or_b64 exec, exec, s[68:69]
	v_max_f32_e32 v17, v17, v17
	v_max_f32_e32 v0, v0, v0
	;; [unrolled: 1-line block ×3, first 2 shown]
	s_branch .LBB4_4397
.LBB4_4379:                             ;   in Loop: Header=BB4_3353 Depth=3
                                        ; implicit-def: $vgpr17
	s_cbranch_execz .LBB4_4397
; %bb.4380:                             ;   in Loop: Header=BB4_3353 Depth=3
	v_mov_b32_e32 v19, 0
	v_mov_b32_e32 v0, 0
	s_and_saveexec_b64 s[68:69], s[30:31]
	s_cbranch_execz .LBB4_4388
; %bb.4381:                             ;   in Loop: Header=BB4_3353 Depth=3
	v_cmp_ne_u16_e32 vcc, s97, v20
	v_bfrev_b32_e32 v0, 1
	s_and_saveexec_b64 s[30:31], vcc
	s_cbranch_execz .LBB4_4387
; %bb.4382:                             ;   in Loop: Header=BB4_3353 Depth=3
	v_and_b32_e32 v0, 0x7c, v20
	v_and_b32_e32 v17, 3, v20
	v_cmp_ne_u32_e32 vcc, s95, v0
                                        ; implicit-def: $vgpr0
	s_and_saveexec_b64 s[70:71], vcc
	s_xor_b64 s[70:71], exec, s[70:71]
	s_cbranch_execz .LBB4_4384
; %bb.4383:                             ;   in Loop: Header=BB4_3353 Depth=3
	v_ffbh_u32_e32 v32, v17
	v_min_u32_e32 v32, 32, v32
	v_mov_b32_e32 v21, v43
	v_subrev_u32_e32 v33, 29, v32
	v_bfe_u32 v0, v20, 2, 5
	v_lshlrev_b64 v[20:21], v33, v[20:21]
	v_sub_u32_e32 v21, 30, v32
	v_cmp_eq_u32_e32 vcc, 0, v0
	v_and_b32_e32 v20, 3, v20
	v_cndmask_b32_e32 v0, v0, v21, vcc
	v_bfrev_b32_e32 v21, 28
	v_cndmask_b32_e32 v17, v17, v20, vcc
	v_lshlrev_b32_e32 v20, 16, v42
	v_lshl_add_u32 v0, v0, 23, v21
	v_and_or_b32 v0, v20, s96, v0
	v_lshl_or_b32 v0, v17, 21, v0
                                        ; implicit-def: $vgpr17
.LBB4_4384:                             ;   in Loop: Header=BB4_3353 Depth=3
	s_andn2_saveexec_b64 s[70:71], s[70:71]
; %bb.4385:                             ;   in Loop: Header=BB4_3353 Depth=3
	v_cmp_lt_i16_e32 vcc, -1, v42
	v_cndmask_b32_e32 v0, v6, v1, vcc
	v_cmp_eq_u32_e32 vcc, 0, v17
	v_mov_b32_e32 v17, 0x7f800001
	v_cndmask_b32_e32 v0, v17, v0, vcc
; %bb.4386:                             ;   in Loop: Header=BB4_3353 Depth=3
	s_or_b64 exec, exec, s[70:71]
.LBB4_4387:                             ;   in Loop: Header=BB4_3353 Depth=3
	s_or_b64 exec, exec, s[30:31]
.LBB4_4388:                             ;   in Loop: Header=BB4_3353 Depth=3
	s_or_b64 exec, exec, s[68:69]
	v_cmp_ne_u16_e32 vcc, 0, v18
	s_and_saveexec_b64 s[30:31], vcc
	s_cbranch_execz .LBB4_4396
; %bb.4389:                             ;   in Loop: Header=BB4_3353 Depth=3
	v_cmp_ne_u16_e32 vcc, s97, v18
	v_bfrev_b32_e32 v19, 1
	s_and_saveexec_b64 s[68:69], vcc
	s_cbranch_execz .LBB4_4395
; %bb.4390:                             ;   in Loop: Header=BB4_3353 Depth=3
	v_and_b32_e32 v17, 0x7c, v18
	v_and_b32_e32 v20, 3, v18
	v_cmp_ne_u32_e32 vcc, s95, v17
                                        ; implicit-def: $vgpr19
	s_and_saveexec_b64 s[70:71], vcc
	s_xor_b64 s[70:71], exec, s[70:71]
	s_cbranch_execz .LBB4_4392
; %bb.4391:                             ;   in Loop: Header=BB4_3353 Depth=3
	v_ffbh_u32_e32 v21, v20
	v_min_u32_e32 v21, 32, v21
	v_mov_b32_e32 v19, v43
	v_subrev_u32_e32 v32, 29, v21
	v_bfe_u32 v17, v18, 2, 5
	v_lshlrev_b64 v[18:19], v32, v[18:19]
	v_sub_u32_e32 v19, 30, v21
	v_cmp_eq_u32_e32 vcc, 0, v17
	v_cndmask_b32_e32 v17, v17, v19, vcc
	v_bfrev_b32_e32 v19, 28
	v_and_b32_e32 v18, 3, v18
	v_lshlrev_b32_e32 v16, 16, v16
	v_lshl_add_u32 v17, v17, 23, v19
	v_cndmask_b32_e32 v18, v20, v18, vcc
	v_and_or_b32 v16, v16, s96, v17
	v_lshl_or_b32 v19, v18, 21, v16
                                        ; implicit-def: $vgpr20
                                        ; implicit-def: $vgpr16_vgpr17
.LBB4_4392:                             ;   in Loop: Header=BB4_3353 Depth=3
	s_andn2_saveexec_b64 s[70:71], s[70:71]
; %bb.4393:                             ;   in Loop: Header=BB4_3353 Depth=3
	v_cmp_lt_i16_e32 vcc, -1, v16
	v_cndmask_b32_e32 v16, v6, v1, vcc
	v_cmp_eq_u32_e32 vcc, 0, v20
	v_mov_b32_e32 v17, 0x7f800001
	v_cndmask_b32_e32 v19, v17, v16, vcc
; %bb.4394:                             ;   in Loop: Header=BB4_3353 Depth=3
	s_or_b64 exec, exec, s[70:71]
.LBB4_4395:                             ;   in Loop: Header=BB4_3353 Depth=3
	s_or_b64 exec, exec, s[68:69]
.LBB4_4396:                             ;   in Loop: Header=BB4_3353 Depth=3
	s_or_b64 exec, exec, s[30:31]
	v_max_f32_e32 v16, v19, v19
	v_max_f32_e32 v0, v0, v0
	v_min_f32_e32 v17, v0, v16
.LBB4_4397:                             ;   in Loop: Header=BB4_3353 Depth=3
	v_and_b32_sdwa v18, v17, s97 dst_sel:DWORD dst_unused:UNUSED_PAD src0_sel:BYTE_3 src1_sel:DWORD
	v_and_b32_e32 v20, 0x7f800000, v17
	v_mov_b32_e32 v21, v43
	v_and_b32_e32 v42, 0x7fffff, v17
	v_or_b32_e32 v0, 0x7b, v18
	v_cmp_ne_u64_e32 vcc, s[52:53], v[20:21]
	s_and_saveexec_b64 s[30:31], vcc
	s_xor_b64 s[68:69], exec, s[30:31]
	s_cbranch_execz .LBB4_4407
; %bb.4398:                             ;   in Loop: Header=BB4_3353 Depth=3
	v_and_b32_e32 v20, 0x7fffffff, v17
	v_mov_b32_e32 v21, v43
	v_cmp_gt_u64_e32 vcc, s[54:55], v[20:21]
	s_and_saveexec_b64 s[70:71], vcc
	s_cbranch_execz .LBB4_4406
; %bb.4399:                             ;   in Loop: Header=BB4_3353 Depth=3
	v_cmp_ne_u32_e32 vcc, 0, v17
	v_mov_b32_e32 v0, 0
	s_and_saveexec_b64 s[72:73], vcc
	s_cbranch_execz .LBB4_4405
; %bb.4400:                             ;   in Loop: Header=BB4_3353 Depth=3
	v_bfe_u32 v0, v17, 23, 8
	v_cmp_eq_u32_e32 vcc, 0, v0
	v_add_u32_e32 v16, 0xffffff81, v0
	v_cmp_gt_u32_e64 s[30:31], s38, v0
	v_sub_u32_e32 v0, 0x71, v0
	v_mov_b32_e32 v19, 0xffffff82
	v_cndmask_b32_e64 v0, 0, v0, s[30:31]
	v_cndmask_b32_e32 v19, v16, v19, vcc
	v_mov_b32_e32 v16, 0x70
	v_cndmask_b32_e32 v0, v0, v16, vcc
	v_or_b32_e32 v17, 0x800000, v42
	v_add_u32_e32 v16, 21, v0
	v_cndmask_b32_e32 v42, v17, v42, vcc
	v_lshlrev_b64 v[16:17], v16, -1
	v_not_b32_e32 v17, v17
	v_not_b32_e32 v16, v16
	v_add_u32_e32 v20, 20, v0
	v_and_b32_e32 v17, 0, v17
	v_and_b32_e32 v16, v42, v16
	v_lshlrev_b64 v[20:21], v20, 1
	v_cmp_eq_u64_e32 vcc, v[16:17], v[20:21]
	v_lshrrev_b64 v[16:17], v0, v[42:43]
	v_lshrrev_b32_e32 v20, 23, v16
	v_add3_u32 v20, v0, v19, v20
	v_bfe_u32 v0, v16, 21, 1
	v_add_u32_e32 v0, -1, v0
	v_cndmask_b32_e32 v0, 0, v0, vcc
	v_add_u32_e32 v0, v0, v16
	v_and_b32_e32 v0, 0x1fffff, v0
	v_add_co_u32_e32 v16, vcc, v0, v16
	v_add_u32_e32 v19, 14, v20
	v_addc_co_u32_e32 v17, vcc, 0, v17, vcc
	v_cmp_ne_u32_e32 vcc, 0, v19
                                        ; implicit-def: $vgpr0
	s_and_saveexec_b64 s[30:31], vcc
	s_xor_b64 s[30:31], exec, s[30:31]
; %bb.4401:                             ;   in Loop: Header=BB4_3353 Depth=3
	v_add_u32_e32 v0, 15, v20
	v_cmp_lt_u64_e32 vcc, s[56:57], v[16:17]
	v_cndmask_b32_e32 v0, v19, v0, vcc
	v_cndmask_b32_e64 v19, 0, 1, vcc
	v_lshrrev_b64 v[16:17], v19, v[16:17]
; %bb.4402:                             ;   in Loop: Header=BB4_3353 Depth=3
	s_andn2_saveexec_b64 vcc, s[30:31]
; %bb.4403:                             ;   in Loop: Header=BB4_3353 Depth=3
	v_bfe_u32 v0, v16, 23, 1
; %bb.4404:                             ;   in Loop: Header=BB4_3353 Depth=3
	s_or_b64 exec, exec, vcc
	v_lshrrev_b64 v[16:17], 21, v[16:17]
	v_cmp_gt_i32_e32 vcc, 32, v0
	v_cndmask_b32_e32 v17, 0, v17, vcc
	v_cndmask_b32_e32 v16, 3, v16, vcc
	v_cmp_eq_u32_e32 vcc, 0, v0
	v_min_i32_e32 v0, 31, v0
	v_cmp_eq_u64_e64 s[30:31], 0, v[16:17]
	v_lshlrev_b32_e32 v0, 2, v0
	v_and_or_b32 v0, v16, 3, v0
	s_and_b64 vcc, vcc, s[30:31]
	v_cndmask_b32_e64 v0, v0, 0, vcc
	v_or_b32_e32 v0, v0, v18
.LBB4_4405:                             ;   in Loop: Header=BB4_3353 Depth=3
	s_or_b64 exec, exec, s[72:73]
.LBB4_4406:                             ;   in Loop: Header=BB4_3353 Depth=3
	s_or_b64 exec, exec, s[70:71]
                                        ; implicit-def: $vgpr17
.LBB4_4407:                             ;   in Loop: Header=BB4_3353 Depth=3
	s_andn2_saveexec_b64 s[30:31], s[68:69]
; %bb.4408:                             ;   in Loop: Header=BB4_3353 Depth=3
	v_or_b32_sdwa v16, v17, s39 dst_sel:DWORD dst_unused:UNUSED_PAD src0_sel:BYTE_3 src1_sel:DWORD
	v_cmp_eq_u64_e32 vcc, 0, v[42:43]
	v_cndmask_b32_e32 v0, v16, v0, vcc
; %bb.4409:                             ;   in Loop: Header=BB4_3353 Depth=3
	s_or_b64 exec, exec, s[30:31]
	v_lshrrev_b32_e32 v18, 16, v13
	v_lshrrev_b32_e32 v16, 16, v9
	s_and_b64 vcc, exec, s[28:29]
	v_cmp_ne_u16_sdwa s[30:31], v18, v43 src0_sel:BYTE_0 src1_sel:DWORD
	s_cbranch_vccnz .LBB4_4427
; %bb.4410:                             ;   in Loop: Header=BB4_3353 Depth=3
	v_mov_b32_e32 v19, 0
	v_mov_b32_e32 v17, 0
	s_and_saveexec_b64 s[68:69], s[30:31]
	s_cbranch_execz .LBB4_4418
; %bb.4411:                             ;   in Loop: Header=BB4_3353 Depth=3
	v_cmp_ne_u16_sdwa vcc, v18, s97 src0_sel:BYTE_0 src1_sel:DWORD
	v_bfrev_b32_e32 v17, 1
	s_and_saveexec_b64 s[70:71], vcc
	s_cbranch_execz .LBB4_4417
; %bb.4412:                             ;   in Loop: Header=BB4_3353 Depth=3
	v_and_b32_e32 v17, 0x7c0000, v13
	v_bfe_u32 v20, v13, 16, 2
	v_cmp_ne_u32_e32 vcc, s36, v17
                                        ; implicit-def: $vgpr17
	s_and_saveexec_b64 s[72:73], vcc
	s_xor_b64 s[72:73], exec, s[72:73]
	s_cbranch_execz .LBB4_4414
; %bb.4413:                             ;   in Loop: Header=BB4_3353 Depth=3
	v_ffbh_u32_e32 v21, v20
	v_min_u32_e32 v21, 32, v21
	v_subrev_u32_e32 v32, 29, v21
	v_bfe_u32 v17, v13, 18, 5
	v_lshlrev_b64 v[36:37], v32, v[18:19]
	v_sub_u32_e32 v21, 30, v21
	v_and_b32_e32 v32, 3, v36
	v_cmp_eq_u32_e32 vcc, 0, v17
	v_cndmask_b32_e32 v17, v17, v21, vcc
	v_cndmask_b32_e32 v20, v20, v32, vcc
	v_bfrev_b32_e32 v32, 28
	v_lshlrev_b32_e32 v21, 24, v18
	v_lshl_add_u32 v17, v17, 23, v32
	v_and_or_b32 v17, v21, s96, v17
	v_lshl_or_b32 v17, v20, 21, v17
                                        ; implicit-def: $vgpr20
.LBB4_4414:                             ;   in Loop: Header=BB4_3353 Depth=3
	s_andn2_saveexec_b64 s[72:73], s[72:73]
; %bb.4415:                             ;   in Loop: Header=BB4_3353 Depth=3
	v_mov_b32_e32 v17, -1
	v_cmp_gt_i16_sdwa vcc, sext(v18), v17 src0_sel:BYTE_0 src1_sel:DWORD
	v_cndmask_b32_e32 v17, v6, v1, vcc
	v_cmp_eq_u32_e32 vcc, 0, v20
	v_mov_b32_e32 v20, 0x7f800001
	v_cndmask_b32_e32 v17, v20, v17, vcc
; %bb.4416:                             ;   in Loop: Header=BB4_3353 Depth=3
	s_or_b64 exec, exec, s[72:73]
.LBB4_4417:                             ;   in Loop: Header=BB4_3353 Depth=3
	s_or_b64 exec, exec, s[70:71]
.LBB4_4418:                             ;   in Loop: Header=BB4_3353 Depth=3
	s_or_b64 exec, exec, s[68:69]
	v_cmp_ne_u16_sdwa vcc, v16, v43 src0_sel:BYTE_0 src1_sel:DWORD
	s_and_saveexec_b64 s[68:69], vcc
	s_cbranch_execz .LBB4_4426
; %bb.4419:                             ;   in Loop: Header=BB4_3353 Depth=3
	v_cmp_ne_u16_sdwa vcc, v16, s97 src0_sel:BYTE_0 src1_sel:DWORD
	v_bfrev_b32_e32 v19, 1
	s_and_saveexec_b64 s[70:71], vcc
	s_cbranch_execz .LBB4_4425
; %bb.4420:                             ;   in Loop: Header=BB4_3353 Depth=3
	v_and_b32_e32 v19, 0x7c0000, v9
	v_bfe_u32 v20, v9, 16, 2
	v_cmp_ne_u32_e32 vcc, s36, v19
                                        ; implicit-def: $vgpr19
	s_and_saveexec_b64 s[72:73], vcc
	s_xor_b64 s[72:73], exec, s[72:73]
	s_cbranch_execz .LBB4_4422
; %bb.4421:                             ;   in Loop: Header=BB4_3353 Depth=3
	v_ffbh_u32_e32 v21, v20
	v_min_u32_e32 v21, 32, v21
	v_subrev_u32_e32 v32, 29, v21
	v_bfe_u32 v19, v9, 18, 5
	v_lshlrev_b64 v[36:37], v32, v[16:17]
	v_sub_u32_e32 v21, 30, v21
	v_and_b32_e32 v32, 3, v36
	v_cmp_eq_u32_e32 vcc, 0, v19
	v_cndmask_b32_e32 v19, v19, v21, vcc
	v_cndmask_b32_e32 v20, v20, v32, vcc
	v_bfrev_b32_e32 v32, 28
	v_lshlrev_b32_e32 v21, 24, v16
	v_lshl_add_u32 v19, v19, 23, v32
	v_and_or_b32 v19, v21, s96, v19
	v_lshl_or_b32 v19, v20, 21, v19
                                        ; implicit-def: $vgpr20
.LBB4_4422:                             ;   in Loop: Header=BB4_3353 Depth=3
	s_andn2_saveexec_b64 s[72:73], s[72:73]
; %bb.4423:                             ;   in Loop: Header=BB4_3353 Depth=3
	v_mov_b32_e32 v19, -1
	v_cmp_gt_i16_sdwa vcc, sext(v16), v19 src0_sel:BYTE_0 src1_sel:DWORD
	v_cndmask_b32_e32 v19, v6, v1, vcc
	v_cmp_eq_u32_e32 vcc, 0, v20
	v_mov_b32_e32 v20, 0x7f800001
	v_cndmask_b32_e32 v19, v20, v19, vcc
; %bb.4424:                             ;   in Loop: Header=BB4_3353 Depth=3
	s_or_b64 exec, exec, s[72:73]
.LBB4_4425:                             ;   in Loop: Header=BB4_3353 Depth=3
	s_or_b64 exec, exec, s[70:71]
.LBB4_4426:                             ;   in Loop: Header=BB4_3353 Depth=3
	s_or_b64 exec, exec, s[68:69]
	v_max_f32_e32 v19, v19, v19
	v_max_f32_e32 v17, v17, v17
	;; [unrolled: 1-line block ×3, first 2 shown]
	s_branch .LBB4_4445
.LBB4_4427:                             ;   in Loop: Header=BB4_3353 Depth=3
                                        ; implicit-def: $vgpr17
	s_cbranch_execz .LBB4_4445
; %bb.4428:                             ;   in Loop: Header=BB4_3353 Depth=3
	v_mov_b32_e32 v19, 0
	v_mov_b32_e32 v17, 0
	s_and_saveexec_b64 s[68:69], s[30:31]
	s_cbranch_execz .LBB4_4436
; %bb.4429:                             ;   in Loop: Header=BB4_3353 Depth=3
	v_cmp_ne_u16_sdwa vcc, v18, s97 src0_sel:BYTE_0 src1_sel:DWORD
	v_bfrev_b32_e32 v17, 1
	s_and_saveexec_b64 s[30:31], vcc
	s_cbranch_execz .LBB4_4435
; %bb.4430:                             ;   in Loop: Header=BB4_3353 Depth=3
	v_and_b32_e32 v17, 0x7c0000, v13
	v_bfe_u32 v20, v13, 16, 2
	v_cmp_ne_u32_e32 vcc, s36, v17
                                        ; implicit-def: $vgpr17
	s_and_saveexec_b64 s[70:71], vcc
	s_xor_b64 s[70:71], exec, s[70:71]
	s_cbranch_execz .LBB4_4432
; %bb.4431:                             ;   in Loop: Header=BB4_3353 Depth=3
	v_ffbh_u32_e32 v21, v20
	v_bfe_u32 v17, v13, 18, 5
	v_min_u32_e32 v21, 32, v21
	v_subrev_u32_e32 v32, 29, v21
	v_sub_u32_e32 v21, 30, v21
	v_cmp_eq_u32_e32 vcc, 0, v17
	v_lshlrev_b64 v[36:37], v32, v[18:19]
	v_cndmask_b32_e32 v17, v17, v21, vcc
	v_bfrev_b32_e32 v21, 28
	v_and_b32_e32 v32, 3, v36
	v_lshlrev_b32_e32 v18, 24, v18
	v_lshl_add_u32 v17, v17, 23, v21
	v_cndmask_b32_e32 v20, v20, v32, vcc
	v_and_or_b32 v17, v18, s96, v17
	v_lshl_or_b32 v17, v20, 21, v17
                                        ; implicit-def: $vgpr20
                                        ; implicit-def: $vgpr18
.LBB4_4432:                             ;   in Loop: Header=BB4_3353 Depth=3
	s_andn2_saveexec_b64 s[70:71], s[70:71]
; %bb.4433:                             ;   in Loop: Header=BB4_3353 Depth=3
	v_mov_b32_e32 v17, -1
	v_cmp_gt_i16_sdwa vcc, sext(v18), v17 src0_sel:BYTE_0 src1_sel:DWORD
	v_cndmask_b32_e32 v17, v6, v1, vcc
	v_cmp_eq_u32_e32 vcc, 0, v20
	v_mov_b32_e32 v18, 0x7f800001
	v_cndmask_b32_e32 v17, v18, v17, vcc
; %bb.4434:                             ;   in Loop: Header=BB4_3353 Depth=3
	s_or_b64 exec, exec, s[70:71]
.LBB4_4435:                             ;   in Loop: Header=BB4_3353 Depth=3
	s_or_b64 exec, exec, s[30:31]
.LBB4_4436:                             ;   in Loop: Header=BB4_3353 Depth=3
	s_or_b64 exec, exec, s[68:69]
	v_cmp_ne_u16_sdwa vcc, v16, v43 src0_sel:BYTE_0 src1_sel:DWORD
	s_and_saveexec_b64 s[30:31], vcc
	s_cbranch_execz .LBB4_4444
; %bb.4437:                             ;   in Loop: Header=BB4_3353 Depth=3
	v_cmp_ne_u16_sdwa vcc, v16, s97 src0_sel:BYTE_0 src1_sel:DWORD
	v_bfrev_b32_e32 v19, 1
	s_and_saveexec_b64 s[68:69], vcc
	s_cbranch_execz .LBB4_4443
; %bb.4438:                             ;   in Loop: Header=BB4_3353 Depth=3
	v_and_b32_e32 v19, 0x7c0000, v9
	v_bfe_u32 v18, v9, 16, 2
	v_cmp_ne_u32_e32 vcc, s36, v19
                                        ; implicit-def: $vgpr19
	s_and_saveexec_b64 s[70:71], vcc
	s_xor_b64 s[70:71], exec, s[70:71]
	s_cbranch_execz .LBB4_4440
; %bb.4439:                             ;   in Loop: Header=BB4_3353 Depth=3
	v_ffbh_u32_e32 v20, v18
	v_min_u32_e32 v32, 32, v20
	v_subrev_u32_e32 v20, 29, v32
	v_bfe_u32 v19, v9, 18, 5
	v_lshlrev_b64 v[20:21], v20, v[16:17]
	v_sub_u32_e32 v21, 30, v32
	v_and_b32_e32 v20, 3, v20
	v_cmp_eq_u32_e32 vcc, 0, v19
	v_cndmask_b32_e32 v19, v19, v21, vcc
	v_cndmask_b32_e32 v18, v18, v20, vcc
	v_bfrev_b32_e32 v20, 28
	v_lshlrev_b32_e32 v16, 24, v16
	v_lshl_add_u32 v19, v19, 23, v20
	v_and_or_b32 v16, v16, s96, v19
	v_lshl_or_b32 v19, v18, 21, v16
                                        ; implicit-def: $vgpr18
                                        ; implicit-def: $vgpr16
.LBB4_4440:                             ;   in Loop: Header=BB4_3353 Depth=3
	s_andn2_saveexec_b64 s[70:71], s[70:71]
; %bb.4441:                             ;   in Loop: Header=BB4_3353 Depth=3
	v_mov_b32_e32 v19, -1
	v_cmp_gt_i16_sdwa vcc, sext(v16), v19 src0_sel:BYTE_0 src1_sel:DWORD
	v_cndmask_b32_e32 v16, v6, v1, vcc
	v_cmp_eq_u32_e32 vcc, 0, v18
	v_mov_b32_e32 v18, 0x7f800001
	v_cndmask_b32_e32 v19, v18, v16, vcc
; %bb.4442:                             ;   in Loop: Header=BB4_3353 Depth=3
	s_or_b64 exec, exec, s[70:71]
.LBB4_4443:                             ;   in Loop: Header=BB4_3353 Depth=3
	s_or_b64 exec, exec, s[68:69]
.LBB4_4444:                             ;   in Loop: Header=BB4_3353 Depth=3
	s_or_b64 exec, exec, s[30:31]
	v_max_f32_e32 v16, v19, v19
	v_max_f32_e32 v17, v17, v17
	v_min_f32_e32 v17, v17, v16
.LBB4_4445:                             ;   in Loop: Header=BB4_3353 Depth=3
	v_and_b32_sdwa v18, v17, s97 dst_sel:DWORD dst_unused:UNUSED_PAD src0_sel:BYTE_3 src1_sel:DWORD
	v_and_b32_e32 v20, 0x7f800000, v17
	v_mov_b32_e32 v21, v43
	v_and_b32_e32 v42, 0x7fffff, v17
	v_or_b32_e32 v19, 0x7b, v18
	v_cmp_ne_u64_e32 vcc, s[52:53], v[20:21]
	s_and_saveexec_b64 s[30:31], vcc
	s_xor_b64 s[68:69], exec, s[30:31]
	s_cbranch_execz .LBB4_4455
; %bb.4446:                             ;   in Loop: Header=BB4_3353 Depth=3
	v_and_b32_e32 v20, 0x7fffffff, v17
	v_mov_b32_e32 v21, v43
	v_cmp_gt_u64_e32 vcc, s[54:55], v[20:21]
	s_and_saveexec_b64 s[70:71], vcc
	s_cbranch_execz .LBB4_4454
; %bb.4447:                             ;   in Loop: Header=BB4_3353 Depth=3
	v_cmp_ne_u32_e32 vcc, 0, v17
	v_mov_b32_e32 v19, 0
	s_and_saveexec_b64 s[72:73], vcc
	s_cbranch_execz .LBB4_4453
; %bb.4448:                             ;   in Loop: Header=BB4_3353 Depth=3
	v_bfe_u32 v16, v17, 23, 8
	v_cmp_eq_u32_e32 vcc, 0, v16
	v_add_u32_e32 v17, 0xffffff81, v16
	v_cmp_gt_u32_e64 s[30:31], s38, v16
	v_sub_u32_e32 v16, 0x71, v16
	v_mov_b32_e32 v20, 0xffffff82
	v_cndmask_b32_e64 v16, 0, v16, s[30:31]
	v_cndmask_b32_e32 v32, v17, v20, vcc
	v_mov_b32_e32 v17, 0x70
	v_cndmask_b32_e32 v33, v16, v17, vcc
	v_add_u32_e32 v16, 21, v33
	v_or_b32_e32 v19, 0x800000, v42
	v_lshlrev_b64 v[16:17], v16, -1
	v_cndmask_b32_e32 v42, v19, v42, vcc
	v_not_b32_e32 v17, v17
	v_not_b32_e32 v16, v16
	v_add_u32_e32 v19, 20, v33
	v_and_b32_e32 v17, 0, v17
	v_and_b32_e32 v16, v42, v16
	v_lshlrev_b64 v[20:21], v19, 1
	v_cmp_eq_u64_e32 vcc, v[16:17], v[20:21]
	v_lshrrev_b64 v[16:17], v33, v[42:43]
	v_lshrrev_b32_e32 v19, 23, v16
	v_add3_u32 v21, v33, v32, v19
	v_bfe_u32 v19, v16, 21, 1
	v_add_u32_e32 v19, -1, v19
	v_cndmask_b32_e32 v19, 0, v19, vcc
	v_add_u32_e32 v19, v19, v16
	v_and_b32_e32 v19, 0x1fffff, v19
	v_add_co_u32_e32 v16, vcc, v19, v16
	v_add_u32_e32 v20, 14, v21
	v_addc_co_u32_e32 v17, vcc, 0, v17, vcc
	v_cmp_ne_u32_e32 vcc, 0, v20
                                        ; implicit-def: $vgpr19
	s_and_saveexec_b64 s[30:31], vcc
	s_xor_b64 s[30:31], exec, s[30:31]
; %bb.4449:                             ;   in Loop: Header=BB4_3353 Depth=3
	v_add_u32_e32 v19, 15, v21
	v_cmp_lt_u64_e32 vcc, s[56:57], v[16:17]
	v_cndmask_b32_e32 v19, v20, v19, vcc
	v_cndmask_b32_e64 v20, 0, 1, vcc
	v_lshrrev_b64 v[16:17], v20, v[16:17]
; %bb.4450:                             ;   in Loop: Header=BB4_3353 Depth=3
	s_andn2_saveexec_b64 vcc, s[30:31]
; %bb.4451:                             ;   in Loop: Header=BB4_3353 Depth=3
	v_bfe_u32 v19, v16, 23, 1
; %bb.4452:                             ;   in Loop: Header=BB4_3353 Depth=3
	s_or_b64 exec, exec, vcc
	v_lshrrev_b64 v[16:17], 21, v[16:17]
	v_cmp_gt_i32_e32 vcc, 32, v19
	v_cndmask_b32_e32 v17, 0, v17, vcc
	v_cndmask_b32_e32 v16, 3, v16, vcc
	v_cmp_eq_u64_e64 s[30:31], 0, v[16:17]
	v_min_i32_e32 v17, 31, v19
	v_cmp_eq_u32_e32 vcc, 0, v19
	v_lshlrev_b32_e32 v17, 2, v17
	v_and_or_b32 v16, v16, 3, v17
	s_and_b64 vcc, vcc, s[30:31]
	v_cndmask_b32_e64 v16, v16, 0, vcc
	v_or_b32_e32 v19, v16, v18
.LBB4_4453:                             ;   in Loop: Header=BB4_3353 Depth=3
	s_or_b64 exec, exec, s[72:73]
.LBB4_4454:                             ;   in Loop: Header=BB4_3353 Depth=3
	s_or_b64 exec, exec, s[70:71]
                                        ; implicit-def: $vgpr17
.LBB4_4455:                             ;   in Loop: Header=BB4_3353 Depth=3
	s_andn2_saveexec_b64 s[30:31], s[68:69]
; %bb.4456:                             ;   in Loop: Header=BB4_3353 Depth=3
	v_or_b32_sdwa v16, v17, s39 dst_sel:DWORD dst_unused:UNUSED_PAD src0_sel:BYTE_3 src1_sel:DWORD
	v_cmp_eq_u64_e32 vcc, 0, v[42:43]
	v_cndmask_b32_e32 v19, v16, v19, vcc
; %bb.4457:                             ;   in Loop: Header=BB4_3353 Depth=3
	s_or_b64 exec, exec, s[30:31]
	v_lshrrev_b32_e32 v18, 24, v13
	v_lshrrev_b32_e32 v16, 24, v9
	s_and_b64 vcc, exec, s[28:29]
	v_cmp_lt_u64_e64 s[30:31], s[42:43], v[12:13]
	s_cbranch_vccnz .LBB4_4475
; %bb.4458:                             ;   in Loop: Header=BB4_3353 Depth=3
	v_mov_b32_e32 v20, 0
	v_mov_b32_e32 v17, 0
	s_and_saveexec_b64 s[68:69], s[30:31]
	s_cbranch_execz .LBB4_4466
; %bb.4459:                             ;   in Loop: Header=BB4_3353 Depth=3
	v_cmp_ne_u32_e32 vcc, s97, v18
	v_bfrev_b32_e32 v17, 1
	s_and_saveexec_b64 s[70:71], vcc
	s_cbranch_execz .LBB4_4465
; %bb.4460:                             ;   in Loop: Header=BB4_3353 Depth=3
	v_and_b32_e32 v17, 0x7c000000, v13
	v_bfe_u32 v21, v13, 24, 2
	v_cmp_ne_u32_e32 vcc, s37, v17
                                        ; implicit-def: $vgpr17
	s_and_saveexec_b64 s[72:73], vcc
	s_xor_b64 s[72:73], exec, s[72:73]
	s_cbranch_execz .LBB4_4462
; %bb.4461:                             ;   in Loop: Header=BB4_3353 Depth=3
	v_ffbh_u32_e32 v32, v21
	v_bfe_u32 v17, v13, 26, 5
	v_min_u32_e32 v32, 32, v32
	v_subrev_u32_e32 v33, 29, v32
	v_sub_u32_e32 v32, 30, v32
	v_cmp_eq_u32_e32 vcc, 0, v17
	v_lshlrev_b64 v[36:37], v33, v[18:19]
	v_cndmask_b32_e32 v17, v17, v32, vcc
	v_bfrev_b32_e32 v32, 28
	v_and_b32_e32 v33, 3, v36
	v_lshl_add_u32 v17, v17, 23, v32
	v_cndmask_b32_e32 v21, v21, v33, vcc
	v_and_or_b32 v17, v13, s96, v17
	v_lshl_or_b32 v17, v21, 21, v17
                                        ; implicit-def: $vgpr21
.LBB4_4462:                             ;   in Loop: Header=BB4_3353 Depth=3
	s_andn2_saveexec_b64 s[72:73], s[72:73]
; %bb.4463:                             ;   in Loop: Header=BB4_3353 Depth=3
	v_cmp_lt_i64_e32 vcc, -1, v[12:13]
	v_cndmask_b32_e32 v17, v6, v1, vcc
	v_cmp_eq_u32_e32 vcc, 0, v21
	v_mov_b32_e32 v21, 0x7f800001
	v_cndmask_b32_e32 v17, v21, v17, vcc
; %bb.4464:                             ;   in Loop: Header=BB4_3353 Depth=3
	s_or_b64 exec, exec, s[72:73]
.LBB4_4465:                             ;   in Loop: Header=BB4_3353 Depth=3
	s_or_b64 exec, exec, s[70:71]
.LBB4_4466:                             ;   in Loop: Header=BB4_3353 Depth=3
	s_or_b64 exec, exec, s[68:69]
	v_cmp_lt_u64_e32 vcc, s[42:43], v[8:9]
	s_and_saveexec_b64 s[68:69], vcc
	s_cbranch_execz .LBB4_4474
; %bb.4467:                             ;   in Loop: Header=BB4_3353 Depth=3
	v_cmp_ne_u32_e32 vcc, s97, v16
	v_bfrev_b32_e32 v20, 1
	s_and_saveexec_b64 s[70:71], vcc
	s_cbranch_execz .LBB4_4473
; %bb.4468:                             ;   in Loop: Header=BB4_3353 Depth=3
	v_and_b32_e32 v20, 0x7c000000, v9
	v_bfe_u32 v21, v9, 24, 2
	v_cmp_ne_u32_e32 vcc, s37, v20
                                        ; implicit-def: $vgpr20
	s_and_saveexec_b64 s[72:73], vcc
	s_xor_b64 s[72:73], exec, s[72:73]
	s_cbranch_execz .LBB4_4470
; %bb.4469:                             ;   in Loop: Header=BB4_3353 Depth=3
	v_ffbh_u32_e32 v32, v21
	v_bfe_u32 v20, v9, 26, 5
	v_min_u32_e32 v32, 32, v32
	v_subrev_u32_e32 v33, 29, v32
	v_sub_u32_e32 v32, 30, v32
	v_cmp_eq_u32_e32 vcc, 0, v20
	v_lshlrev_b64 v[36:37], v33, v[16:17]
	v_cndmask_b32_e32 v20, v20, v32, vcc
	v_bfrev_b32_e32 v32, 28
	v_and_b32_e32 v33, 3, v36
	v_lshl_add_u32 v20, v20, 23, v32
	v_cndmask_b32_e32 v21, v21, v33, vcc
	v_and_or_b32 v20, v9, s96, v20
	v_lshl_or_b32 v20, v21, 21, v20
                                        ; implicit-def: $vgpr21
.LBB4_4470:                             ;   in Loop: Header=BB4_3353 Depth=3
	s_andn2_saveexec_b64 s[72:73], s[72:73]
; %bb.4471:                             ;   in Loop: Header=BB4_3353 Depth=3
	v_cmp_lt_i64_e32 vcc, -1, v[8:9]
	v_cndmask_b32_e32 v20, v6, v1, vcc
	v_cmp_eq_u32_e32 vcc, 0, v21
	v_mov_b32_e32 v21, 0x7f800001
	v_cndmask_b32_e32 v20, v21, v20, vcc
; %bb.4472:                             ;   in Loop: Header=BB4_3353 Depth=3
	s_or_b64 exec, exec, s[72:73]
.LBB4_4473:                             ;   in Loop: Header=BB4_3353 Depth=3
	s_or_b64 exec, exec, s[70:71]
.LBB4_4474:                             ;   in Loop: Header=BB4_3353 Depth=3
	s_or_b64 exec, exec, s[68:69]
	v_max_f32_e32 v20, v20, v20
	v_max_f32_e32 v17, v17, v17
	;; [unrolled: 1-line block ×3, first 2 shown]
	s_branch .LBB4_4493
.LBB4_4475:                             ;   in Loop: Header=BB4_3353 Depth=3
                                        ; implicit-def: $vgpr17
	s_cbranch_execz .LBB4_4493
; %bb.4476:                             ;   in Loop: Header=BB4_3353 Depth=3
	v_mov_b32_e32 v20, 0
	v_mov_b32_e32 v17, 0
	s_and_saveexec_b64 s[68:69], s[30:31]
	s_cbranch_execz .LBB4_4484
; %bb.4477:                             ;   in Loop: Header=BB4_3353 Depth=3
	v_cmp_ne_u32_e32 vcc, s97, v18
	v_bfrev_b32_e32 v17, 1
	s_and_saveexec_b64 s[30:31], vcc
	s_cbranch_execz .LBB4_4483
; %bb.4478:                             ;   in Loop: Header=BB4_3353 Depth=3
	v_and_b32_e32 v17, 0x7c000000, v13
	v_bfe_u32 v21, v13, 24, 2
	v_cmp_ne_u32_e32 vcc, s37, v17
                                        ; implicit-def: $vgpr17
	s_and_saveexec_b64 s[70:71], vcc
	s_xor_b64 s[70:71], exec, s[70:71]
	s_cbranch_execz .LBB4_4480
; %bb.4479:                             ;   in Loop: Header=BB4_3353 Depth=3
	v_ffbh_u32_e32 v17, v21
	v_min_u32_e32 v17, 32, v17
	v_subrev_u32_e32 v32, 29, v17
	v_bfe_u32 v12, v13, 26, 5
	v_lshlrev_b64 v[36:37], v32, v[18:19]
	v_sub_u32_e32 v17, 30, v17
	v_and_b32_e32 v18, 3, v36
	v_cmp_eq_u32_e32 vcc, 0, v12
	v_cndmask_b32_e32 v12, v12, v17, vcc
	v_cndmask_b32_e32 v17, v21, v18, vcc
	v_bfrev_b32_e32 v18, 28
	v_lshl_add_u32 v12, v12, 23, v18
	v_and_or_b32 v12, v13, s96, v12
	v_lshl_or_b32 v17, v17, 21, v12
                                        ; implicit-def: $vgpr21
.LBB4_4480:                             ;   in Loop: Header=BB4_3353 Depth=3
	s_andn2_saveexec_b64 s[70:71], s[70:71]
; %bb.4481:                             ;   in Loop: Header=BB4_3353 Depth=3
	v_cmp_lt_i64_e32 vcc, -1, v[12:13]
	v_cndmask_b32_e32 v12, v6, v1, vcc
	v_cmp_eq_u32_e32 vcc, 0, v21
	v_mov_b32_e32 v13, 0x7f800001
	v_cndmask_b32_e32 v17, v13, v12, vcc
; %bb.4482:                             ;   in Loop: Header=BB4_3353 Depth=3
	s_or_b64 exec, exec, s[70:71]
.LBB4_4483:                             ;   in Loop: Header=BB4_3353 Depth=3
	s_or_b64 exec, exec, s[30:31]
.LBB4_4484:                             ;   in Loop: Header=BB4_3353 Depth=3
	s_or_b64 exec, exec, s[68:69]
	v_cmp_lt_u64_e32 vcc, s[42:43], v[8:9]
	s_and_saveexec_b64 s[30:31], vcc
	s_cbranch_execz .LBB4_4492
; %bb.4485:                             ;   in Loop: Header=BB4_3353 Depth=3
	v_cmp_ne_u32_e32 vcc, s97, v16
	v_bfrev_b32_e32 v20, 1
	s_and_saveexec_b64 s[68:69], vcc
	s_cbranch_execz .LBB4_4491
; %bb.4486:                             ;   in Loop: Header=BB4_3353 Depth=3
	v_and_b32_e32 v13, 0x7c000000, v9
	v_bfe_u32 v12, v9, 24, 2
	v_cmp_ne_u32_e32 vcc, s37, v13
                                        ; implicit-def: $vgpr20
	s_and_saveexec_b64 s[70:71], vcc
	s_xor_b64 s[70:71], exec, s[70:71]
	s_cbranch_execz .LBB4_4488
; %bb.4487:                             ;   in Loop: Header=BB4_3353 Depth=3
	v_ffbh_u32_e32 v13, v12
	v_bfe_u32 v8, v9, 26, 5
	v_min_u32_e32 v13, 32, v13
	v_subrev_u32_e32 v18, 29, v13
	v_sub_u32_e32 v13, 30, v13
	v_cmp_eq_u32_e32 vcc, 0, v8
	v_lshlrev_b64 v[20:21], v18, v[16:17]
	v_cndmask_b32_e32 v8, v8, v13, vcc
	v_bfrev_b32_e32 v13, 28
	v_and_b32_e32 v16, 3, v20
	v_lshl_add_u32 v8, v8, 23, v13
	v_cndmask_b32_e32 v12, v12, v16, vcc
	v_and_or_b32 v8, v9, s96, v8
	v_lshl_or_b32 v20, v12, 21, v8
                                        ; implicit-def: $vgpr12
.LBB4_4488:                             ;   in Loop: Header=BB4_3353 Depth=3
	s_andn2_saveexec_b64 s[70:71], s[70:71]
; %bb.4489:                             ;   in Loop: Header=BB4_3353 Depth=3
	v_cmp_lt_i64_e32 vcc, -1, v[8:9]
	v_cndmask_b32_e32 v8, v6, v1, vcc
	v_cmp_eq_u32_e32 vcc, 0, v12
	v_mov_b32_e32 v9, 0x7f800001
	v_cndmask_b32_e32 v20, v9, v8, vcc
; %bb.4490:                             ;   in Loop: Header=BB4_3353 Depth=3
	s_or_b64 exec, exec, s[70:71]
.LBB4_4491:                             ;   in Loop: Header=BB4_3353 Depth=3
	s_or_b64 exec, exec, s[68:69]
.LBB4_4492:                             ;   in Loop: Header=BB4_3353 Depth=3
	s_or_b64 exec, exec, s[30:31]
	v_max_f32_e32 v8, v20, v20
	v_max_f32_e32 v9, v17, v17
	v_min_f32_e32 v17, v9, v8
.LBB4_4493:                             ;   in Loop: Header=BB4_3353 Depth=3
	v_and_b32_sdwa v12, v17, s97 dst_sel:DWORD dst_unused:UNUSED_PAD src0_sel:BYTE_3 src1_sel:DWORD
	v_and_b32_e32 v8, 0x7f800000, v17
	v_mov_b32_e32 v9, v43
	v_and_b32_e32 v42, 0x7fffff, v17
	v_or_b32_e32 v18, 0x7b, v12
	v_cmp_ne_u64_e32 vcc, s[52:53], v[8:9]
	s_and_saveexec_b64 s[30:31], vcc
	s_xor_b64 s[68:69], exec, s[30:31]
	s_cbranch_execz .LBB4_4521
; %bb.4494:                             ;   in Loop: Header=BB4_3353 Depth=3
	v_and_b32_e32 v8, 0x7fffffff, v17
	v_mov_b32_e32 v9, v43
	v_cmp_gt_u64_e32 vcc, s[54:55], v[8:9]
	s_and_saveexec_b64 s[70:71], vcc
	s_cbranch_execz .LBB4_4502
; %bb.4495:                             ;   in Loop: Header=BB4_3353 Depth=3
	v_cmp_ne_u32_e32 vcc, 0, v17
	v_mov_b32_e32 v18, 0
	s_and_saveexec_b64 s[72:73], vcc
	s_cbranch_execz .LBB4_4501
; %bb.4496:                             ;   in Loop: Header=BB4_3353 Depth=3
	v_bfe_u32 v8, v17, 23, 8
	v_cmp_eq_u32_e32 vcc, 0, v8
	v_add_u32_e32 v9, 0xffffff81, v8
	v_cmp_gt_u32_e64 s[30:31], s38, v8
	v_sub_u32_e32 v8, 0x71, v8
	v_mov_b32_e32 v16, 0xffffff82
	v_cndmask_b32_e64 v8, 0, v8, s[30:31]
	v_cndmask_b32_e32 v18, v9, v16, vcc
	v_mov_b32_e32 v9, 0x70
	v_cndmask_b32_e32 v20, v8, v9, vcc
	v_add_u32_e32 v8, 21, v20
	v_or_b32_e32 v13, 0x800000, v42
	v_lshlrev_b64 v[8:9], v8, -1
	v_cndmask_b32_e32 v42, v13, v42, vcc
	v_not_b32_e32 v9, v9
	v_not_b32_e32 v8, v8
	v_add_u32_e32 v13, 20, v20
	v_and_b32_e32 v9, 0, v9
	v_and_b32_e32 v8, v42, v8
	v_lshlrev_b64 v[16:17], v13, 1
	v_cmp_eq_u64_e32 vcc, v[8:9], v[16:17]
	v_lshrrev_b64 v[8:9], v20, v[42:43]
	v_lshrrev_b32_e32 v13, 23, v8
	v_add3_u32 v17, v20, v18, v13
	v_bfe_u32 v13, v8, 21, 1
	v_add_u32_e32 v13, -1, v13
	v_cndmask_b32_e32 v13, 0, v13, vcc
	v_add_u32_e32 v13, v13, v8
	v_and_b32_e32 v13, 0x1fffff, v13
	v_add_co_u32_e32 v8, vcc, v13, v8
	v_add_u32_e32 v16, 14, v17
	v_addc_co_u32_e32 v9, vcc, 0, v9, vcc
	v_cmp_ne_u32_e32 vcc, 0, v16
                                        ; implicit-def: $vgpr13
	s_and_saveexec_b64 s[30:31], vcc
	s_xor_b64 s[30:31], exec, s[30:31]
; %bb.4497:                             ;   in Loop: Header=BB4_3353 Depth=3
	v_add_u32_e32 v13, 15, v17
	v_cmp_lt_u64_e32 vcc, s[56:57], v[8:9]
	v_cndmask_b32_e32 v13, v16, v13, vcc
	v_cndmask_b32_e64 v16, 0, 1, vcc
	v_lshrrev_b64 v[8:9], v16, v[8:9]
; %bb.4498:                             ;   in Loop: Header=BB4_3353 Depth=3
	s_andn2_saveexec_b64 vcc, s[30:31]
; %bb.4499:                             ;   in Loop: Header=BB4_3353 Depth=3
	v_bfe_u32 v13, v8, 23, 1
; %bb.4500:                             ;   in Loop: Header=BB4_3353 Depth=3
	s_or_b64 exec, exec, vcc
	v_lshrrev_b64 v[8:9], 21, v[8:9]
	v_cmp_gt_i32_e32 vcc, 32, v13
	v_cndmask_b32_e32 v9, 0, v9, vcc
	v_cndmask_b32_e32 v8, 3, v8, vcc
	v_cmp_eq_u64_e64 s[30:31], 0, v[8:9]
	v_min_i32_e32 v9, 31, v13
	v_lshlrev_b32_e32 v9, 2, v9
	v_cmp_eq_u32_e32 vcc, 0, v13
	v_and_b32_e32 v9, 0xfc, v9
	v_and_or_b32 v8, v8, 3, v9
	s_and_b64 vcc, vcc, s[30:31]
	v_cndmask_b32_e64 v8, v8, 0, vcc
	v_or_b32_e32 v18, v8, v12
.LBB4_4501:                             ;   in Loop: Header=BB4_3353 Depth=3
	s_or_b64 exec, exec, s[72:73]
.LBB4_4502:                             ;   in Loop: Header=BB4_3353 Depth=3
	s_or_b64 exec, exec, s[70:71]
                                        ; implicit-def: $vgpr17
	s_andn2_saveexec_b64 s[30:31], s[68:69]
	s_cbranch_execnz .LBB4_4522
.LBB4_4503:                             ;   in Loop: Header=BB4_3353 Depth=3
	s_or_b64 exec, exec, s[30:31]
	s_and_b64 vcc, exec, s[28:29]
	v_cmp_ne_u16_sdwa s[30:31], v14, v43 src0_sel:BYTE_0 src1_sel:DWORD
	s_cbranch_vccnz .LBB4_4523
.LBB4_4504:                             ;   in Loop: Header=BB4_3353 Depth=3
	v_mov_b32_e32 v9, 0
	v_mov_b32_e32 v8, 0
	s_and_saveexec_b64 s[68:69], s[30:31]
	s_cbranch_execz .LBB4_4512
; %bb.4505:                             ;   in Loop: Header=BB4_3353 Depth=3
	v_cmp_ne_u16_sdwa vcc, sext(v14), s94 src0_sel:BYTE_0 src1_sel:DWORD
	v_bfrev_b32_e32 v8, 1
	s_and_saveexec_b64 s[70:71], vcc
	s_cbranch_execz .LBB4_4511
; %bb.4506:                             ;   in Loop: Header=BB4_3353 Depth=3
	v_and_b32_e32 v8, 0x7c, v14
	v_and_b32_e32 v12, 3, v14
	v_cmp_ne_u32_e32 vcc, s95, v8
                                        ; implicit-def: $vgpr8
	s_and_saveexec_b64 s[72:73], vcc
	s_xor_b64 s[72:73], exec, s[72:73]
	s_cbranch_execz .LBB4_4508
; %bb.4507:                             ;   in Loop: Header=BB4_3353 Depth=3
	v_ffbh_u32_e32 v13, v12
	v_min_u32_e32 v13, 32, v13
	v_subrev_u32_e32 v16, 29, v13
	v_bfe_u32 v8, v14, 2, 5
	v_lshlrev_b64 v[16:17], v16, v[14:15]
	v_sub_u32_e32 v13, 30, v13
	v_and_b32_e32 v16, 3, v16
	v_cmp_eq_u32_e32 vcc, 0, v8
	v_cndmask_b32_e32 v8, v8, v13, vcc
	v_cndmask_b32_e32 v12, v12, v16, vcc
	v_bfrev_b32_e32 v16, 28
	v_lshlrev_b32_e32 v13, 24, v14
	v_lshl_add_u32 v8, v8, 23, v16
	v_and_or_b32 v8, v13, s96, v8
	v_lshl_or_b32 v8, v12, 21, v8
                                        ; implicit-def: $vgpr12
.LBB4_4508:                             ;   in Loop: Header=BB4_3353 Depth=3
	s_andn2_saveexec_b64 s[72:73], s[72:73]
; %bb.4509:                             ;   in Loop: Header=BB4_3353 Depth=3
	v_mov_b32_e32 v8, -1
	v_cmp_gt_i16_sdwa vcc, sext(v14), v8 src0_sel:BYTE_0 src1_sel:DWORD
	v_cndmask_b32_e32 v8, v6, v1, vcc
	v_cmp_eq_u32_e32 vcc, 0, v12
	v_mov_b32_e32 v12, 0x7f800001
	v_cndmask_b32_e32 v8, v12, v8, vcc
; %bb.4510:                             ;   in Loop: Header=BB4_3353 Depth=3
	s_or_b64 exec, exec, s[72:73]
.LBB4_4511:                             ;   in Loop: Header=BB4_3353 Depth=3
	s_or_b64 exec, exec, s[70:71]
.LBB4_4512:                             ;   in Loop: Header=BB4_3353 Depth=3
	s_or_b64 exec, exec, s[68:69]
	v_cmp_ne_u16_sdwa vcc, sext(v10), v43 src0_sel:BYTE_0 src1_sel:DWORD
	s_and_saveexec_b64 s[68:69], vcc
	s_cbranch_execz .LBB4_4520
; %bb.4513:                             ;   in Loop: Header=BB4_3353 Depth=3
	v_cmp_ne_u16_sdwa vcc, sext(v10), s94 src0_sel:BYTE_0 src1_sel:DWORD
	v_bfrev_b32_e32 v9, 1
	s_and_saveexec_b64 s[70:71], vcc
	s_cbranch_execz .LBB4_4519
; %bb.4514:                             ;   in Loop: Header=BB4_3353 Depth=3
	v_and_b32_e32 v9, 0x7c, v10
	v_and_b32_e32 v12, 3, v10
	v_cmp_ne_u32_e32 vcc, s95, v9
                                        ; implicit-def: $vgpr9
	s_and_saveexec_b64 s[72:73], vcc
	s_xor_b64 s[72:73], exec, s[72:73]
	s_cbranch_execz .LBB4_4516
; %bb.4515:                             ;   in Loop: Header=BB4_3353 Depth=3
	v_ffbh_u32_e32 v13, v12
	v_min_u32_e32 v13, 32, v13
	v_subrev_u32_e32 v16, 29, v13
	v_bfe_u32 v9, v10, 2, 5
	v_lshlrev_b64 v[16:17], v16, v[10:11]
	v_sub_u32_e32 v13, 30, v13
	v_and_b32_e32 v16, 3, v16
	v_cmp_eq_u32_e32 vcc, 0, v9
	v_cndmask_b32_e32 v9, v9, v13, vcc
	v_cndmask_b32_e32 v12, v12, v16, vcc
	v_bfrev_b32_e32 v16, 28
	v_lshlrev_b32_e32 v13, 24, v10
	v_lshl_add_u32 v9, v9, 23, v16
	v_and_or_b32 v9, v13, s96, v9
	v_lshl_or_b32 v9, v12, 21, v9
                                        ; implicit-def: $vgpr12
.LBB4_4516:                             ;   in Loop: Header=BB4_3353 Depth=3
	s_andn2_saveexec_b64 s[72:73], s[72:73]
; %bb.4517:                             ;   in Loop: Header=BB4_3353 Depth=3
	v_mov_b32_e32 v9, -1
	v_cmp_gt_i16_sdwa vcc, sext(v10), v9 src0_sel:BYTE_0 src1_sel:DWORD
	v_cndmask_b32_e32 v9, v6, v1, vcc
	v_cmp_eq_u32_e32 vcc, 0, v12
	v_mov_b32_e32 v12, 0x7f800001
	v_cndmask_b32_e32 v9, v12, v9, vcc
; %bb.4518:                             ;   in Loop: Header=BB4_3353 Depth=3
	s_or_b64 exec, exec, s[72:73]
.LBB4_4519:                             ;   in Loop: Header=BB4_3353 Depth=3
	s_or_b64 exec, exec, s[70:71]
.LBB4_4520:                             ;   in Loop: Header=BB4_3353 Depth=3
	s_or_b64 exec, exec, s[68:69]
	v_max_f32_e32 v9, v9, v9
	v_max_f32_e32 v8, v8, v8
	;; [unrolled: 1-line block ×3, first 2 shown]
	s_branch .LBB4_4541
.LBB4_4521:                             ;   in Loop: Header=BB4_3353 Depth=3
	s_andn2_saveexec_b64 s[30:31], s[68:69]
	s_cbranch_execz .LBB4_4503
.LBB4_4522:                             ;   in Loop: Header=BB4_3353 Depth=3
	v_or_b32_sdwa v8, v17, s39 dst_sel:DWORD dst_unused:UNUSED_PAD src0_sel:BYTE_3 src1_sel:DWORD
	v_cmp_eq_u64_e32 vcc, 0, v[42:43]
	v_cndmask_b32_e32 v18, v8, v18, vcc
	s_or_b64 exec, exec, s[30:31]
	s_and_b64 vcc, exec, s[28:29]
	v_cmp_ne_u16_sdwa s[30:31], v14, v43 src0_sel:BYTE_0 src1_sel:DWORD
	s_cbranch_vccz .LBB4_4504
.LBB4_4523:                             ;   in Loop: Header=BB4_3353 Depth=3
                                        ; implicit-def: $vgpr8
	s_cbranch_execz .LBB4_4541
; %bb.4524:                             ;   in Loop: Header=BB4_3353 Depth=3
	v_mov_b32_e32 v9, 0
	v_mov_b32_e32 v8, 0
	s_and_saveexec_b64 s[68:69], s[30:31]
	s_cbranch_execz .LBB4_4532
; %bb.4525:                             ;   in Loop: Header=BB4_3353 Depth=3
	v_cmp_ne_u16_sdwa vcc, sext(v14), s94 src0_sel:BYTE_0 src1_sel:DWORD
	v_bfrev_b32_e32 v8, 1
	s_and_saveexec_b64 s[30:31], vcc
	s_cbranch_execz .LBB4_4531
; %bb.4526:                             ;   in Loop: Header=BB4_3353 Depth=3
	v_and_b32_e32 v8, 0x7c, v14
	v_and_b32_e32 v12, 3, v14
	v_cmp_ne_u32_e32 vcc, s95, v8
                                        ; implicit-def: $vgpr8
	s_and_saveexec_b64 s[70:71], vcc
	s_xor_b64 s[70:71], exec, s[70:71]
	s_cbranch_execz .LBB4_4528
; %bb.4527:                             ;   in Loop: Header=BB4_3353 Depth=3
	v_ffbh_u32_e32 v13, v12
	v_min_u32_e32 v13, 32, v13
	v_subrev_u32_e32 v16, 29, v13
	v_bfe_u32 v8, v14, 2, 5
	v_lshlrev_b64 v[16:17], v16, v[14:15]
	v_sub_u32_e32 v13, 30, v13
	v_and_b32_e32 v16, 3, v16
	v_cmp_eq_u32_e32 vcc, 0, v8
	v_cndmask_b32_e32 v8, v8, v13, vcc
	v_cndmask_b32_e32 v12, v12, v16, vcc
	v_bfrev_b32_e32 v16, 28
	v_lshlrev_b32_e32 v13, 24, v14
	v_lshl_add_u32 v8, v8, 23, v16
	v_and_or_b32 v8, v13, s96, v8
	v_lshl_or_b32 v8, v12, 21, v8
                                        ; implicit-def: $vgpr12
.LBB4_4528:                             ;   in Loop: Header=BB4_3353 Depth=3
	s_andn2_saveexec_b64 s[70:71], s[70:71]
; %bb.4529:                             ;   in Loop: Header=BB4_3353 Depth=3
	v_mov_b32_e32 v8, -1
	v_cmp_gt_i16_sdwa vcc, sext(v14), v8 src0_sel:BYTE_0 src1_sel:DWORD
	v_cndmask_b32_e32 v8, v6, v1, vcc
	v_cmp_eq_u32_e32 vcc, 0, v12
	v_mov_b32_e32 v12, 0x7f800001
	v_cndmask_b32_e32 v8, v12, v8, vcc
; %bb.4530:                             ;   in Loop: Header=BB4_3353 Depth=3
	s_or_b64 exec, exec, s[70:71]
.LBB4_4531:                             ;   in Loop: Header=BB4_3353 Depth=3
	s_or_b64 exec, exec, s[30:31]
.LBB4_4532:                             ;   in Loop: Header=BB4_3353 Depth=3
	s_or_b64 exec, exec, s[68:69]
	v_cmp_ne_u16_sdwa vcc, sext(v10), v43 src0_sel:BYTE_0 src1_sel:DWORD
	s_and_saveexec_b64 s[30:31], vcc
	s_cbranch_execz .LBB4_4540
; %bb.4533:                             ;   in Loop: Header=BB4_3353 Depth=3
	v_cmp_ne_u16_sdwa vcc, sext(v10), s94 src0_sel:BYTE_0 src1_sel:DWORD
	v_bfrev_b32_e32 v9, 1
	s_and_saveexec_b64 s[68:69], vcc
	s_cbranch_execz .LBB4_4539
; %bb.4534:                             ;   in Loop: Header=BB4_3353 Depth=3
	v_and_b32_e32 v9, 0x7c, v10
	v_and_b32_e32 v12, 3, v10
	v_cmp_ne_u32_e32 vcc, s95, v9
                                        ; implicit-def: $vgpr9
	s_and_saveexec_b64 s[70:71], vcc
	s_xor_b64 s[70:71], exec, s[70:71]
	s_cbranch_execz .LBB4_4536
; %bb.4535:                             ;   in Loop: Header=BB4_3353 Depth=3
	v_ffbh_u32_e32 v13, v12
	v_min_u32_e32 v13, 32, v13
	v_subrev_u32_e32 v16, 29, v13
	v_bfe_u32 v9, v10, 2, 5
	v_lshlrev_b64 v[16:17], v16, v[10:11]
	v_sub_u32_e32 v13, 30, v13
	v_and_b32_e32 v16, 3, v16
	v_cmp_eq_u32_e32 vcc, 0, v9
	v_cndmask_b32_e32 v9, v9, v13, vcc
	v_cndmask_b32_e32 v12, v12, v16, vcc
	v_bfrev_b32_e32 v16, 28
	v_lshlrev_b32_e32 v13, 24, v10
	v_lshl_add_u32 v9, v9, 23, v16
	v_and_or_b32 v9, v13, s96, v9
	v_lshl_or_b32 v9, v12, 21, v9
                                        ; implicit-def: $vgpr12
.LBB4_4536:                             ;   in Loop: Header=BB4_3353 Depth=3
	s_andn2_saveexec_b64 s[70:71], s[70:71]
; %bb.4537:                             ;   in Loop: Header=BB4_3353 Depth=3
	v_mov_b32_e32 v9, -1
	v_cmp_gt_i16_sdwa vcc, sext(v10), v9 src0_sel:BYTE_0 src1_sel:DWORD
	v_cndmask_b32_e32 v9, v6, v1, vcc
	v_cmp_eq_u32_e32 vcc, 0, v12
	v_mov_b32_e32 v12, 0x7f800001
	v_cndmask_b32_e32 v9, v12, v9, vcc
; %bb.4538:                             ;   in Loop: Header=BB4_3353 Depth=3
	s_or_b64 exec, exec, s[70:71]
.LBB4_4539:                             ;   in Loop: Header=BB4_3353 Depth=3
	s_or_b64 exec, exec, s[68:69]
.LBB4_4540:                             ;   in Loop: Header=BB4_3353 Depth=3
	s_or_b64 exec, exec, s[30:31]
	v_max_f32_e32 v9, v9, v9
	v_max_f32_e32 v8, v8, v8
	v_min_f32_e32 v8, v8, v9
.LBB4_4541:                             ;   in Loop: Header=BB4_3353 Depth=3
	v_and_b32_sdwa v12, v8, s97 dst_sel:DWORD dst_unused:UNUSED_PAD src0_sel:BYTE_3 src1_sel:DWORD
	v_and_b32_e32 v16, 0x7f800000, v8
	v_mov_b32_e32 v17, v43
	v_and_b32_e32 v42, 0x7fffff, v8
	v_or_b32_e32 v20, 0x7b, v12
	v_cmp_ne_u64_e32 vcc, s[52:53], v[16:17]
	s_and_saveexec_b64 s[30:31], vcc
	s_xor_b64 s[68:69], exec, s[30:31]
	s_cbranch_execz .LBB4_4551
; %bb.4542:                             ;   in Loop: Header=BB4_3353 Depth=3
	v_and_b32_e32 v16, 0x7fffffff, v8
	v_mov_b32_e32 v17, v43
	v_cmp_gt_u64_e32 vcc, s[54:55], v[16:17]
	s_and_saveexec_b64 s[70:71], vcc
	s_cbranch_execz .LBB4_4550
; %bb.4543:                             ;   in Loop: Header=BB4_3353 Depth=3
	v_cmp_ne_u32_e32 vcc, 0, v8
	v_mov_b32_e32 v20, 0
	s_and_saveexec_b64 s[72:73], vcc
	s_cbranch_execz .LBB4_4549
; %bb.4544:                             ;   in Loop: Header=BB4_3353 Depth=3
	v_bfe_u32 v8, v8, 23, 8
	v_cmp_eq_u32_e32 vcc, 0, v8
	v_add_u32_e32 v9, 0xffffff81, v8
	v_cmp_gt_u32_e64 s[30:31], s38, v8
	v_sub_u32_e32 v8, 0x71, v8
	v_mov_b32_e32 v16, 0xffffff82
	v_cndmask_b32_e64 v8, 0, v8, s[30:31]
	v_cndmask_b32_e32 v20, v9, v16, vcc
	v_mov_b32_e32 v9, 0x70
	v_cndmask_b32_e32 v21, v8, v9, vcc
	v_add_u32_e32 v8, 21, v21
	v_or_b32_e32 v13, 0x800000, v42
	v_lshlrev_b64 v[8:9], v8, -1
	v_cndmask_b32_e32 v42, v13, v42, vcc
	v_not_b32_e32 v9, v9
	v_not_b32_e32 v8, v8
	v_add_u32_e32 v13, 20, v21
	v_and_b32_e32 v9, 0, v9
	v_and_b32_e32 v8, v42, v8
	v_lshlrev_b64 v[16:17], v13, 1
	v_cmp_eq_u64_e32 vcc, v[8:9], v[16:17]
	v_lshrrev_b64 v[8:9], v21, v[42:43]
	v_lshrrev_b32_e32 v13, 23, v8
	v_add3_u32 v17, v21, v20, v13
	v_bfe_u32 v13, v8, 21, 1
	v_add_u32_e32 v13, -1, v13
	v_cndmask_b32_e32 v13, 0, v13, vcc
	v_add_u32_e32 v13, v13, v8
	v_and_b32_e32 v13, 0x1fffff, v13
	v_add_co_u32_e32 v8, vcc, v13, v8
	v_add_u32_e32 v16, 14, v17
	v_addc_co_u32_e32 v9, vcc, 0, v9, vcc
	v_cmp_ne_u32_e32 vcc, 0, v16
                                        ; implicit-def: $vgpr13
	s_and_saveexec_b64 s[30:31], vcc
	s_xor_b64 s[30:31], exec, s[30:31]
; %bb.4545:                             ;   in Loop: Header=BB4_3353 Depth=3
	v_add_u32_e32 v13, 15, v17
	v_cmp_lt_u64_e32 vcc, s[56:57], v[8:9]
	v_cndmask_b32_e32 v13, v16, v13, vcc
	v_cndmask_b32_e64 v16, 0, 1, vcc
	v_lshrrev_b64 v[8:9], v16, v[8:9]
; %bb.4546:                             ;   in Loop: Header=BB4_3353 Depth=3
	s_andn2_saveexec_b64 vcc, s[30:31]
; %bb.4547:                             ;   in Loop: Header=BB4_3353 Depth=3
	v_bfe_u32 v13, v8, 23, 1
; %bb.4548:                             ;   in Loop: Header=BB4_3353 Depth=3
	s_or_b64 exec, exec, vcc
	v_lshrrev_b64 v[8:9], 21, v[8:9]
	v_cmp_gt_i32_e32 vcc, 32, v13
	v_cndmask_b32_e32 v9, 0, v9, vcc
	v_cndmask_b32_e32 v8, 3, v8, vcc
	v_cmp_eq_u64_e64 s[30:31], 0, v[8:9]
	v_min_i32_e32 v9, 31, v13
	v_cmp_eq_u32_e32 vcc, 0, v13
	v_lshlrev_b32_e32 v9, 2, v9
	v_and_or_b32 v8, v8, 3, v9
	s_and_b64 vcc, vcc, s[30:31]
	v_cndmask_b32_e64 v8, v8, 0, vcc
	v_or_b32_e32 v20, v8, v12
.LBB4_4549:                             ;   in Loop: Header=BB4_3353 Depth=3
	s_or_b64 exec, exec, s[72:73]
.LBB4_4550:                             ;   in Loop: Header=BB4_3353 Depth=3
	s_or_b64 exec, exec, s[70:71]
                                        ; implicit-def: $vgpr8
.LBB4_4551:                             ;   in Loop: Header=BB4_3353 Depth=3
	s_andn2_saveexec_b64 s[30:31], s[68:69]
; %bb.4552:                             ;   in Loop: Header=BB4_3353 Depth=3
	v_or_b32_sdwa v8, v8, s39 dst_sel:DWORD dst_unused:UNUSED_PAD src0_sel:BYTE_3 src1_sel:DWORD
	v_cmp_eq_u64_e32 vcc, 0, v[42:43]
	v_cndmask_b32_e32 v20, v8, v20, vcc
; %bb.4553:                             ;   in Loop: Header=BB4_3353 Depth=3
	s_or_b64 exec, exec, s[30:31]
	v_lshrrev_b16_e32 v42, 8, v14
	v_lshrrev_b16_e32 v8, 8, v10
	s_and_b64 vcc, exec, s[28:29]
	v_cmp_ne_u16_e64 s[30:31], 0, v42
	s_cbranch_vccnz .LBB4_4571
; %bb.4554:                             ;   in Loop: Header=BB4_3353 Depth=3
	v_mov_b32_e32 v9, 0
	v_mov_b32_e32 v12, 0
	s_and_saveexec_b64 s[68:69], s[30:31]
	s_cbranch_execz .LBB4_4562
; %bb.4555:                             ;   in Loop: Header=BB4_3353 Depth=3
	v_cmp_ne_u16_e32 vcc, s97, v42
	v_bfrev_b32_e32 v12, 1
	s_and_saveexec_b64 s[70:71], vcc
	s_cbranch_execz .LBB4_4561
; %bb.4556:                             ;   in Loop: Header=BB4_3353 Depth=3
	v_and_b32_e32 v12, 0x7c, v42
	v_and_b32_e32 v13, 3, v42
	v_cmp_ne_u32_e32 vcc, s95, v12
                                        ; implicit-def: $vgpr12
	s_and_saveexec_b64 s[72:73], vcc
	s_xor_b64 s[72:73], exec, s[72:73]
	s_cbranch_execz .LBB4_4558
; %bb.4557:                             ;   in Loop: Header=BB4_3353 Depth=3
	v_ffbh_u32_e32 v16, v13
	v_min_u32_e32 v21, 32, v16
	v_subrev_u32_e32 v16, 29, v21
	v_bfe_u32 v12, v42, 2, 5
	v_lshlrev_b64 v[16:17], v16, v[42:43]
	v_sub_u32_e32 v17, 30, v21
	v_cmp_eq_u32_e32 vcc, 0, v12
	v_and_b32_e32 v16, 3, v16
	v_cndmask_b32_e32 v12, v12, v17, vcc
	v_bfrev_b32_e32 v17, 28
	v_cndmask_b32_e32 v13, v13, v16, vcc
	v_lshlrev_b32_e32 v16, 16, v14
	v_lshl_add_u32 v12, v12, 23, v17
	v_and_or_b32 v12, v16, s96, v12
	v_lshl_or_b32 v12, v13, 21, v12
                                        ; implicit-def: $vgpr13
.LBB4_4558:                             ;   in Loop: Header=BB4_3353 Depth=3
	s_andn2_saveexec_b64 s[72:73], s[72:73]
; %bb.4559:                             ;   in Loop: Header=BB4_3353 Depth=3
	v_cmp_lt_i16_e32 vcc, -1, v14
	v_cndmask_b32_e32 v12, v6, v1, vcc
	v_cmp_eq_u32_e32 vcc, 0, v13
	v_mov_b32_e32 v13, 0x7f800001
	v_cndmask_b32_e32 v12, v13, v12, vcc
; %bb.4560:                             ;   in Loop: Header=BB4_3353 Depth=3
	s_or_b64 exec, exec, s[72:73]
.LBB4_4561:                             ;   in Loop: Header=BB4_3353 Depth=3
	s_or_b64 exec, exec, s[70:71]
.LBB4_4562:                             ;   in Loop: Header=BB4_3353 Depth=3
	s_or_b64 exec, exec, s[68:69]
	v_cmp_ne_u16_e32 vcc, 0, v8
	s_and_saveexec_b64 s[68:69], vcc
	s_cbranch_execz .LBB4_4570
; %bb.4563:                             ;   in Loop: Header=BB4_3353 Depth=3
	v_cmp_ne_u16_e32 vcc, s97, v8
	v_bfrev_b32_e32 v9, 1
	s_and_saveexec_b64 s[70:71], vcc
	s_cbranch_execz .LBB4_4569
; %bb.4564:                             ;   in Loop: Header=BB4_3353 Depth=3
	v_and_b32_e32 v9, 0x7c, v8
	v_and_b32_e32 v13, 3, v8
	v_cmp_ne_u32_e32 vcc, s95, v9
                                        ; implicit-def: $vgpr9
	s_and_saveexec_b64 s[72:73], vcc
	s_xor_b64 s[72:73], exec, s[72:73]
	s_cbranch_execz .LBB4_4566
; %bb.4565:                             ;   in Loop: Header=BB4_3353 Depth=3
	v_ffbh_u32_e32 v16, v13
	v_min_u32_e32 v32, 32, v16
	v_mov_b32_e32 v9, v43
	v_bfe_u32 v21, v8, 2, 5
	v_subrev_u32_e32 v16, 29, v32
	v_lshlrev_b64 v[16:17], v16, v[8:9]
	v_sub_u32_e32 v9, 30, v32
	v_cmp_eq_u32_e32 vcc, 0, v21
	v_and_b32_e32 v16, 3, v16
	v_cndmask_b32_e32 v9, v21, v9, vcc
	v_bfrev_b32_e32 v17, 28
	v_cndmask_b32_e32 v13, v13, v16, vcc
	v_lshlrev_b32_e32 v16, 16, v10
	v_lshl_add_u32 v9, v9, 23, v17
	v_and_or_b32 v9, v16, s96, v9
	v_lshl_or_b32 v9, v13, 21, v9
                                        ; implicit-def: $vgpr13
.LBB4_4566:                             ;   in Loop: Header=BB4_3353 Depth=3
	s_andn2_saveexec_b64 s[72:73], s[72:73]
; %bb.4567:                             ;   in Loop: Header=BB4_3353 Depth=3
	v_cmp_lt_i16_e32 vcc, -1, v10
	v_cndmask_b32_e32 v9, v6, v1, vcc
	v_cmp_eq_u32_e32 vcc, 0, v13
	v_mov_b32_e32 v13, 0x7f800001
	v_cndmask_b32_e32 v9, v13, v9, vcc
; %bb.4568:                             ;   in Loop: Header=BB4_3353 Depth=3
	s_or_b64 exec, exec, s[72:73]
.LBB4_4569:                             ;   in Loop: Header=BB4_3353 Depth=3
	s_or_b64 exec, exec, s[70:71]
.LBB4_4570:                             ;   in Loop: Header=BB4_3353 Depth=3
	s_or_b64 exec, exec, s[68:69]
	v_max_f32_e32 v9, v9, v9
	v_max_f32_e32 v12, v12, v12
	;; [unrolled: 1-line block ×3, first 2 shown]
	s_branch .LBB4_4589
.LBB4_4571:                             ;   in Loop: Header=BB4_3353 Depth=3
                                        ; implicit-def: $vgpr9
	s_cbranch_execz .LBB4_4589
; %bb.4572:                             ;   in Loop: Header=BB4_3353 Depth=3
	v_mov_b32_e32 v9, 0
	v_mov_b32_e32 v12, 0
	s_and_saveexec_b64 s[68:69], s[30:31]
	s_cbranch_execz .LBB4_4580
; %bb.4573:                             ;   in Loop: Header=BB4_3353 Depth=3
	v_cmp_ne_u16_e32 vcc, s97, v42
	v_bfrev_b32_e32 v12, 1
	s_and_saveexec_b64 s[30:31], vcc
	s_cbranch_execz .LBB4_4579
; %bb.4574:                             ;   in Loop: Header=BB4_3353 Depth=3
	v_and_b32_e32 v12, 0x7c, v42
	v_and_b32_e32 v13, 3, v42
	v_cmp_ne_u32_e32 vcc, s95, v12
                                        ; implicit-def: $vgpr12
	s_and_saveexec_b64 s[70:71], vcc
	s_xor_b64 s[70:71], exec, s[70:71]
	s_cbranch_execz .LBB4_4576
; %bb.4575:                             ;   in Loop: Header=BB4_3353 Depth=3
	v_ffbh_u32_e32 v16, v13
	v_min_u32_e32 v21, 32, v16
	v_subrev_u32_e32 v16, 29, v21
	v_bfe_u32 v12, v42, 2, 5
	v_lshlrev_b64 v[16:17], v16, v[42:43]
	v_sub_u32_e32 v17, 30, v21
	v_cmp_eq_u32_e32 vcc, 0, v12
	v_and_b32_e32 v16, 3, v16
	v_cndmask_b32_e32 v12, v12, v17, vcc
	v_bfrev_b32_e32 v17, 28
	v_cndmask_b32_e32 v13, v13, v16, vcc
	v_lshlrev_b32_e32 v16, 16, v14
	v_lshl_add_u32 v12, v12, 23, v17
	v_and_or_b32 v12, v16, s96, v12
	v_lshl_or_b32 v12, v13, 21, v12
                                        ; implicit-def: $vgpr13
.LBB4_4576:                             ;   in Loop: Header=BB4_3353 Depth=3
	s_andn2_saveexec_b64 s[70:71], s[70:71]
; %bb.4577:                             ;   in Loop: Header=BB4_3353 Depth=3
	v_cmp_lt_i16_e32 vcc, -1, v14
	v_cndmask_b32_e32 v12, v6, v1, vcc
	v_cmp_eq_u32_e32 vcc, 0, v13
	v_mov_b32_e32 v13, 0x7f800001
	v_cndmask_b32_e32 v12, v13, v12, vcc
; %bb.4578:                             ;   in Loop: Header=BB4_3353 Depth=3
	s_or_b64 exec, exec, s[70:71]
.LBB4_4579:                             ;   in Loop: Header=BB4_3353 Depth=3
	s_or_b64 exec, exec, s[30:31]
.LBB4_4580:                             ;   in Loop: Header=BB4_3353 Depth=3
	s_or_b64 exec, exec, s[68:69]
	v_cmp_ne_u16_e32 vcc, 0, v8
	s_and_saveexec_b64 s[30:31], vcc
	s_cbranch_execz .LBB4_4588
; %bb.4581:                             ;   in Loop: Header=BB4_3353 Depth=3
	v_cmp_ne_u16_e32 vcc, s97, v8
	v_bfrev_b32_e32 v9, 1
	s_and_saveexec_b64 s[68:69], vcc
	s_cbranch_execz .LBB4_4587
; %bb.4582:                             ;   in Loop: Header=BB4_3353 Depth=3
	v_and_b32_e32 v9, 0x7c, v8
	v_and_b32_e32 v13, 3, v8
	v_cmp_ne_u32_e32 vcc, s95, v9
                                        ; implicit-def: $vgpr9
	s_and_saveexec_b64 s[70:71], vcc
	s_xor_b64 s[70:71], exec, s[70:71]
	s_cbranch_execz .LBB4_4584
; %bb.4583:                             ;   in Loop: Header=BB4_3353 Depth=3
	v_ffbh_u32_e32 v17, v13
	v_min_u32_e32 v17, 32, v17
	v_mov_b32_e32 v9, v43
	v_subrev_u32_e32 v21, 29, v17
	v_bfe_u32 v16, v8, 2, 5
	v_lshlrev_b64 v[8:9], v21, v[8:9]
	v_sub_u32_e32 v9, 30, v17
	v_cmp_eq_u32_e32 vcc, 0, v16
	v_and_b32_e32 v8, 3, v8
	v_cndmask_b32_e32 v9, v16, v9, vcc
	v_bfrev_b32_e32 v16, 28
	v_cndmask_b32_e32 v8, v13, v8, vcc
	v_lshlrev_b32_e32 v13, 16, v10
	v_lshl_add_u32 v9, v9, 23, v16
	v_and_or_b32 v9, v13, s96, v9
	v_lshl_or_b32 v9, v8, 21, v9
                                        ; implicit-def: $vgpr13
.LBB4_4584:                             ;   in Loop: Header=BB4_3353 Depth=3
	s_andn2_saveexec_b64 s[70:71], s[70:71]
; %bb.4585:                             ;   in Loop: Header=BB4_3353 Depth=3
	v_cmp_lt_i16_e32 vcc, -1, v10
	v_cndmask_b32_e32 v8, v6, v1, vcc
	v_cmp_eq_u32_e32 vcc, 0, v13
	v_mov_b32_e32 v9, 0x7f800001
	v_cndmask_b32_e32 v9, v9, v8, vcc
; %bb.4586:                             ;   in Loop: Header=BB4_3353 Depth=3
	s_or_b64 exec, exec, s[70:71]
.LBB4_4587:                             ;   in Loop: Header=BB4_3353 Depth=3
	s_or_b64 exec, exec, s[68:69]
.LBB4_4588:                             ;   in Loop: Header=BB4_3353 Depth=3
	s_or_b64 exec, exec, s[30:31]
	v_max_f32_e32 v8, v9, v9
	v_max_f32_e32 v9, v12, v12
	v_min_f32_e32 v9, v9, v8
.LBB4_4589:                             ;   in Loop: Header=BB4_3353 Depth=3
	v_and_b32_sdwa v12, v9, s97 dst_sel:DWORD dst_unused:UNUSED_PAD src0_sel:BYTE_3 src1_sel:DWORD
	v_and_b32_e32 v16, 0x7f800000, v9
	v_mov_b32_e32 v17, v43
	v_and_b32_e32 v42, 0x7fffff, v9
	v_or_b32_e32 v21, 0x7b, v12
	v_cmp_ne_u64_e32 vcc, s[52:53], v[16:17]
	s_and_saveexec_b64 s[30:31], vcc
	s_xor_b64 s[68:69], exec, s[30:31]
	s_cbranch_execz .LBB4_4599
; %bb.4590:                             ;   in Loop: Header=BB4_3353 Depth=3
	v_and_b32_e32 v16, 0x7fffffff, v9
	v_mov_b32_e32 v17, v43
	v_cmp_gt_u64_e32 vcc, s[54:55], v[16:17]
	s_and_saveexec_b64 s[70:71], vcc
	s_cbranch_execz .LBB4_4598
; %bb.4591:                             ;   in Loop: Header=BB4_3353 Depth=3
	v_cmp_ne_u32_e32 vcc, 0, v9
	v_mov_b32_e32 v21, 0
	s_and_saveexec_b64 s[72:73], vcc
	s_cbranch_execz .LBB4_4597
; %bb.4592:                             ;   in Loop: Header=BB4_3353 Depth=3
	v_bfe_u32 v8, v9, 23, 8
	v_cmp_eq_u32_e32 vcc, 0, v8
	v_add_u32_e32 v9, 0xffffff81, v8
	v_cmp_gt_u32_e64 s[30:31], s38, v8
	v_sub_u32_e32 v8, 0x71, v8
	v_mov_b32_e32 v16, 0xffffff82
	v_cndmask_b32_e64 v8, 0, v8, s[30:31]
	v_cndmask_b32_e32 v21, v9, v16, vcc
	v_mov_b32_e32 v9, 0x70
	v_cndmask_b32_e32 v32, v8, v9, vcc
	v_add_u32_e32 v8, 21, v32
	v_or_b32_e32 v13, 0x800000, v42
	v_lshlrev_b64 v[8:9], v8, -1
	v_cndmask_b32_e32 v42, v13, v42, vcc
	v_not_b32_e32 v9, v9
	v_not_b32_e32 v8, v8
	v_add_u32_e32 v13, 20, v32
	v_and_b32_e32 v9, 0, v9
	v_and_b32_e32 v8, v42, v8
	v_lshlrev_b64 v[16:17], v13, 1
	v_cmp_eq_u64_e32 vcc, v[8:9], v[16:17]
	v_lshrrev_b64 v[8:9], v32, v[42:43]
	v_lshrrev_b32_e32 v13, 23, v8
	v_add3_u32 v17, v32, v21, v13
	v_bfe_u32 v13, v8, 21, 1
	v_add_u32_e32 v13, -1, v13
	v_cndmask_b32_e32 v13, 0, v13, vcc
	v_add_u32_e32 v13, v13, v8
	v_and_b32_e32 v13, 0x1fffff, v13
	v_add_co_u32_e32 v8, vcc, v13, v8
	v_add_u32_e32 v16, 14, v17
	v_addc_co_u32_e32 v9, vcc, 0, v9, vcc
	v_cmp_ne_u32_e32 vcc, 0, v16
                                        ; implicit-def: $vgpr13
	s_and_saveexec_b64 s[30:31], vcc
	s_xor_b64 s[30:31], exec, s[30:31]
; %bb.4593:                             ;   in Loop: Header=BB4_3353 Depth=3
	v_add_u32_e32 v13, 15, v17
	v_cmp_lt_u64_e32 vcc, s[56:57], v[8:9]
	v_cndmask_b32_e32 v13, v16, v13, vcc
	v_cndmask_b32_e64 v16, 0, 1, vcc
	v_lshrrev_b64 v[8:9], v16, v[8:9]
; %bb.4594:                             ;   in Loop: Header=BB4_3353 Depth=3
	s_andn2_saveexec_b64 vcc, s[30:31]
; %bb.4595:                             ;   in Loop: Header=BB4_3353 Depth=3
	v_bfe_u32 v13, v8, 23, 1
; %bb.4596:                             ;   in Loop: Header=BB4_3353 Depth=3
	s_or_b64 exec, exec, vcc
	v_lshrrev_b64 v[8:9], 21, v[8:9]
	v_cmp_gt_i32_e32 vcc, 32, v13
	v_cndmask_b32_e32 v9, 0, v9, vcc
	v_cndmask_b32_e32 v8, 3, v8, vcc
	v_cmp_eq_u64_e64 s[30:31], 0, v[8:9]
	v_min_i32_e32 v9, 31, v13
	v_cmp_eq_u32_e32 vcc, 0, v13
	v_lshlrev_b32_e32 v9, 2, v9
	v_and_or_b32 v8, v8, 3, v9
	s_and_b64 vcc, vcc, s[30:31]
	v_cndmask_b32_e64 v8, v8, 0, vcc
	v_or_b32_e32 v21, v8, v12
.LBB4_4597:                             ;   in Loop: Header=BB4_3353 Depth=3
	s_or_b64 exec, exec, s[72:73]
.LBB4_4598:                             ;   in Loop: Header=BB4_3353 Depth=3
	s_or_b64 exec, exec, s[70:71]
                                        ; implicit-def: $vgpr9
.LBB4_4599:                             ;   in Loop: Header=BB4_3353 Depth=3
	s_andn2_saveexec_b64 s[30:31], s[68:69]
; %bb.4600:                             ;   in Loop: Header=BB4_3353 Depth=3
	v_or_b32_sdwa v8, v9, s39 dst_sel:DWORD dst_unused:UNUSED_PAD src0_sel:BYTE_3 src1_sel:DWORD
	v_cmp_eq_u64_e32 vcc, 0, v[42:43]
	v_cndmask_b32_e32 v21, v8, v21, vcc
; %bb.4601:                             ;   in Loop: Header=BB4_3353 Depth=3
	s_or_b64 exec, exec, s[30:31]
	v_lshrrev_b32_e32 v12, 16, v14
	v_lshrrev_b32_e32 v8, 16, v10
	s_and_b64 vcc, exec, s[28:29]
	v_cmp_ne_u16_sdwa s[30:31], v12, v43 src0_sel:BYTE_0 src1_sel:DWORD
	s_cbranch_vccnz .LBB4_4619
; %bb.4602:                             ;   in Loop: Header=BB4_3353 Depth=3
	v_mov_b32_e32 v13, 0
	v_mov_b32_e32 v9, 0
	s_and_saveexec_b64 s[68:69], s[30:31]
	s_cbranch_execz .LBB4_4610
; %bb.4603:                             ;   in Loop: Header=BB4_3353 Depth=3
	v_cmp_ne_u16_sdwa vcc, v12, s97 src0_sel:BYTE_0 src1_sel:DWORD
	v_bfrev_b32_e32 v9, 1
	s_and_saveexec_b64 s[70:71], vcc
	s_cbranch_execz .LBB4_4609
; %bb.4604:                             ;   in Loop: Header=BB4_3353 Depth=3
	v_and_b32_e32 v9, 0x7c0000, v14
	v_bfe_u32 v16, v14, 16, 2
	v_cmp_ne_u32_e32 vcc, s36, v9
                                        ; implicit-def: $vgpr9
	s_and_saveexec_b64 s[72:73], vcc
	s_xor_b64 s[72:73], exec, s[72:73]
	s_cbranch_execz .LBB4_4606
; %bb.4605:                             ;   in Loop: Header=BB4_3353 Depth=3
	v_ffbh_u32_e32 v17, v16
	v_min_u32_e32 v17, 32, v17
	v_subrev_u32_e32 v32, 29, v17
	v_bfe_u32 v9, v14, 18, 5
	v_lshlrev_b64 v[36:37], v32, v[12:13]
	v_sub_u32_e32 v17, 30, v17
	v_and_b32_e32 v32, 3, v36
	v_cmp_eq_u32_e32 vcc, 0, v9
	v_cndmask_b32_e32 v9, v9, v17, vcc
	v_cndmask_b32_e32 v16, v16, v32, vcc
	v_bfrev_b32_e32 v32, 28
	v_lshlrev_b32_e32 v17, 24, v12
	v_lshl_add_u32 v9, v9, 23, v32
	v_and_or_b32 v9, v17, s96, v9
	v_lshl_or_b32 v9, v16, 21, v9
                                        ; implicit-def: $vgpr16
.LBB4_4606:                             ;   in Loop: Header=BB4_3353 Depth=3
	s_andn2_saveexec_b64 s[72:73], s[72:73]
; %bb.4607:                             ;   in Loop: Header=BB4_3353 Depth=3
	v_mov_b32_e32 v9, -1
	v_cmp_gt_i16_sdwa vcc, sext(v12), v9 src0_sel:BYTE_0 src1_sel:DWORD
	v_cndmask_b32_e32 v9, v6, v1, vcc
	v_cmp_eq_u32_e32 vcc, 0, v16
	v_mov_b32_e32 v16, 0x7f800001
	v_cndmask_b32_e32 v9, v16, v9, vcc
; %bb.4608:                             ;   in Loop: Header=BB4_3353 Depth=3
	s_or_b64 exec, exec, s[72:73]
.LBB4_4609:                             ;   in Loop: Header=BB4_3353 Depth=3
	s_or_b64 exec, exec, s[70:71]
.LBB4_4610:                             ;   in Loop: Header=BB4_3353 Depth=3
	s_or_b64 exec, exec, s[68:69]
	v_cmp_ne_u16_sdwa vcc, v8, v43 src0_sel:BYTE_0 src1_sel:DWORD
	s_and_saveexec_b64 s[68:69], vcc
	s_cbranch_execz .LBB4_4618
; %bb.4611:                             ;   in Loop: Header=BB4_3353 Depth=3
	v_cmp_ne_u16_sdwa vcc, v8, s97 src0_sel:BYTE_0 src1_sel:DWORD
	v_bfrev_b32_e32 v13, 1
	s_and_saveexec_b64 s[70:71], vcc
	s_cbranch_execz .LBB4_4617
; %bb.4612:                             ;   in Loop: Header=BB4_3353 Depth=3
	v_and_b32_e32 v13, 0x7c0000, v10
	v_bfe_u32 v16, v10, 16, 2
	v_cmp_ne_u32_e32 vcc, s36, v13
                                        ; implicit-def: $vgpr13
	s_and_saveexec_b64 s[72:73], vcc
	s_xor_b64 s[72:73], exec, s[72:73]
	s_cbranch_execz .LBB4_4614
; %bb.4613:                             ;   in Loop: Header=BB4_3353 Depth=3
	v_ffbh_u32_e32 v17, v16
	v_min_u32_e32 v17, 32, v17
	v_subrev_u32_e32 v32, 29, v17
	v_bfe_u32 v13, v10, 18, 5
	v_lshlrev_b64 v[36:37], v32, v[8:9]
	v_sub_u32_e32 v17, 30, v17
	v_and_b32_e32 v32, 3, v36
	v_cmp_eq_u32_e32 vcc, 0, v13
	v_cndmask_b32_e32 v13, v13, v17, vcc
	v_cndmask_b32_e32 v16, v16, v32, vcc
	v_bfrev_b32_e32 v32, 28
	v_lshlrev_b32_e32 v17, 24, v8
	v_lshl_add_u32 v13, v13, 23, v32
	v_and_or_b32 v13, v17, s96, v13
	v_lshl_or_b32 v13, v16, 21, v13
                                        ; implicit-def: $vgpr16
.LBB4_4614:                             ;   in Loop: Header=BB4_3353 Depth=3
	s_andn2_saveexec_b64 s[72:73], s[72:73]
; %bb.4615:                             ;   in Loop: Header=BB4_3353 Depth=3
	v_mov_b32_e32 v13, -1
	v_cmp_gt_i16_sdwa vcc, sext(v8), v13 src0_sel:BYTE_0 src1_sel:DWORD
	v_cndmask_b32_e32 v13, v6, v1, vcc
	v_cmp_eq_u32_e32 vcc, 0, v16
	v_mov_b32_e32 v16, 0x7f800001
	v_cndmask_b32_e32 v13, v16, v13, vcc
; %bb.4616:                             ;   in Loop: Header=BB4_3353 Depth=3
	s_or_b64 exec, exec, s[72:73]
.LBB4_4617:                             ;   in Loop: Header=BB4_3353 Depth=3
	s_or_b64 exec, exec, s[70:71]
.LBB4_4618:                             ;   in Loop: Header=BB4_3353 Depth=3
	s_or_b64 exec, exec, s[68:69]
	v_max_f32_e32 v13, v13, v13
	v_max_f32_e32 v9, v9, v9
	;; [unrolled: 1-line block ×3, first 2 shown]
	s_branch .LBB4_4637
.LBB4_4619:                             ;   in Loop: Header=BB4_3353 Depth=3
                                        ; implicit-def: $vgpr9
	s_cbranch_execz .LBB4_4637
; %bb.4620:                             ;   in Loop: Header=BB4_3353 Depth=3
	v_mov_b32_e32 v13, 0
	v_mov_b32_e32 v9, 0
	s_and_saveexec_b64 s[68:69], s[30:31]
	s_cbranch_execz .LBB4_4628
; %bb.4621:                             ;   in Loop: Header=BB4_3353 Depth=3
	v_cmp_ne_u16_sdwa vcc, v12, s97 src0_sel:BYTE_0 src1_sel:DWORD
	v_bfrev_b32_e32 v9, 1
	s_and_saveexec_b64 s[30:31], vcc
	s_cbranch_execz .LBB4_4627
; %bb.4622:                             ;   in Loop: Header=BB4_3353 Depth=3
	v_and_b32_e32 v9, 0x7c0000, v14
	v_bfe_u32 v16, v14, 16, 2
	v_cmp_ne_u32_e32 vcc, s36, v9
                                        ; implicit-def: $vgpr9
	s_and_saveexec_b64 s[70:71], vcc
	s_xor_b64 s[70:71], exec, s[70:71]
	s_cbranch_execz .LBB4_4624
; %bb.4623:                             ;   in Loop: Header=BB4_3353 Depth=3
	v_ffbh_u32_e32 v17, v16
	v_bfe_u32 v9, v14, 18, 5
	v_min_u32_e32 v17, 32, v17
	v_subrev_u32_e32 v32, 29, v17
	v_sub_u32_e32 v17, 30, v17
	v_cmp_eq_u32_e32 vcc, 0, v9
	v_lshlrev_b64 v[36:37], v32, v[12:13]
	v_cndmask_b32_e32 v9, v9, v17, vcc
	v_bfrev_b32_e32 v17, 28
	v_and_b32_e32 v32, 3, v36
	v_lshlrev_b32_e32 v12, 24, v12
	v_lshl_add_u32 v9, v9, 23, v17
	v_cndmask_b32_e32 v16, v16, v32, vcc
	v_and_or_b32 v9, v12, s96, v9
	v_lshl_or_b32 v9, v16, 21, v9
                                        ; implicit-def: $vgpr16
                                        ; implicit-def: $vgpr12
.LBB4_4624:                             ;   in Loop: Header=BB4_3353 Depth=3
	s_andn2_saveexec_b64 s[70:71], s[70:71]
; %bb.4625:                             ;   in Loop: Header=BB4_3353 Depth=3
	v_mov_b32_e32 v9, -1
	v_cmp_gt_i16_sdwa vcc, sext(v12), v9 src0_sel:BYTE_0 src1_sel:DWORD
	v_cndmask_b32_e32 v9, v6, v1, vcc
	v_cmp_eq_u32_e32 vcc, 0, v16
	v_mov_b32_e32 v12, 0x7f800001
	v_cndmask_b32_e32 v9, v12, v9, vcc
; %bb.4626:                             ;   in Loop: Header=BB4_3353 Depth=3
	s_or_b64 exec, exec, s[70:71]
.LBB4_4627:                             ;   in Loop: Header=BB4_3353 Depth=3
	s_or_b64 exec, exec, s[30:31]
.LBB4_4628:                             ;   in Loop: Header=BB4_3353 Depth=3
	s_or_b64 exec, exec, s[68:69]
	v_cmp_ne_u16_sdwa vcc, v8, v43 src0_sel:BYTE_0 src1_sel:DWORD
	s_and_saveexec_b64 s[30:31], vcc
	s_cbranch_execz .LBB4_4636
; %bb.4629:                             ;   in Loop: Header=BB4_3353 Depth=3
	v_cmp_ne_u16_sdwa vcc, v8, s97 src0_sel:BYTE_0 src1_sel:DWORD
	v_bfrev_b32_e32 v13, 1
	s_and_saveexec_b64 s[68:69], vcc
	s_cbranch_execz .LBB4_4635
; %bb.4630:                             ;   in Loop: Header=BB4_3353 Depth=3
	v_and_b32_e32 v13, 0x7c0000, v10
	v_bfe_u32 v12, v10, 16, 2
	v_cmp_ne_u32_e32 vcc, s36, v13
                                        ; implicit-def: $vgpr13
	s_and_saveexec_b64 s[70:71], vcc
	s_xor_b64 s[70:71], exec, s[70:71]
	s_cbranch_execz .LBB4_4632
; %bb.4631:                             ;   in Loop: Header=BB4_3353 Depth=3
	v_ffbh_u32_e32 v16, v12
	v_min_u32_e32 v32, 32, v16
	v_subrev_u32_e32 v16, 29, v32
	v_bfe_u32 v13, v10, 18, 5
	v_lshlrev_b64 v[16:17], v16, v[8:9]
	v_sub_u32_e32 v17, 30, v32
	v_and_b32_e32 v16, 3, v16
	v_cmp_eq_u32_e32 vcc, 0, v13
	v_cndmask_b32_e32 v13, v13, v17, vcc
	v_cndmask_b32_e32 v12, v12, v16, vcc
	v_bfrev_b32_e32 v16, 28
	v_lshlrev_b32_e32 v8, 24, v8
	v_lshl_add_u32 v13, v13, 23, v16
	v_and_or_b32 v8, v8, s96, v13
	v_lshl_or_b32 v13, v12, 21, v8
                                        ; implicit-def: $vgpr12
                                        ; implicit-def: $vgpr8
.LBB4_4632:                             ;   in Loop: Header=BB4_3353 Depth=3
	s_andn2_saveexec_b64 s[70:71], s[70:71]
; %bb.4633:                             ;   in Loop: Header=BB4_3353 Depth=3
	v_mov_b32_e32 v13, -1
	v_cmp_gt_i16_sdwa vcc, sext(v8), v13 src0_sel:BYTE_0 src1_sel:DWORD
	v_cndmask_b32_e32 v8, v6, v1, vcc
	v_cmp_eq_u32_e32 vcc, 0, v12
	v_mov_b32_e32 v12, 0x7f800001
	v_cndmask_b32_e32 v13, v12, v8, vcc
; %bb.4634:                             ;   in Loop: Header=BB4_3353 Depth=3
	s_or_b64 exec, exec, s[70:71]
.LBB4_4635:                             ;   in Loop: Header=BB4_3353 Depth=3
	s_or_b64 exec, exec, s[68:69]
.LBB4_4636:                             ;   in Loop: Header=BB4_3353 Depth=3
	s_or_b64 exec, exec, s[30:31]
	v_max_f32_e32 v8, v13, v13
	v_max_f32_e32 v9, v9, v9
	v_min_f32_e32 v9, v9, v8
.LBB4_4637:                             ;   in Loop: Header=BB4_3353 Depth=3
	v_and_b32_sdwa v12, v9, s97 dst_sel:DWORD dst_unused:UNUSED_PAD src0_sel:BYTE_3 src1_sel:DWORD
	v_and_b32_e32 v16, 0x7f800000, v9
	v_mov_b32_e32 v17, v43
	v_and_b32_e32 v42, 0x7fffff, v9
	v_or_b32_e32 v55, 0x7b, v12
	v_cmp_ne_u64_e32 vcc, s[52:53], v[16:17]
	s_and_saveexec_b64 s[30:31], vcc
	s_xor_b64 s[68:69], exec, s[30:31]
	s_cbranch_execz .LBB4_4647
; %bb.4638:                             ;   in Loop: Header=BB4_3353 Depth=3
	v_and_b32_e32 v16, 0x7fffffff, v9
	v_mov_b32_e32 v17, v43
	v_cmp_gt_u64_e32 vcc, s[54:55], v[16:17]
	s_and_saveexec_b64 s[70:71], vcc
	s_cbranch_execz .LBB4_4646
; %bb.4639:                             ;   in Loop: Header=BB4_3353 Depth=3
	v_cmp_ne_u32_e32 vcc, 0, v9
	v_mov_b32_e32 v55, 0
	s_and_saveexec_b64 s[72:73], vcc
	s_cbranch_execz .LBB4_4645
; %bb.4640:                             ;   in Loop: Header=BB4_3353 Depth=3
	v_bfe_u32 v8, v9, 23, 8
	v_cmp_eq_u32_e32 vcc, 0, v8
	v_add_u32_e32 v9, 0xffffff81, v8
	v_cmp_gt_u32_e64 s[30:31], s38, v8
	v_sub_u32_e32 v8, 0x71, v8
	v_mov_b32_e32 v16, 0xffffff82
	v_cndmask_b32_e64 v8, 0, v8, s[30:31]
	v_cndmask_b32_e32 v32, v9, v16, vcc
	v_mov_b32_e32 v9, 0x70
	v_cndmask_b32_e32 v33, v8, v9, vcc
	v_add_u32_e32 v8, 21, v33
	v_or_b32_e32 v13, 0x800000, v42
	v_lshlrev_b64 v[8:9], v8, -1
	v_cndmask_b32_e32 v42, v13, v42, vcc
	v_not_b32_e32 v9, v9
	v_not_b32_e32 v8, v8
	v_add_u32_e32 v13, 20, v33
	v_and_b32_e32 v9, 0, v9
	v_and_b32_e32 v8, v42, v8
	v_lshlrev_b64 v[16:17], v13, 1
	v_cmp_eq_u64_e32 vcc, v[8:9], v[16:17]
	v_lshrrev_b64 v[8:9], v33, v[42:43]
	v_lshrrev_b32_e32 v13, 23, v8
	v_add3_u32 v17, v33, v32, v13
	v_bfe_u32 v13, v8, 21, 1
	v_add_u32_e32 v13, -1, v13
	v_cndmask_b32_e32 v13, 0, v13, vcc
	v_add_u32_e32 v13, v13, v8
	v_and_b32_e32 v13, 0x1fffff, v13
	v_add_co_u32_e32 v8, vcc, v13, v8
	v_add_u32_e32 v16, 14, v17
	v_addc_co_u32_e32 v9, vcc, 0, v9, vcc
	v_cmp_ne_u32_e32 vcc, 0, v16
                                        ; implicit-def: $vgpr13
	s_and_saveexec_b64 s[30:31], vcc
	s_xor_b64 s[30:31], exec, s[30:31]
; %bb.4641:                             ;   in Loop: Header=BB4_3353 Depth=3
	v_add_u32_e32 v13, 15, v17
	v_cmp_lt_u64_e32 vcc, s[56:57], v[8:9]
	v_cndmask_b32_e32 v13, v16, v13, vcc
	v_cndmask_b32_e64 v16, 0, 1, vcc
	v_lshrrev_b64 v[8:9], v16, v[8:9]
; %bb.4642:                             ;   in Loop: Header=BB4_3353 Depth=3
	s_andn2_saveexec_b64 vcc, s[30:31]
; %bb.4643:                             ;   in Loop: Header=BB4_3353 Depth=3
	v_bfe_u32 v13, v8, 23, 1
; %bb.4644:                             ;   in Loop: Header=BB4_3353 Depth=3
	s_or_b64 exec, exec, vcc
	v_lshrrev_b64 v[8:9], 21, v[8:9]
	v_cmp_gt_i32_e32 vcc, 32, v13
	v_cndmask_b32_e32 v9, 0, v9, vcc
	v_cndmask_b32_e32 v8, 3, v8, vcc
	v_cmp_eq_u64_e64 s[30:31], 0, v[8:9]
	v_min_i32_e32 v9, 31, v13
	v_cmp_eq_u32_e32 vcc, 0, v13
	v_lshlrev_b32_e32 v9, 2, v9
	v_and_or_b32 v8, v8, 3, v9
	s_and_b64 vcc, vcc, s[30:31]
	v_cndmask_b32_e64 v8, v8, 0, vcc
	v_or_b32_e32 v55, v8, v12
.LBB4_4645:                             ;   in Loop: Header=BB4_3353 Depth=3
	s_or_b64 exec, exec, s[72:73]
.LBB4_4646:                             ;   in Loop: Header=BB4_3353 Depth=3
	s_or_b64 exec, exec, s[70:71]
                                        ; implicit-def: $vgpr9
.LBB4_4647:                             ;   in Loop: Header=BB4_3353 Depth=3
	s_andn2_saveexec_b64 s[30:31], s[68:69]
; %bb.4648:                             ;   in Loop: Header=BB4_3353 Depth=3
	v_or_b32_sdwa v8, v9, s39 dst_sel:DWORD dst_unused:UNUSED_PAD src0_sel:BYTE_3 src1_sel:DWORD
	v_cmp_eq_u64_e32 vcc, 0, v[42:43]
	v_cndmask_b32_e32 v55, v8, v55, vcc
; %bb.4649:                             ;   in Loop: Header=BB4_3353 Depth=3
	s_or_b64 exec, exec, s[30:31]
	v_lshrrev_b32_e32 v12, 24, v14
	v_lshrrev_b32_e32 v8, 24, v10
	s_and_b64 vcc, exec, s[28:29]
	v_cmp_lt_u32_e64 s[30:31], s43, v14
	s_cbranch_vccnz .LBB4_4667
; %bb.4650:                             ;   in Loop: Header=BB4_3353 Depth=3
	v_mov_b32_e32 v13, 0
	v_mov_b32_e32 v9, 0
	s_and_saveexec_b64 s[68:69], s[30:31]
	s_cbranch_execz .LBB4_4658
; %bb.4651:                             ;   in Loop: Header=BB4_3353 Depth=3
	v_cmp_ne_u32_e32 vcc, s97, v12
	v_bfrev_b32_e32 v9, 1
	s_and_saveexec_b64 s[70:71], vcc
	s_cbranch_execz .LBB4_4657
; %bb.4652:                             ;   in Loop: Header=BB4_3353 Depth=3
	v_and_b32_e32 v9, 0x7c000000, v14
	v_bfe_u32 v16, v14, 24, 2
	v_cmp_ne_u32_e32 vcc, s37, v9
                                        ; implicit-def: $vgpr9
	s_and_saveexec_b64 s[72:73], vcc
	s_xor_b64 s[72:73], exec, s[72:73]
	s_cbranch_execz .LBB4_4654
; %bb.4653:                             ;   in Loop: Header=BB4_3353 Depth=3
	v_ffbh_u32_e32 v17, v16
	v_bfe_u32 v9, v14, 26, 5
	v_min_u32_e32 v17, 32, v17
	v_subrev_u32_e32 v32, 29, v17
	v_sub_u32_e32 v17, 30, v17
	v_cmp_eq_u32_e32 vcc, 0, v9
	v_lshlrev_b64 v[36:37], v32, v[12:13]
	v_cndmask_b32_e32 v9, v9, v17, vcc
	v_bfrev_b32_e32 v17, 28
	v_and_b32_e32 v32, 3, v36
	v_lshl_add_u32 v9, v9, 23, v17
	v_cndmask_b32_e32 v16, v16, v32, vcc
	v_and_or_b32 v9, v14, s96, v9
	v_lshl_or_b32 v9, v16, 21, v9
                                        ; implicit-def: $vgpr16
.LBB4_4654:                             ;   in Loop: Header=BB4_3353 Depth=3
	s_andn2_saveexec_b64 s[72:73], s[72:73]
; %bb.4655:                             ;   in Loop: Header=BB4_3353 Depth=3
	v_cmp_lt_i32_e32 vcc, -1, v14
	v_cndmask_b32_e32 v9, v6, v1, vcc
	v_cmp_eq_u32_e32 vcc, 0, v16
	v_mov_b32_e32 v16, 0x7f800001
	v_cndmask_b32_e32 v9, v16, v9, vcc
; %bb.4656:                             ;   in Loop: Header=BB4_3353 Depth=3
	s_or_b64 exec, exec, s[72:73]
.LBB4_4657:                             ;   in Loop: Header=BB4_3353 Depth=3
	s_or_b64 exec, exec, s[70:71]
.LBB4_4658:                             ;   in Loop: Header=BB4_3353 Depth=3
	s_or_b64 exec, exec, s[68:69]
	v_cmp_lt_u32_e32 vcc, s43, v10
	s_and_saveexec_b64 s[68:69], vcc
	s_cbranch_execz .LBB4_4666
; %bb.4659:                             ;   in Loop: Header=BB4_3353 Depth=3
	v_cmp_ne_u32_e32 vcc, s97, v8
	v_bfrev_b32_e32 v13, 1
	s_and_saveexec_b64 s[70:71], vcc
	s_cbranch_execz .LBB4_4665
; %bb.4660:                             ;   in Loop: Header=BB4_3353 Depth=3
	v_and_b32_e32 v13, 0x7c000000, v10
	v_bfe_u32 v16, v10, 24, 2
	v_cmp_ne_u32_e32 vcc, s37, v13
                                        ; implicit-def: $vgpr13
	s_and_saveexec_b64 s[72:73], vcc
	s_xor_b64 s[72:73], exec, s[72:73]
	s_cbranch_execz .LBB4_4662
; %bb.4661:                             ;   in Loop: Header=BB4_3353 Depth=3
	v_ffbh_u32_e32 v17, v16
	v_bfe_u32 v13, v10, 26, 5
	v_min_u32_e32 v17, 32, v17
	v_subrev_u32_e32 v32, 29, v17
	v_sub_u32_e32 v17, 30, v17
	v_cmp_eq_u32_e32 vcc, 0, v13
	v_lshlrev_b64 v[36:37], v32, v[8:9]
	v_cndmask_b32_e32 v13, v13, v17, vcc
	v_bfrev_b32_e32 v17, 28
	v_and_b32_e32 v32, 3, v36
	v_lshl_add_u32 v13, v13, 23, v17
	v_cndmask_b32_e32 v16, v16, v32, vcc
	v_and_or_b32 v13, v10, s96, v13
	v_lshl_or_b32 v13, v16, 21, v13
                                        ; implicit-def: $vgpr16
.LBB4_4662:                             ;   in Loop: Header=BB4_3353 Depth=3
	s_andn2_saveexec_b64 s[72:73], s[72:73]
; %bb.4663:                             ;   in Loop: Header=BB4_3353 Depth=3
	v_cmp_lt_i32_e32 vcc, -1, v10
	v_cndmask_b32_e32 v13, v6, v1, vcc
	v_cmp_eq_u32_e32 vcc, 0, v16
	v_mov_b32_e32 v16, 0x7f800001
	v_cndmask_b32_e32 v13, v16, v13, vcc
; %bb.4664:                             ;   in Loop: Header=BB4_3353 Depth=3
	s_or_b64 exec, exec, s[72:73]
.LBB4_4665:                             ;   in Loop: Header=BB4_3353 Depth=3
	s_or_b64 exec, exec, s[70:71]
.LBB4_4666:                             ;   in Loop: Header=BB4_3353 Depth=3
	s_or_b64 exec, exec, s[68:69]
	v_max_f32_e32 v13, v13, v13
	v_max_f32_e32 v9, v9, v9
	;; [unrolled: 1-line block ×3, first 2 shown]
	s_branch .LBB4_4685
.LBB4_4667:                             ;   in Loop: Header=BB4_3353 Depth=3
                                        ; implicit-def: $vgpr9
	s_cbranch_execz .LBB4_4685
; %bb.4668:                             ;   in Loop: Header=BB4_3353 Depth=3
	v_mov_b32_e32 v13, 0
	v_mov_b32_e32 v9, 0
	s_and_saveexec_b64 s[68:69], s[30:31]
	s_cbranch_execz .LBB4_4676
; %bb.4669:                             ;   in Loop: Header=BB4_3353 Depth=3
	v_cmp_ne_u32_e32 vcc, s97, v12
	v_bfrev_b32_e32 v9, 1
	s_and_saveexec_b64 s[30:31], vcc
	s_cbranch_execz .LBB4_4675
; %bb.4670:                             ;   in Loop: Header=BB4_3353 Depth=3
	v_and_b32_e32 v9, 0x7c000000, v14
	v_bfe_u32 v16, v14, 24, 2
	v_cmp_ne_u32_e32 vcc, s37, v9
                                        ; implicit-def: $vgpr9
	s_and_saveexec_b64 s[70:71], vcc
	s_xor_b64 s[70:71], exec, s[70:71]
	s_cbranch_execz .LBB4_4672
; %bb.4671:                             ;   in Loop: Header=BB4_3353 Depth=3
	v_ffbh_u32_e32 v17, v16
	v_min_u32_e32 v17, 32, v17
	v_subrev_u32_e32 v32, 29, v17
	v_bfe_u32 v9, v14, 26, 5
	v_lshlrev_b64 v[36:37], v32, v[12:13]
	v_sub_u32_e32 v12, 30, v17
	v_and_b32_e32 v17, 3, v36
	v_cmp_eq_u32_e32 vcc, 0, v9
	v_cndmask_b32_e32 v9, v9, v12, vcc
	v_cndmask_b32_e32 v12, v16, v17, vcc
	v_bfrev_b32_e32 v16, 28
	v_lshl_add_u32 v9, v9, 23, v16
	v_and_or_b32 v9, v14, s96, v9
	v_lshl_or_b32 v9, v12, 21, v9
                                        ; implicit-def: $vgpr16
.LBB4_4672:                             ;   in Loop: Header=BB4_3353 Depth=3
	s_andn2_saveexec_b64 s[70:71], s[70:71]
; %bb.4673:                             ;   in Loop: Header=BB4_3353 Depth=3
	v_cmp_lt_i32_e32 vcc, -1, v14
	v_cndmask_b32_e32 v9, v6, v1, vcc
	v_cmp_eq_u32_e32 vcc, 0, v16
	v_mov_b32_e32 v12, 0x7f800001
	v_cndmask_b32_e32 v9, v12, v9, vcc
; %bb.4674:                             ;   in Loop: Header=BB4_3353 Depth=3
	s_or_b64 exec, exec, s[70:71]
.LBB4_4675:                             ;   in Loop: Header=BB4_3353 Depth=3
	s_or_b64 exec, exec, s[30:31]
.LBB4_4676:                             ;   in Loop: Header=BB4_3353 Depth=3
	s_or_b64 exec, exec, s[68:69]
	v_cmp_lt_u32_e32 vcc, s43, v10
	s_and_saveexec_b64 s[30:31], vcc
	s_cbranch_execz .LBB4_4684
; %bb.4677:                             ;   in Loop: Header=BB4_3353 Depth=3
	v_cmp_ne_u32_e32 vcc, s97, v8
	v_bfrev_b32_e32 v13, 1
	s_and_saveexec_b64 s[68:69], vcc
	s_cbranch_execz .LBB4_4683
; %bb.4678:                             ;   in Loop: Header=BB4_3353 Depth=3
	v_and_b32_e32 v13, 0x7c000000, v10
	v_bfe_u32 v12, v10, 24, 2
	v_cmp_ne_u32_e32 vcc, s37, v13
                                        ; implicit-def: $vgpr13
	s_and_saveexec_b64 s[70:71], vcc
	s_xor_b64 s[70:71], exec, s[70:71]
	s_cbranch_execz .LBB4_4680
; %bb.4679:                             ;   in Loop: Header=BB4_3353 Depth=3
	v_ffbh_u32_e32 v16, v12
	v_min_u32_e32 v32, 32, v16
	v_bfe_u32 v13, v10, 26, 5
	v_subrev_u32_e32 v16, 29, v32
	v_lshlrev_b64 v[16:17], v16, v[8:9]
	v_sub_u32_e32 v8, 30, v32
	v_cmp_eq_u32_e32 vcc, 0, v13
	v_cndmask_b32_e32 v8, v13, v8, vcc
	v_bfrev_b32_e32 v13, 28
	v_and_b32_e32 v16, 3, v16
	v_lshl_add_u32 v8, v8, 23, v13
	v_cndmask_b32_e32 v12, v12, v16, vcc
	v_and_or_b32 v8, v10, s96, v8
	v_lshl_or_b32 v13, v12, 21, v8
                                        ; implicit-def: $vgpr12
.LBB4_4680:                             ;   in Loop: Header=BB4_3353 Depth=3
	s_andn2_saveexec_b64 s[70:71], s[70:71]
; %bb.4681:                             ;   in Loop: Header=BB4_3353 Depth=3
	v_cmp_lt_i32_e32 vcc, -1, v10
	v_cndmask_b32_e32 v8, v6, v1, vcc
	v_cmp_eq_u32_e32 vcc, 0, v12
	v_mov_b32_e32 v12, 0x7f800001
	v_cndmask_b32_e32 v13, v12, v8, vcc
; %bb.4682:                             ;   in Loop: Header=BB4_3353 Depth=3
	s_or_b64 exec, exec, s[70:71]
.LBB4_4683:                             ;   in Loop: Header=BB4_3353 Depth=3
	s_or_b64 exec, exec, s[68:69]
.LBB4_4684:                             ;   in Loop: Header=BB4_3353 Depth=3
	s_or_b64 exec, exec, s[30:31]
	v_max_f32_e32 v8, v13, v13
	v_max_f32_e32 v9, v9, v9
	v_min_f32_e32 v9, v9, v8
.LBB4_4685:                             ;   in Loop: Header=BB4_3353 Depth=3
	v_and_b32_sdwa v12, v9, s97 dst_sel:DWORD dst_unused:UNUSED_PAD src0_sel:BYTE_3 src1_sel:DWORD
	v_and_b32_e32 v16, 0x7f800000, v9
	v_mov_b32_e32 v17, v43
	v_and_b32_e32 v42, 0x7fffff, v9
	v_or_b32_e32 v36, 0x7b, v12
	v_cmp_ne_u64_e32 vcc, s[52:53], v[16:17]
	s_and_saveexec_b64 s[30:31], vcc
	s_xor_b64 s[68:69], exec, s[30:31]
	s_cbranch_execz .LBB4_4695
; %bb.4686:                             ;   in Loop: Header=BB4_3353 Depth=3
	v_and_b32_e32 v16, 0x7fffffff, v9
	v_mov_b32_e32 v17, v43
	v_cmp_gt_u64_e32 vcc, s[54:55], v[16:17]
	s_and_saveexec_b64 s[70:71], vcc
	s_cbranch_execz .LBB4_4694
; %bb.4687:                             ;   in Loop: Header=BB4_3353 Depth=3
	v_cmp_ne_u32_e32 vcc, 0, v9
	v_mov_b32_e32 v36, 0
	s_and_saveexec_b64 s[72:73], vcc
	s_cbranch_execz .LBB4_4693
; %bb.4688:                             ;   in Loop: Header=BB4_3353 Depth=3
	v_bfe_u32 v8, v9, 23, 8
	v_cmp_eq_u32_e32 vcc, 0, v8
	v_add_u32_e32 v9, 0xffffff81, v8
	v_cmp_gt_u32_e64 s[30:31], s38, v8
	v_sub_u32_e32 v8, 0x71, v8
	v_mov_b32_e32 v16, 0xffffff82
	v_cndmask_b32_e64 v8, 0, v8, s[30:31]
	v_cndmask_b32_e32 v32, v9, v16, vcc
	v_mov_b32_e32 v9, 0x70
	v_cndmask_b32_e32 v33, v8, v9, vcc
	v_add_u32_e32 v8, 21, v33
	v_or_b32_e32 v13, 0x800000, v42
	v_lshlrev_b64 v[8:9], v8, -1
	v_cndmask_b32_e32 v42, v13, v42, vcc
	v_not_b32_e32 v9, v9
	v_not_b32_e32 v8, v8
	v_add_u32_e32 v13, 20, v33
	v_and_b32_e32 v9, 0, v9
	v_and_b32_e32 v8, v42, v8
	v_lshlrev_b64 v[16:17], v13, 1
	v_cmp_eq_u64_e32 vcc, v[8:9], v[16:17]
	v_lshrrev_b64 v[8:9], v33, v[42:43]
	v_lshrrev_b32_e32 v13, 23, v8
	v_add3_u32 v17, v33, v32, v13
	v_bfe_u32 v13, v8, 21, 1
	v_add_u32_e32 v13, -1, v13
	v_cndmask_b32_e32 v13, 0, v13, vcc
	v_add_u32_e32 v13, v13, v8
	v_and_b32_e32 v13, 0x1fffff, v13
	v_add_co_u32_e32 v8, vcc, v13, v8
	v_add_u32_e32 v16, 14, v17
	v_addc_co_u32_e32 v9, vcc, 0, v9, vcc
	v_cmp_ne_u32_e32 vcc, 0, v16
                                        ; implicit-def: $vgpr13
	s_and_saveexec_b64 s[30:31], vcc
	s_xor_b64 s[30:31], exec, s[30:31]
; %bb.4689:                             ;   in Loop: Header=BB4_3353 Depth=3
	v_add_u32_e32 v13, 15, v17
	v_cmp_lt_u64_e32 vcc, s[56:57], v[8:9]
	v_cndmask_b32_e32 v13, v16, v13, vcc
	v_cndmask_b32_e64 v16, 0, 1, vcc
	v_lshrrev_b64 v[8:9], v16, v[8:9]
; %bb.4690:                             ;   in Loop: Header=BB4_3353 Depth=3
	s_andn2_saveexec_b64 vcc, s[30:31]
; %bb.4691:                             ;   in Loop: Header=BB4_3353 Depth=3
	v_bfe_u32 v13, v8, 23, 1
; %bb.4692:                             ;   in Loop: Header=BB4_3353 Depth=3
	s_or_b64 exec, exec, vcc
	v_lshrrev_b64 v[8:9], 21, v[8:9]
	v_cmp_gt_i32_e32 vcc, 32, v13
	v_cndmask_b32_e32 v9, 0, v9, vcc
	v_cndmask_b32_e32 v8, 3, v8, vcc
	v_cmp_eq_u64_e64 s[30:31], 0, v[8:9]
	v_min_i32_e32 v9, 31, v13
	v_cmp_eq_u32_e32 vcc, 0, v13
	v_lshlrev_b32_e32 v9, 2, v9
	v_and_or_b32 v8, v8, 3, v9
	s_and_b64 vcc, vcc, s[30:31]
	v_cndmask_b32_e64 v8, v8, 0, vcc
	v_or_b32_e32 v36, v8, v12
.LBB4_4693:                             ;   in Loop: Header=BB4_3353 Depth=3
	s_or_b64 exec, exec, s[72:73]
.LBB4_4694:                             ;   in Loop: Header=BB4_3353 Depth=3
	s_or_b64 exec, exec, s[70:71]
                                        ; implicit-def: $vgpr9
.LBB4_4695:                             ;   in Loop: Header=BB4_3353 Depth=3
	s_andn2_saveexec_b64 s[30:31], s[68:69]
; %bb.4696:                             ;   in Loop: Header=BB4_3353 Depth=3
	v_or_b32_sdwa v8, v9, s39 dst_sel:DWORD dst_unused:UNUSED_PAD src0_sel:BYTE_3 src1_sel:DWORD
	v_cmp_eq_u64_e32 vcc, 0, v[42:43]
	v_cndmask_b32_e32 v36, v8, v36, vcc
; %bb.4697:                             ;   in Loop: Header=BB4_3353 Depth=3
	s_or_b64 exec, exec, s[30:31]
	v_mov_b32_e32 v42, v15
	v_mov_b32_e32 v8, v11
	;; [unrolled: 1-line block ×3, first 2 shown]
	s_and_b64 vcc, exec, s[28:29]
	v_cmp_ne_u16_sdwa s[30:31], v15, v43 src0_sel:BYTE_0 src1_sel:DWORD
	s_cbranch_vccnz .LBB4_4715
; %bb.4698:                             ;   in Loop: Header=BB4_3353 Depth=3
	v_mov_b32_e32 v13, 0
	v_mov_b32_e32 v12, 0
	s_and_saveexec_b64 s[68:69], s[30:31]
	s_cbranch_execz .LBB4_4706
; %bb.4699:                             ;   in Loop: Header=BB4_3353 Depth=3
	v_cmp_ne_u16_sdwa vcc, v15, s97 src0_sel:BYTE_0 src1_sel:DWORD
	v_bfrev_b32_e32 v12, 1
	s_and_saveexec_b64 s[70:71], vcc
	s_cbranch_execz .LBB4_4705
; %bb.4700:                             ;   in Loop: Header=BB4_3353 Depth=3
	v_and_b32_e32 v12, 0x7c, v15
	v_and_b32_e32 v16, 3, v15
	v_cmp_ne_u32_e32 vcc, s95, v12
                                        ; implicit-def: $vgpr12
	s_and_saveexec_b64 s[72:73], vcc
	s_xor_b64 s[72:73], exec, s[72:73]
	s_cbranch_execz .LBB4_4702
; %bb.4701:                             ;   in Loop: Header=BB4_3353 Depth=3
	v_ffbh_u32_e32 v17, v16
	v_min_u32_e32 v17, 32, v17
	v_subrev_u32_e32 v32, 29, v17
	v_bfe_u32 v12, v15, 2, 5
	v_lshlrev_b64 v[50:51], v32, v[42:43]
	v_sub_u32_e32 v17, 30, v17
	v_and_b32_e32 v32, 3, v50
	v_cmp_eq_u32_e32 vcc, 0, v12
	v_cndmask_b32_e32 v12, v12, v17, vcc
	v_cndmask_b32_e32 v16, v16, v32, vcc
	v_bfrev_b32_e32 v32, 28
	v_lshlrev_b32_e32 v17, 24, v15
	v_lshl_add_u32 v12, v12, 23, v32
	v_and_or_b32 v12, v17, s96, v12
	v_lshl_or_b32 v12, v16, 21, v12
                                        ; implicit-def: $vgpr16
.LBB4_4702:                             ;   in Loop: Header=BB4_3353 Depth=3
	s_andn2_saveexec_b64 s[72:73], s[72:73]
; %bb.4703:                             ;   in Loop: Header=BB4_3353 Depth=3
	v_mov_b32_e32 v12, -1
	v_cmp_gt_i16_sdwa vcc, sext(v15), v12 src0_sel:BYTE_0 src1_sel:DWORD
	v_cndmask_b32_e32 v12, v6, v1, vcc
	v_cmp_eq_u32_e32 vcc, 0, v16
	v_mov_b32_e32 v16, 0x7f800001
	v_cndmask_b32_e32 v12, v16, v12, vcc
; %bb.4704:                             ;   in Loop: Header=BB4_3353 Depth=3
	s_or_b64 exec, exec, s[72:73]
.LBB4_4705:                             ;   in Loop: Header=BB4_3353 Depth=3
	s_or_b64 exec, exec, s[70:71]
.LBB4_4706:                             ;   in Loop: Header=BB4_3353 Depth=3
	s_or_b64 exec, exec, s[68:69]
	v_cmp_ne_u16_sdwa vcc, v11, v43 src0_sel:BYTE_0 src1_sel:DWORD
	s_and_saveexec_b64 s[68:69], vcc
	s_cbranch_execz .LBB4_4714
; %bb.4707:                             ;   in Loop: Header=BB4_3353 Depth=3
	v_cmp_ne_u16_sdwa vcc, v11, s97 src0_sel:BYTE_0 src1_sel:DWORD
	v_bfrev_b32_e32 v13, 1
	s_and_saveexec_b64 s[70:71], vcc
	s_cbranch_execz .LBB4_4713
; %bb.4708:                             ;   in Loop: Header=BB4_3353 Depth=3
	v_and_b32_e32 v13, 0x7c, v11
	v_and_b32_e32 v16, 3, v11
	v_cmp_ne_u32_e32 vcc, s95, v13
                                        ; implicit-def: $vgpr13
	s_and_saveexec_b64 s[72:73], vcc
	s_xor_b64 s[72:73], exec, s[72:73]
	s_cbranch_execz .LBB4_4710
; %bb.4709:                             ;   in Loop: Header=BB4_3353 Depth=3
	v_ffbh_u32_e32 v17, v16
	v_min_u32_e32 v17, 32, v17
	v_subrev_u32_e32 v32, 29, v17
	v_bfe_u32 v13, v11, 2, 5
	v_lshlrev_b64 v[50:51], v32, v[8:9]
	v_sub_u32_e32 v17, 30, v17
	v_and_b32_e32 v32, 3, v50
	v_cmp_eq_u32_e32 vcc, 0, v13
	v_cndmask_b32_e32 v13, v13, v17, vcc
	v_cndmask_b32_e32 v16, v16, v32, vcc
	v_bfrev_b32_e32 v32, 28
	v_lshlrev_b32_e32 v17, 24, v11
	v_lshl_add_u32 v13, v13, 23, v32
	v_and_or_b32 v13, v17, s96, v13
	v_lshl_or_b32 v13, v16, 21, v13
                                        ; implicit-def: $vgpr16
.LBB4_4710:                             ;   in Loop: Header=BB4_3353 Depth=3
	s_andn2_saveexec_b64 s[72:73], s[72:73]
; %bb.4711:                             ;   in Loop: Header=BB4_3353 Depth=3
	v_mov_b32_e32 v13, -1
	v_cmp_gt_i16_sdwa vcc, sext(v11), v13 src0_sel:BYTE_0 src1_sel:DWORD
	v_cndmask_b32_e32 v13, v6, v1, vcc
	v_cmp_eq_u32_e32 vcc, 0, v16
	v_mov_b32_e32 v16, 0x7f800001
	v_cndmask_b32_e32 v13, v16, v13, vcc
; %bb.4712:                             ;   in Loop: Header=BB4_3353 Depth=3
	s_or_b64 exec, exec, s[72:73]
.LBB4_4713:                             ;   in Loop: Header=BB4_3353 Depth=3
	s_or_b64 exec, exec, s[70:71]
.LBB4_4714:                             ;   in Loop: Header=BB4_3353 Depth=3
	s_or_b64 exec, exec, s[68:69]
	v_max_f32_e32 v13, v13, v13
	v_max_f32_e32 v12, v12, v12
	;; [unrolled: 1-line block ×3, first 2 shown]
	s_branch .LBB4_4733
.LBB4_4715:                             ;   in Loop: Header=BB4_3353 Depth=3
                                        ; implicit-def: $vgpr16
	s_cbranch_execz .LBB4_4733
; %bb.4716:                             ;   in Loop: Header=BB4_3353 Depth=3
	v_mov_b32_e32 v13, 0
	v_mov_b32_e32 v12, 0
	s_and_saveexec_b64 s[68:69], s[30:31]
	s_cbranch_execz .LBB4_4724
; %bb.4717:                             ;   in Loop: Header=BB4_3353 Depth=3
	v_cmp_ne_u16_sdwa vcc, v15, s97 src0_sel:BYTE_0 src1_sel:DWORD
	v_bfrev_b32_e32 v12, 1
	s_and_saveexec_b64 s[30:31], vcc
	s_cbranch_execz .LBB4_4723
; %bb.4718:                             ;   in Loop: Header=BB4_3353 Depth=3
	v_and_b32_e32 v12, 0x7c, v15
	v_and_b32_e32 v16, 3, v15
	v_cmp_ne_u32_e32 vcc, s95, v12
                                        ; implicit-def: $vgpr12
	s_and_saveexec_b64 s[70:71], vcc
	s_xor_b64 s[70:71], exec, s[70:71]
	s_cbranch_execz .LBB4_4720
; %bb.4719:                             ;   in Loop: Header=BB4_3353 Depth=3
	v_ffbh_u32_e32 v17, v16
	v_min_u32_e32 v17, 32, v17
	v_subrev_u32_e32 v32, 29, v17
	v_bfe_u32 v12, v15, 2, 5
	v_lshlrev_b64 v[50:51], v32, v[42:43]
	v_sub_u32_e32 v17, 30, v17
	v_and_b32_e32 v32, 3, v50
	v_cmp_eq_u32_e32 vcc, 0, v12
	v_cndmask_b32_e32 v12, v12, v17, vcc
	v_cndmask_b32_e32 v16, v16, v32, vcc
	v_bfrev_b32_e32 v32, 28
	v_lshlrev_b32_e32 v17, 24, v15
	v_lshl_add_u32 v12, v12, 23, v32
	v_and_or_b32 v12, v17, s96, v12
	v_lshl_or_b32 v12, v16, 21, v12
                                        ; implicit-def: $vgpr16
.LBB4_4720:                             ;   in Loop: Header=BB4_3353 Depth=3
	s_andn2_saveexec_b64 s[70:71], s[70:71]
; %bb.4721:                             ;   in Loop: Header=BB4_3353 Depth=3
	v_mov_b32_e32 v12, -1
	v_cmp_gt_i16_sdwa vcc, sext(v15), v12 src0_sel:BYTE_0 src1_sel:DWORD
	v_cndmask_b32_e32 v12, v6, v1, vcc
	v_cmp_eq_u32_e32 vcc, 0, v16
	v_mov_b32_e32 v16, 0x7f800001
	v_cndmask_b32_e32 v12, v16, v12, vcc
; %bb.4722:                             ;   in Loop: Header=BB4_3353 Depth=3
	s_or_b64 exec, exec, s[70:71]
.LBB4_4723:                             ;   in Loop: Header=BB4_3353 Depth=3
	s_or_b64 exec, exec, s[30:31]
.LBB4_4724:                             ;   in Loop: Header=BB4_3353 Depth=3
	s_or_b64 exec, exec, s[68:69]
	v_cmp_ne_u16_sdwa vcc, v11, v43 src0_sel:BYTE_0 src1_sel:DWORD
	s_and_saveexec_b64 s[30:31], vcc
	s_cbranch_execz .LBB4_4732
; %bb.4725:                             ;   in Loop: Header=BB4_3353 Depth=3
	v_cmp_ne_u16_sdwa vcc, v11, s97 src0_sel:BYTE_0 src1_sel:DWORD
	v_bfrev_b32_e32 v13, 1
	s_and_saveexec_b64 s[68:69], vcc
	s_cbranch_execz .LBB4_4731
; %bb.4726:                             ;   in Loop: Header=BB4_3353 Depth=3
	v_and_b32_e32 v13, 0x7c, v11
	v_and_b32_e32 v16, 3, v11
	v_cmp_ne_u32_e32 vcc, s95, v13
                                        ; implicit-def: $vgpr13
	s_and_saveexec_b64 s[70:71], vcc
	s_xor_b64 s[70:71], exec, s[70:71]
	s_cbranch_execz .LBB4_4728
; %bb.4727:                             ;   in Loop: Header=BB4_3353 Depth=3
	v_ffbh_u32_e32 v17, v16
	v_min_u32_e32 v17, 32, v17
	v_subrev_u32_e32 v32, 29, v17
	v_bfe_u32 v13, v11, 2, 5
	v_lshlrev_b64 v[50:51], v32, v[8:9]
	v_sub_u32_e32 v9, 30, v17
	v_and_b32_e32 v17, 3, v50
	v_cmp_eq_u32_e32 vcc, 0, v13
	v_cndmask_b32_e32 v9, v13, v9, vcc
	v_cndmask_b32_e32 v13, v16, v17, vcc
	v_bfrev_b32_e32 v17, 28
	v_lshlrev_b32_e32 v16, 24, v11
	v_lshl_add_u32 v9, v9, 23, v17
	v_and_or_b32 v9, v16, s96, v9
	v_lshl_or_b32 v13, v13, 21, v9
                                        ; implicit-def: $vgpr16
.LBB4_4728:                             ;   in Loop: Header=BB4_3353 Depth=3
	s_andn2_saveexec_b64 s[70:71], s[70:71]
; %bb.4729:                             ;   in Loop: Header=BB4_3353 Depth=3
	v_mov_b32_e32 v9, -1
	v_cmp_gt_i16_sdwa vcc, sext(v11), v9 src0_sel:BYTE_0 src1_sel:DWORD
	v_cndmask_b32_e32 v9, v6, v1, vcc
	v_cmp_eq_u32_e32 vcc, 0, v16
	v_mov_b32_e32 v13, 0x7f800001
	v_cndmask_b32_e32 v13, v13, v9, vcc
; %bb.4730:                             ;   in Loop: Header=BB4_3353 Depth=3
	s_or_b64 exec, exec, s[70:71]
.LBB4_4731:                             ;   in Loop: Header=BB4_3353 Depth=3
	s_or_b64 exec, exec, s[68:69]
.LBB4_4732:                             ;   in Loop: Header=BB4_3353 Depth=3
	s_or_b64 exec, exec, s[30:31]
	v_max_f32_e32 v9, v13, v13
	v_max_f32_e32 v12, v12, v12
	v_min_f32_e32 v16, v12, v9
.LBB4_4733:                             ;   in Loop: Header=BB4_3353 Depth=3
	v_and_b32_sdwa v9, v16, s97 dst_sel:DWORD dst_unused:UNUSED_PAD src0_sel:BYTE_3 src1_sel:DWORD
	v_and_b32_e32 v50, 0x7f800000, v16
	v_mov_b32_e32 v51, v43
	v_and_b32_e32 v12, 0x7fffff, v16
	v_mov_b32_e32 v13, v43
	v_or_b32_e32 v37, 0x7b, v9
	v_cmp_ne_u64_e32 vcc, s[52:53], v[50:51]
	s_and_saveexec_b64 s[30:31], vcc
	s_xor_b64 s[68:69], exec, s[30:31]
	s_cbranch_execz .LBB4_4743
; %bb.4734:                             ;   in Loop: Header=BB4_3353 Depth=3
	v_and_b32_e32 v50, 0x7fffffff, v16
	v_mov_b32_e32 v51, v43
	v_cmp_gt_u64_e32 vcc, s[54:55], v[50:51]
	s_and_saveexec_b64 s[70:71], vcc
	s_cbranch_execz .LBB4_4742
; %bb.4735:                             ;   in Loop: Header=BB4_3353 Depth=3
	v_cmp_ne_u32_e32 vcc, 0, v16
	v_mov_b32_e32 v37, 0
	s_and_saveexec_b64 s[72:73], vcc
	s_cbranch_execz .LBB4_4741
; %bb.4736:                             ;   in Loop: Header=BB4_3353 Depth=3
	v_bfe_u32 v16, v16, 23, 8
	v_cmp_eq_u32_e32 vcc, 0, v16
	v_add_u32_e32 v17, 0xffffff81, v16
	v_cmp_gt_u32_e64 s[30:31], s38, v16
	v_sub_u32_e32 v16, 0x71, v16
	v_mov_b32_e32 v33, 0xffffff82
	v_cndmask_b32_e64 v16, 0, v16, s[30:31]
	v_cndmask_b32_e32 v33, v17, v33, vcc
	v_mov_b32_e32 v17, 0x70
	v_cndmask_b32_e32 v37, v16, v17, vcc
	v_add_u32_e32 v16, 21, v37
	v_or_b32_e32 v32, 0x800000, v12
	v_lshlrev_b64 v[16:17], v16, -1
	v_cndmask_b32_e32 v12, v32, v12, vcc
	v_not_b32_e32 v17, v17
	v_not_b32_e32 v16, v16
	v_add_u32_e32 v32, 20, v37
	v_and_b32_e32 v17, 0, v17
	v_and_b32_e32 v16, v12, v16
	v_lshlrev_b64 v[50:51], v32, 1
	v_lshrrev_b64 v[12:13], v37, v[12:13]
	v_cmp_eq_u64_e32 vcc, v[16:17], v[50:51]
	v_lshrrev_b32_e32 v16, 23, v12
	v_add3_u32 v37, v37, v33, v16
	v_bfe_u32 v16, v12, 21, 1
	v_add_u32_e32 v16, -1, v16
	v_cndmask_b32_e32 v16, 0, v16, vcc
	v_add_u32_e32 v16, v16, v12
	v_and_b32_e32 v16, 0x1fffff, v16
	v_add_co_u32_e32 v12, vcc, v16, v12
	v_add_u32_e32 v17, 14, v37
	v_addc_co_u32_e32 v13, vcc, 0, v13, vcc
	v_cmp_ne_u32_e32 vcc, 0, v17
                                        ; implicit-def: $vgpr16
	s_and_saveexec_b64 s[30:31], vcc
	s_xor_b64 s[30:31], exec, s[30:31]
; %bb.4737:                             ;   in Loop: Header=BB4_3353 Depth=3
	v_add_u32_e32 v16, 15, v37
	v_cmp_lt_u64_e32 vcc, s[56:57], v[12:13]
	v_cndmask_b32_e32 v16, v17, v16, vcc
	v_cndmask_b32_e64 v17, 0, 1, vcc
	v_lshrrev_b64 v[12:13], v17, v[12:13]
; %bb.4738:                             ;   in Loop: Header=BB4_3353 Depth=3
	s_andn2_saveexec_b64 vcc, s[30:31]
; %bb.4739:                             ;   in Loop: Header=BB4_3353 Depth=3
	v_bfe_u32 v16, v12, 23, 1
; %bb.4740:                             ;   in Loop: Header=BB4_3353 Depth=3
	s_or_b64 exec, exec, vcc
	v_lshrrev_b64 v[12:13], 21, v[12:13]
	v_cmp_gt_i32_e32 vcc, 32, v16
	v_cndmask_b32_e32 v13, 0, v13, vcc
	v_cndmask_b32_e32 v12, 3, v12, vcc
	v_cmp_eq_u64_e64 s[30:31], 0, v[12:13]
	v_min_i32_e32 v13, 31, v16
	v_cmp_eq_u32_e32 vcc, 0, v16
	v_lshlrev_b32_e32 v13, 2, v13
	v_and_or_b32 v12, v12, 3, v13
	s_and_b64 vcc, vcc, s[30:31]
	v_cndmask_b32_e64 v12, v12, 0, vcc
	v_or_b32_e32 v37, v12, v9
.LBB4_4741:                             ;   in Loop: Header=BB4_3353 Depth=3
	s_or_b64 exec, exec, s[72:73]
.LBB4_4742:                             ;   in Loop: Header=BB4_3353 Depth=3
	s_or_b64 exec, exec, s[70:71]
                                        ; implicit-def: $vgpr16
                                        ; implicit-def: $vgpr12_vgpr13
.LBB4_4743:                             ;   in Loop: Header=BB4_3353 Depth=3
	s_andn2_saveexec_b64 s[30:31], s[68:69]
; %bb.4744:                             ;   in Loop: Header=BB4_3353 Depth=3
	v_or_b32_sdwa v9, v16, s39 dst_sel:DWORD dst_unused:UNUSED_PAD src0_sel:BYTE_3 src1_sel:DWORD
	v_cmp_eq_u64_e32 vcc, 0, v[12:13]
	v_cndmask_b32_e32 v37, v9, v37, vcc
; %bb.4745:                             ;   in Loop: Header=BB4_3353 Depth=3
	s_or_b64 exec, exec, s[30:31]
	v_lshrrev_b16_e32 v16, 8, v42
	v_lshrrev_b16_e32 v12, 8, v8
	s_and_b64 vcc, exec, s[28:29]
	v_cmp_ne_u16_e64 s[30:31], 0, v16
	s_cbranch_vccnz .LBB4_4763
; %bb.4746:                             ;   in Loop: Header=BB4_3353 Depth=3
	v_mov_b32_e32 v13, 0
	v_mov_b32_e32 v9, 0
	s_and_saveexec_b64 s[68:69], s[30:31]
	s_cbranch_execz .LBB4_4754
; %bb.4747:                             ;   in Loop: Header=BB4_3353 Depth=3
	v_cmp_ne_u16_e32 vcc, s97, v16
	v_bfrev_b32_e32 v9, 1
	s_and_saveexec_b64 s[70:71], vcc
	s_cbranch_execz .LBB4_4753
; %bb.4748:                             ;   in Loop: Header=BB4_3353 Depth=3
	v_and_b32_e32 v9, 0x7c, v16
	v_and_b32_e32 v54, 3, v16
	v_cmp_ne_u32_e32 vcc, s95, v9
                                        ; implicit-def: $vgpr9
	s_and_saveexec_b64 s[72:73], vcc
	s_xor_b64 s[72:73], exec, s[72:73]
	s_cbranch_execz .LBB4_4750
; %bb.4749:                             ;   in Loop: Header=BB4_3353 Depth=3
	v_ffbh_u32_e32 v32, v54
	v_min_u32_e32 v32, 32, v32
	v_mov_b32_e32 v17, v43
	v_bfe_u32 v9, v16, 2, 5
	v_subrev_u32_e32 v33, 29, v32
	v_lshlrev_b64 v[50:51], v33, v[16:17]
	v_sub_u32_e32 v17, 30, v32
	v_cmp_eq_u32_e32 vcc, 0, v9
	v_and_b32_e32 v32, 3, v50
	v_cndmask_b32_e32 v9, v9, v17, vcc
	v_bfrev_b32_e32 v33, 28
	v_cndmask_b32_e32 v17, v54, v32, vcc
	v_lshlrev_b32_e32 v32, 16, v42
	v_lshl_add_u32 v9, v9, 23, v33
	v_and_or_b32 v9, v32, s96, v9
	v_lshl_or_b32 v9, v17, 21, v9
                                        ; implicit-def: $vgpr54
.LBB4_4750:                             ;   in Loop: Header=BB4_3353 Depth=3
	s_andn2_saveexec_b64 s[72:73], s[72:73]
; %bb.4751:                             ;   in Loop: Header=BB4_3353 Depth=3
	v_cmp_lt_i16_e32 vcc, -1, v42
	v_cndmask_b32_e32 v9, v6, v1, vcc
	v_cmp_eq_u32_e32 vcc, 0, v54
	v_mov_b32_e32 v17, 0x7f800001
	v_cndmask_b32_e32 v9, v17, v9, vcc
; %bb.4752:                             ;   in Loop: Header=BB4_3353 Depth=3
	s_or_b64 exec, exec, s[72:73]
.LBB4_4753:                             ;   in Loop: Header=BB4_3353 Depth=3
	s_or_b64 exec, exec, s[70:71]
.LBB4_4754:                             ;   in Loop: Header=BB4_3353 Depth=3
	s_or_b64 exec, exec, s[68:69]
	v_cmp_ne_u16_e32 vcc, 0, v12
	s_and_saveexec_b64 s[68:69], vcc
	s_cbranch_execz .LBB4_4762
; %bb.4755:                             ;   in Loop: Header=BB4_3353 Depth=3
	v_cmp_ne_u16_e32 vcc, s97, v12
	v_bfrev_b32_e32 v13, 1
	s_and_saveexec_b64 s[70:71], vcc
	s_cbranch_execz .LBB4_4761
; %bb.4756:                             ;   in Loop: Header=BB4_3353 Depth=3
	v_and_b32_e32 v13, 0x7c, v12
	v_and_b32_e32 v17, 3, v12
	v_cmp_ne_u32_e32 vcc, s95, v13
                                        ; implicit-def: $vgpr13
	s_and_saveexec_b64 s[72:73], vcc
	s_xor_b64 s[72:73], exec, s[72:73]
	s_cbranch_execz .LBB4_4758
; %bb.4757:                             ;   in Loop: Header=BB4_3353 Depth=3
	v_ffbh_u32_e32 v33, v17
	v_min_u32_e32 v33, 32, v33
	v_mov_b32_e32 v13, v43
	v_subrev_u32_e32 v50, 29, v33
	v_bfe_u32 v32, v12, 2, 5
	v_lshlrev_b64 v[50:51], v50, v[12:13]
	v_sub_u32_e32 v13, 30, v33
	v_and_b32_e32 v33, 3, v50
	v_cmp_eq_u32_e32 vcc, 0, v32
	v_cndmask_b32_e32 v13, v32, v13, vcc
	v_cndmask_b32_e32 v17, v17, v33, vcc
	v_bfrev_b32_e32 v33, 28
	v_lshlrev_b32_e32 v32, 16, v8
	v_lshl_add_u32 v13, v13, 23, v33
	v_and_or_b32 v13, v32, s96, v13
	v_lshl_or_b32 v13, v17, 21, v13
                                        ; implicit-def: $vgpr17
.LBB4_4758:                             ;   in Loop: Header=BB4_3353 Depth=3
	s_andn2_saveexec_b64 s[72:73], s[72:73]
; %bb.4759:                             ;   in Loop: Header=BB4_3353 Depth=3
	v_cmp_lt_i16_e32 vcc, -1, v8
	v_cndmask_b32_e32 v13, v6, v1, vcc
	v_cmp_eq_u32_e32 vcc, 0, v17
	v_mov_b32_e32 v17, 0x7f800001
	v_cndmask_b32_e32 v13, v17, v13, vcc
; %bb.4760:                             ;   in Loop: Header=BB4_3353 Depth=3
	s_or_b64 exec, exec, s[72:73]
.LBB4_4761:                             ;   in Loop: Header=BB4_3353 Depth=3
	s_or_b64 exec, exec, s[70:71]
.LBB4_4762:                             ;   in Loop: Header=BB4_3353 Depth=3
	s_or_b64 exec, exec, s[68:69]
	v_max_f32_e32 v13, v13, v13
	v_max_f32_e32 v9, v9, v9
	;; [unrolled: 1-line block ×3, first 2 shown]
	s_branch .LBB4_4781
.LBB4_4763:                             ;   in Loop: Header=BB4_3353 Depth=3
                                        ; implicit-def: $vgpr9
	s_cbranch_execz .LBB4_4781
; %bb.4764:                             ;   in Loop: Header=BB4_3353 Depth=3
	v_mov_b32_e32 v13, 0
	v_mov_b32_e32 v17, 0
	s_and_saveexec_b64 s[68:69], s[30:31]
	s_cbranch_execz .LBB4_4772
; %bb.4765:                             ;   in Loop: Header=BB4_3353 Depth=3
	v_cmp_ne_u16_e32 vcc, s97, v16
	v_bfrev_b32_e32 v17, 1
	s_and_saveexec_b64 s[30:31], vcc
	s_cbranch_execz .LBB4_4771
; %bb.4766:                             ;   in Loop: Header=BB4_3353 Depth=3
	v_and_b32_e32 v17, 0x7c, v16
	v_and_b32_e32 v9, 3, v16
	v_cmp_ne_u32_e32 vcc, s95, v17
                                        ; implicit-def: $vgpr17
	s_and_saveexec_b64 s[70:71], vcc
	s_xor_b64 s[70:71], exec, s[70:71]
	s_cbranch_execz .LBB4_4768
; %bb.4767:                             ;   in Loop: Header=BB4_3353 Depth=3
	v_ffbh_u32_e32 v33, v9
	v_min_u32_e32 v33, 32, v33
	v_mov_b32_e32 v17, v43
	v_subrev_u32_e32 v50, 29, v33
	v_bfe_u32 v32, v16, 2, 5
	v_lshlrev_b64 v[16:17], v50, v[16:17]
	v_sub_u32_e32 v17, 30, v33
	v_cmp_eq_u32_e32 vcc, 0, v32
	v_and_b32_e32 v16, 3, v16
	v_cndmask_b32_e32 v17, v32, v17, vcc
	v_bfrev_b32_e32 v32, 28
	v_cndmask_b32_e32 v9, v9, v16, vcc
	v_lshlrev_b32_e32 v16, 16, v42
	v_lshl_add_u32 v17, v17, 23, v32
	v_and_or_b32 v16, v16, s96, v17
	v_lshl_or_b32 v17, v9, 21, v16
                                        ; implicit-def: $vgpr9
.LBB4_4768:                             ;   in Loop: Header=BB4_3353 Depth=3
	s_andn2_saveexec_b64 s[70:71], s[70:71]
; %bb.4769:                             ;   in Loop: Header=BB4_3353 Depth=3
	v_cmp_lt_i16_e32 vcc, -1, v42
	v_cndmask_b32_e32 v16, v6, v1, vcc
	v_cmp_eq_u32_e32 vcc, 0, v9
	v_mov_b32_e32 v9, 0x7f800001
	v_cndmask_b32_e32 v17, v9, v16, vcc
; %bb.4770:                             ;   in Loop: Header=BB4_3353 Depth=3
	s_or_b64 exec, exec, s[70:71]
.LBB4_4771:                             ;   in Loop: Header=BB4_3353 Depth=3
	s_or_b64 exec, exec, s[30:31]
.LBB4_4772:                             ;   in Loop: Header=BB4_3353 Depth=3
	s_or_b64 exec, exec, s[68:69]
	v_cmp_ne_u16_e32 vcc, 0, v12
	s_and_saveexec_b64 s[30:31], vcc
	s_cbranch_execz .LBB4_4780
; %bb.4773:                             ;   in Loop: Header=BB4_3353 Depth=3
	v_cmp_ne_u16_e32 vcc, s97, v12
	v_bfrev_b32_e32 v13, 1
	s_and_saveexec_b64 s[68:69], vcc
	s_cbranch_execz .LBB4_4779
; %bb.4774:                             ;   in Loop: Header=BB4_3353 Depth=3
	v_and_b32_e32 v9, 0x7c, v12
	v_and_b32_e32 v16, 3, v12
	v_cmp_ne_u32_e32 vcc, s95, v9
                                        ; implicit-def: $vgpr13
	s_and_saveexec_b64 s[70:71], vcc
	s_xor_b64 s[70:71], exec, s[70:71]
	s_cbranch_execz .LBB4_4776
; %bb.4775:                             ;   in Loop: Header=BB4_3353 Depth=3
	v_ffbh_u32_e32 v32, v16
	v_min_u32_e32 v32, 32, v32
	v_mov_b32_e32 v13, v43
	v_subrev_u32_e32 v33, 29, v32
	v_bfe_u32 v9, v12, 2, 5
	v_lshlrev_b64 v[12:13], v33, v[12:13]
	v_sub_u32_e32 v13, 30, v32
	v_cmp_eq_u32_e32 vcc, 0, v9
	v_cndmask_b32_e32 v9, v9, v13, vcc
	v_bfrev_b32_e32 v13, 28
	v_and_b32_e32 v12, 3, v12
	v_lshlrev_b32_e32 v8, 16, v8
	v_lshl_add_u32 v9, v9, 23, v13
	v_cndmask_b32_e32 v12, v16, v12, vcc
	v_and_or_b32 v8, v8, s96, v9
	v_lshl_or_b32 v13, v12, 21, v8
                                        ; implicit-def: $vgpr16
                                        ; implicit-def: $vgpr8_vgpr9
.LBB4_4776:                             ;   in Loop: Header=BB4_3353 Depth=3
	s_andn2_saveexec_b64 s[70:71], s[70:71]
; %bb.4777:                             ;   in Loop: Header=BB4_3353 Depth=3
	v_cmp_lt_i16_e32 vcc, -1, v8
	v_cndmask_b32_e32 v8, v6, v1, vcc
	v_cmp_eq_u32_e32 vcc, 0, v16
	v_mov_b32_e32 v9, 0x7f800001
	v_cndmask_b32_e32 v13, v9, v8, vcc
; %bb.4778:                             ;   in Loop: Header=BB4_3353 Depth=3
	s_or_b64 exec, exec, s[70:71]
.LBB4_4779:                             ;   in Loop: Header=BB4_3353 Depth=3
	s_or_b64 exec, exec, s[68:69]
.LBB4_4780:                             ;   in Loop: Header=BB4_3353 Depth=3
	s_or_b64 exec, exec, s[30:31]
	v_max_f32_e32 v8, v13, v13
	v_max_f32_e32 v9, v17, v17
	v_min_f32_e32 v9, v9, v8
.LBB4_4781:                             ;   in Loop: Header=BB4_3353 Depth=3
	v_and_b32_sdwa v12, v9, s97 dst_sel:DWORD dst_unused:UNUSED_PAD src0_sel:BYTE_3 src1_sel:DWORD
	v_and_b32_e32 v16, 0x7f800000, v9
	v_mov_b32_e32 v17, v43
	v_and_b32_e32 v42, 0x7fffff, v9
	v_or_b32_e32 v13, 0x7b, v12
	v_cmp_ne_u64_e32 vcc, s[52:53], v[16:17]
	s_and_saveexec_b64 s[30:31], vcc
	s_xor_b64 s[68:69], exec, s[30:31]
	s_cbranch_execz .LBB4_4791
; %bb.4782:                             ;   in Loop: Header=BB4_3353 Depth=3
	v_and_b32_e32 v16, 0x7fffffff, v9
	v_mov_b32_e32 v17, v43
	v_cmp_gt_u64_e32 vcc, s[54:55], v[16:17]
	s_and_saveexec_b64 s[70:71], vcc
	s_cbranch_execz .LBB4_4790
; %bb.4783:                             ;   in Loop: Header=BB4_3353 Depth=3
	v_cmp_ne_u32_e32 vcc, 0, v9
	v_mov_b32_e32 v13, 0
	s_and_saveexec_b64 s[72:73], vcc
	s_cbranch_execz .LBB4_4789
; %bb.4784:                             ;   in Loop: Header=BB4_3353 Depth=3
	v_bfe_u32 v8, v9, 23, 8
	v_cmp_eq_u32_e32 vcc, 0, v8
	v_add_u32_e32 v9, 0xffffff81, v8
	v_cmp_gt_u32_e64 s[30:31], s38, v8
	v_sub_u32_e32 v8, 0x71, v8
	v_mov_b32_e32 v16, 0xffffff82
	v_cndmask_b32_e64 v8, 0, v8, s[30:31]
	v_cndmask_b32_e32 v32, v9, v16, vcc
	v_mov_b32_e32 v9, 0x70
	v_cndmask_b32_e32 v33, v8, v9, vcc
	v_add_u32_e32 v8, 21, v33
	v_or_b32_e32 v13, 0x800000, v42
	v_lshlrev_b64 v[8:9], v8, -1
	v_cndmask_b32_e32 v42, v13, v42, vcc
	v_not_b32_e32 v9, v9
	v_not_b32_e32 v8, v8
	v_add_u32_e32 v13, 20, v33
	v_and_b32_e32 v9, 0, v9
	v_and_b32_e32 v8, v42, v8
	v_lshlrev_b64 v[16:17], v13, 1
	v_cmp_eq_u64_e32 vcc, v[8:9], v[16:17]
	v_lshrrev_b64 v[8:9], v33, v[42:43]
	v_lshrrev_b32_e32 v13, 23, v8
	v_add3_u32 v17, v33, v32, v13
	v_bfe_u32 v13, v8, 21, 1
	v_add_u32_e32 v13, -1, v13
	v_cndmask_b32_e32 v13, 0, v13, vcc
	v_add_u32_e32 v13, v13, v8
	v_and_b32_e32 v13, 0x1fffff, v13
	v_add_co_u32_e32 v8, vcc, v13, v8
	v_add_u32_e32 v16, 14, v17
	v_addc_co_u32_e32 v9, vcc, 0, v9, vcc
	v_cmp_ne_u32_e32 vcc, 0, v16
                                        ; implicit-def: $vgpr13
	s_and_saveexec_b64 s[30:31], vcc
	s_xor_b64 s[30:31], exec, s[30:31]
; %bb.4785:                             ;   in Loop: Header=BB4_3353 Depth=3
	v_add_u32_e32 v13, 15, v17
	v_cmp_lt_u64_e32 vcc, s[56:57], v[8:9]
	v_cndmask_b32_e32 v13, v16, v13, vcc
	v_cndmask_b32_e64 v16, 0, 1, vcc
	v_lshrrev_b64 v[8:9], v16, v[8:9]
; %bb.4786:                             ;   in Loop: Header=BB4_3353 Depth=3
	s_andn2_saveexec_b64 vcc, s[30:31]
; %bb.4787:                             ;   in Loop: Header=BB4_3353 Depth=3
	v_bfe_u32 v13, v8, 23, 1
; %bb.4788:                             ;   in Loop: Header=BB4_3353 Depth=3
	s_or_b64 exec, exec, vcc
	v_lshrrev_b64 v[8:9], 21, v[8:9]
	v_cmp_gt_i32_e32 vcc, 32, v13
	v_cndmask_b32_e32 v9, 0, v9, vcc
	v_cndmask_b32_e32 v8, 3, v8, vcc
	v_cmp_eq_u64_e64 s[30:31], 0, v[8:9]
	v_min_i32_e32 v9, 31, v13
	v_cmp_eq_u32_e32 vcc, 0, v13
	v_lshlrev_b32_e32 v9, 2, v9
	v_and_or_b32 v8, v8, 3, v9
	s_and_b64 vcc, vcc, s[30:31]
	v_cndmask_b32_e64 v8, v8, 0, vcc
	v_or_b32_e32 v13, v8, v12
.LBB4_4789:                             ;   in Loop: Header=BB4_3353 Depth=3
	s_or_b64 exec, exec, s[72:73]
.LBB4_4790:                             ;   in Loop: Header=BB4_3353 Depth=3
	s_or_b64 exec, exec, s[70:71]
                                        ; implicit-def: $vgpr9
.LBB4_4791:                             ;   in Loop: Header=BB4_3353 Depth=3
	s_andn2_saveexec_b64 s[30:31], s[68:69]
; %bb.4792:                             ;   in Loop: Header=BB4_3353 Depth=3
	v_or_b32_sdwa v8, v9, s39 dst_sel:DWORD dst_unused:UNUSED_PAD src0_sel:BYTE_3 src1_sel:DWORD
	v_cmp_eq_u64_e32 vcc, 0, v[42:43]
	v_cndmask_b32_e32 v13, v8, v13, vcc
; %bb.4793:                             ;   in Loop: Header=BB4_3353 Depth=3
	s_or_b64 exec, exec, s[30:31]
	v_lshrrev_b32_e32 v12, 16, v15
	v_lshrrev_b32_e32 v8, 16, v11
	s_and_b64 vcc, exec, s[28:29]
	v_cmp_ne_u16_sdwa s[30:31], v12, v43 src0_sel:BYTE_0 src1_sel:DWORD
	s_cbranch_vccnz .LBB4_4811
; %bb.4794:                             ;   in Loop: Header=BB4_3353 Depth=3
	v_mov_b32_e32 v16, 0
	v_mov_b32_e32 v9, 0
	s_and_saveexec_b64 s[68:69], s[30:31]
	s_cbranch_execz .LBB4_4802
; %bb.4795:                             ;   in Loop: Header=BB4_3353 Depth=3
	v_cmp_ne_u16_sdwa vcc, v12, s97 src0_sel:BYTE_0 src1_sel:DWORD
	v_bfrev_b32_e32 v9, 1
	s_and_saveexec_b64 s[70:71], vcc
	s_cbranch_execz .LBB4_4801
; %bb.4796:                             ;   in Loop: Header=BB4_3353 Depth=3
	v_and_b32_e32 v9, 0x7c0000, v15
	v_bfe_u32 v17, v15, 16, 2
	v_cmp_ne_u32_e32 vcc, s36, v9
                                        ; implicit-def: $vgpr9
	s_and_saveexec_b64 s[72:73], vcc
	s_xor_b64 s[72:73], exec, s[72:73]
	s_cbranch_execz .LBB4_4798
; %bb.4797:                             ;   in Loop: Header=BB4_3353 Depth=3
	v_ffbh_u32_e32 v32, v17
	v_min_u32_e32 v32, 32, v32
	v_subrev_u32_e32 v33, 29, v32
	v_bfe_u32 v9, v15, 18, 5
	v_lshlrev_b64 v[50:51], v33, v[12:13]
	v_sub_u32_e32 v32, 30, v32
	v_and_b32_e32 v33, 3, v50
	v_cmp_eq_u32_e32 vcc, 0, v9
	v_cndmask_b32_e32 v9, v9, v32, vcc
	v_cndmask_b32_e32 v17, v17, v33, vcc
	v_bfrev_b32_e32 v33, 28
	v_lshlrev_b32_e32 v32, 24, v12
	v_lshl_add_u32 v9, v9, 23, v33
	v_and_or_b32 v9, v32, s96, v9
	v_lshl_or_b32 v9, v17, 21, v9
                                        ; implicit-def: $vgpr17
.LBB4_4798:                             ;   in Loop: Header=BB4_3353 Depth=3
	s_andn2_saveexec_b64 s[72:73], s[72:73]
; %bb.4799:                             ;   in Loop: Header=BB4_3353 Depth=3
	v_mov_b32_e32 v9, -1
	v_cmp_gt_i16_sdwa vcc, sext(v12), v9 src0_sel:BYTE_0 src1_sel:DWORD
	v_cndmask_b32_e32 v9, v6, v1, vcc
	v_cmp_eq_u32_e32 vcc, 0, v17
	v_mov_b32_e32 v17, 0x7f800001
	v_cndmask_b32_e32 v9, v17, v9, vcc
; %bb.4800:                             ;   in Loop: Header=BB4_3353 Depth=3
	s_or_b64 exec, exec, s[72:73]
.LBB4_4801:                             ;   in Loop: Header=BB4_3353 Depth=3
	s_or_b64 exec, exec, s[70:71]
.LBB4_4802:                             ;   in Loop: Header=BB4_3353 Depth=3
	s_or_b64 exec, exec, s[68:69]
	v_cmp_ne_u16_sdwa vcc, v8, v43 src0_sel:BYTE_0 src1_sel:DWORD
	s_and_saveexec_b64 s[68:69], vcc
	s_cbranch_execz .LBB4_4810
; %bb.4803:                             ;   in Loop: Header=BB4_3353 Depth=3
	v_cmp_ne_u16_sdwa vcc, v8, s97 src0_sel:BYTE_0 src1_sel:DWORD
	v_bfrev_b32_e32 v16, 1
	s_and_saveexec_b64 s[70:71], vcc
	s_cbranch_execz .LBB4_4809
; %bb.4804:                             ;   in Loop: Header=BB4_3353 Depth=3
	v_and_b32_e32 v16, 0x7c0000, v11
	v_bfe_u32 v17, v11, 16, 2
	v_cmp_ne_u32_e32 vcc, s36, v16
                                        ; implicit-def: $vgpr16
	s_and_saveexec_b64 s[72:73], vcc
	s_xor_b64 s[72:73], exec, s[72:73]
	s_cbranch_execz .LBB4_4806
; %bb.4805:                             ;   in Loop: Header=BB4_3353 Depth=3
	v_ffbh_u32_e32 v32, v17
	v_min_u32_e32 v32, 32, v32
	v_subrev_u32_e32 v33, 29, v32
	v_bfe_u32 v16, v11, 18, 5
	v_lshlrev_b64 v[50:51], v33, v[8:9]
	v_sub_u32_e32 v32, 30, v32
	v_and_b32_e32 v33, 3, v50
	v_cmp_eq_u32_e32 vcc, 0, v16
	v_cndmask_b32_e32 v16, v16, v32, vcc
	v_cndmask_b32_e32 v17, v17, v33, vcc
	v_bfrev_b32_e32 v33, 28
	v_lshlrev_b32_e32 v32, 24, v8
	v_lshl_add_u32 v16, v16, 23, v33
	v_and_or_b32 v16, v32, s96, v16
	v_lshl_or_b32 v16, v17, 21, v16
                                        ; implicit-def: $vgpr17
.LBB4_4806:                             ;   in Loop: Header=BB4_3353 Depth=3
	s_andn2_saveexec_b64 s[72:73], s[72:73]
; %bb.4807:                             ;   in Loop: Header=BB4_3353 Depth=3
	v_mov_b32_e32 v16, -1
	v_cmp_gt_i16_sdwa vcc, sext(v8), v16 src0_sel:BYTE_0 src1_sel:DWORD
	v_cndmask_b32_e32 v16, v6, v1, vcc
	v_cmp_eq_u32_e32 vcc, 0, v17
	v_mov_b32_e32 v17, 0x7f800001
	v_cndmask_b32_e32 v16, v17, v16, vcc
; %bb.4808:                             ;   in Loop: Header=BB4_3353 Depth=3
	s_or_b64 exec, exec, s[72:73]
.LBB4_4809:                             ;   in Loop: Header=BB4_3353 Depth=3
	s_or_b64 exec, exec, s[70:71]
.LBB4_4810:                             ;   in Loop: Header=BB4_3353 Depth=3
	s_or_b64 exec, exec, s[68:69]
	v_max_f32_e32 v16, v16, v16
	v_max_f32_e32 v9, v9, v9
	;; [unrolled: 1-line block ×3, first 2 shown]
	s_branch .LBB4_4829
.LBB4_4811:                             ;   in Loop: Header=BB4_3353 Depth=3
                                        ; implicit-def: $vgpr9
	s_cbranch_execz .LBB4_4829
; %bb.4812:                             ;   in Loop: Header=BB4_3353 Depth=3
	v_mov_b32_e32 v16, 0
	v_mov_b32_e32 v9, 0
	s_and_saveexec_b64 s[68:69], s[30:31]
	s_cbranch_execz .LBB4_4820
; %bb.4813:                             ;   in Loop: Header=BB4_3353 Depth=3
	v_cmp_ne_u16_sdwa vcc, v12, s97 src0_sel:BYTE_0 src1_sel:DWORD
	v_bfrev_b32_e32 v9, 1
	s_and_saveexec_b64 s[30:31], vcc
	s_cbranch_execz .LBB4_4819
; %bb.4814:                             ;   in Loop: Header=BB4_3353 Depth=3
	v_and_b32_e32 v9, 0x7c0000, v15
	v_bfe_u32 v17, v15, 16, 2
	v_cmp_ne_u32_e32 vcc, s36, v9
                                        ; implicit-def: $vgpr9
	s_and_saveexec_b64 s[70:71], vcc
	s_xor_b64 s[70:71], exec, s[70:71]
	s_cbranch_execz .LBB4_4816
; %bb.4815:                             ;   in Loop: Header=BB4_3353 Depth=3
	v_ffbh_u32_e32 v32, v17
	v_bfe_u32 v9, v15, 18, 5
	v_min_u32_e32 v32, 32, v32
	v_subrev_u32_e32 v33, 29, v32
	v_sub_u32_e32 v32, 30, v32
	v_cmp_eq_u32_e32 vcc, 0, v9
	v_lshlrev_b64 v[50:51], v33, v[12:13]
	v_cndmask_b32_e32 v9, v9, v32, vcc
	v_bfrev_b32_e32 v32, 28
	v_and_b32_e32 v33, 3, v50
	v_lshlrev_b32_e32 v12, 24, v12
	v_lshl_add_u32 v9, v9, 23, v32
	v_cndmask_b32_e32 v17, v17, v33, vcc
	v_and_or_b32 v9, v12, s96, v9
	v_lshl_or_b32 v9, v17, 21, v9
                                        ; implicit-def: $vgpr17
                                        ; implicit-def: $vgpr12
.LBB4_4816:                             ;   in Loop: Header=BB4_3353 Depth=3
	s_andn2_saveexec_b64 s[70:71], s[70:71]
; %bb.4817:                             ;   in Loop: Header=BB4_3353 Depth=3
	v_mov_b32_e32 v9, -1
	v_cmp_gt_i16_sdwa vcc, sext(v12), v9 src0_sel:BYTE_0 src1_sel:DWORD
	v_cndmask_b32_e32 v9, v6, v1, vcc
	v_cmp_eq_u32_e32 vcc, 0, v17
	v_mov_b32_e32 v12, 0x7f800001
	v_cndmask_b32_e32 v9, v12, v9, vcc
; %bb.4818:                             ;   in Loop: Header=BB4_3353 Depth=3
	s_or_b64 exec, exec, s[70:71]
.LBB4_4819:                             ;   in Loop: Header=BB4_3353 Depth=3
	s_or_b64 exec, exec, s[30:31]
.LBB4_4820:                             ;   in Loop: Header=BB4_3353 Depth=3
	s_or_b64 exec, exec, s[68:69]
	v_cmp_ne_u16_sdwa vcc, v8, v43 src0_sel:BYTE_0 src1_sel:DWORD
	s_and_saveexec_b64 s[30:31], vcc
	s_cbranch_execz .LBB4_4828
; %bb.4821:                             ;   in Loop: Header=BB4_3353 Depth=3
	v_cmp_ne_u16_sdwa vcc, v8, s97 src0_sel:BYTE_0 src1_sel:DWORD
	v_bfrev_b32_e32 v16, 1
	s_and_saveexec_b64 s[68:69], vcc
	s_cbranch_execz .LBB4_4827
; %bb.4822:                             ;   in Loop: Header=BB4_3353 Depth=3
	v_and_b32_e32 v16, 0x7c0000, v11
	v_bfe_u32 v12, v11, 16, 2
	v_cmp_ne_u32_e32 vcc, s36, v16
                                        ; implicit-def: $vgpr16
	s_and_saveexec_b64 s[70:71], vcc
	s_xor_b64 s[70:71], exec, s[70:71]
	s_cbranch_execz .LBB4_4824
; %bb.4823:                             ;   in Loop: Header=BB4_3353 Depth=3
	v_ffbh_u32_e32 v16, v12
	v_min_u32_e32 v33, 32, v16
	v_subrev_u32_e32 v16, 29, v33
	v_bfe_u32 v32, v11, 18, 5
	v_lshlrev_b64 v[16:17], v16, v[8:9]
	v_sub_u32_e32 v17, 30, v33
	v_and_b32_e32 v16, 3, v16
	v_cmp_eq_u32_e32 vcc, 0, v32
	v_cndmask_b32_e32 v17, v32, v17, vcc
	v_cndmask_b32_e32 v12, v12, v16, vcc
	v_bfrev_b32_e32 v16, 28
	v_lshlrev_b32_e32 v8, 24, v8
	v_lshl_add_u32 v16, v17, 23, v16
	v_and_or_b32 v8, v8, s96, v16
	v_lshl_or_b32 v16, v12, 21, v8
                                        ; implicit-def: $vgpr12
                                        ; implicit-def: $vgpr8
.LBB4_4824:                             ;   in Loop: Header=BB4_3353 Depth=3
	s_andn2_saveexec_b64 s[70:71], s[70:71]
; %bb.4825:                             ;   in Loop: Header=BB4_3353 Depth=3
	v_mov_b32_e32 v16, -1
	v_cmp_gt_i16_sdwa vcc, sext(v8), v16 src0_sel:BYTE_0 src1_sel:DWORD
	v_cndmask_b32_e32 v8, v6, v1, vcc
	v_cmp_eq_u32_e32 vcc, 0, v12
	v_mov_b32_e32 v12, 0x7f800001
	v_cndmask_b32_e32 v16, v12, v8, vcc
; %bb.4826:                             ;   in Loop: Header=BB4_3353 Depth=3
	s_or_b64 exec, exec, s[70:71]
.LBB4_4827:                             ;   in Loop: Header=BB4_3353 Depth=3
	s_or_b64 exec, exec, s[68:69]
.LBB4_4828:                             ;   in Loop: Header=BB4_3353 Depth=3
	s_or_b64 exec, exec, s[30:31]
	v_max_f32_e32 v8, v16, v16
	v_max_f32_e32 v9, v9, v9
	v_min_f32_e32 v9, v9, v8
.LBB4_4829:                             ;   in Loop: Header=BB4_3353 Depth=3
	v_and_b32_sdwa v12, v9, s97 dst_sel:DWORD dst_unused:UNUSED_PAD src0_sel:BYTE_3 src1_sel:DWORD
	v_and_b32_e32 v50, 0x7f800000, v9
	v_mov_b32_e32 v51, v43
	v_and_b32_e32 v42, 0x7fffff, v9
	v_or_b32_e32 v16, 0x7b, v12
	v_cmp_ne_u64_e32 vcc, s[52:53], v[50:51]
	s_and_saveexec_b64 s[30:31], vcc
	s_xor_b64 s[68:69], exec, s[30:31]
	s_cbranch_execz .LBB4_4839
; %bb.4830:                             ;   in Loop: Header=BB4_3353 Depth=3
	v_and_b32_e32 v50, 0x7fffffff, v9
	v_mov_b32_e32 v51, v43
	v_cmp_gt_u64_e32 vcc, s[54:55], v[50:51]
	s_and_saveexec_b64 s[70:71], vcc
	s_cbranch_execz .LBB4_4838
; %bb.4831:                             ;   in Loop: Header=BB4_3353 Depth=3
	v_cmp_ne_u32_e32 vcc, 0, v9
	v_mov_b32_e32 v16, 0
	s_and_saveexec_b64 s[72:73], vcc
	s_cbranch_execz .LBB4_4837
; %bb.4832:                             ;   in Loop: Header=BB4_3353 Depth=3
	v_bfe_u32 v8, v9, 23, 8
	v_cmp_eq_u32_e32 vcc, 0, v8
	v_add_u32_e32 v9, 0xffffff81, v8
	v_cmp_gt_u32_e64 s[30:31], s38, v8
	v_sub_u32_e32 v8, 0x71, v8
	v_mov_b32_e32 v17, 0xffffff82
	v_cndmask_b32_e64 v8, 0, v8, s[30:31]
	v_cndmask_b32_e32 v32, v9, v17, vcc
	v_mov_b32_e32 v9, 0x70
	v_cndmask_b32_e32 v33, v8, v9, vcc
	v_add_u32_e32 v8, 21, v33
	v_or_b32_e32 v16, 0x800000, v42
	v_lshlrev_b64 v[8:9], v8, -1
	v_cndmask_b32_e32 v42, v16, v42, vcc
	v_not_b32_e32 v9, v9
	v_not_b32_e32 v8, v8
	v_add_u32_e32 v16, 20, v33
	v_and_b32_e32 v9, 0, v9
	v_and_b32_e32 v8, v42, v8
	v_lshlrev_b64 v[16:17], v16, 1
	v_cmp_eq_u64_e32 vcc, v[8:9], v[16:17]
	v_lshrrev_b64 v[8:9], v33, v[42:43]
	v_lshrrev_b32_e32 v16, 23, v8
	v_add3_u32 v50, v33, v32, v16
	v_bfe_u32 v16, v8, 21, 1
	v_add_u32_e32 v16, -1, v16
	v_cndmask_b32_e32 v16, 0, v16, vcc
	v_add_u32_e32 v16, v16, v8
	v_and_b32_e32 v16, 0x1fffff, v16
	v_add_co_u32_e32 v8, vcc, v16, v8
	v_add_u32_e32 v17, 14, v50
	v_addc_co_u32_e32 v9, vcc, 0, v9, vcc
	v_cmp_ne_u32_e32 vcc, 0, v17
                                        ; implicit-def: $vgpr16
	s_and_saveexec_b64 s[30:31], vcc
	s_xor_b64 s[30:31], exec, s[30:31]
; %bb.4833:                             ;   in Loop: Header=BB4_3353 Depth=3
	v_add_u32_e32 v16, 15, v50
	v_cmp_lt_u64_e32 vcc, s[56:57], v[8:9]
	v_cndmask_b32_e32 v16, v17, v16, vcc
	v_cndmask_b32_e64 v17, 0, 1, vcc
	v_lshrrev_b64 v[8:9], v17, v[8:9]
; %bb.4834:                             ;   in Loop: Header=BB4_3353 Depth=3
	s_andn2_saveexec_b64 vcc, s[30:31]
; %bb.4835:                             ;   in Loop: Header=BB4_3353 Depth=3
	v_bfe_u32 v16, v8, 23, 1
; %bb.4836:                             ;   in Loop: Header=BB4_3353 Depth=3
	s_or_b64 exec, exec, vcc
	v_lshrrev_b64 v[8:9], 21, v[8:9]
	v_cmp_gt_i32_e32 vcc, 32, v16
	v_cndmask_b32_e32 v9, 0, v9, vcc
	v_cndmask_b32_e32 v8, 3, v8, vcc
	v_cmp_eq_u64_e64 s[30:31], 0, v[8:9]
	v_min_i32_e32 v9, 31, v16
	v_cmp_eq_u32_e32 vcc, 0, v16
	v_lshlrev_b32_e32 v9, 2, v9
	v_and_or_b32 v8, v8, 3, v9
	s_and_b64 vcc, vcc, s[30:31]
	v_cndmask_b32_e64 v8, v8, 0, vcc
	v_or_b32_e32 v16, v8, v12
.LBB4_4837:                             ;   in Loop: Header=BB4_3353 Depth=3
	s_or_b64 exec, exec, s[72:73]
.LBB4_4838:                             ;   in Loop: Header=BB4_3353 Depth=3
	s_or_b64 exec, exec, s[70:71]
                                        ; implicit-def: $vgpr9
.LBB4_4839:                             ;   in Loop: Header=BB4_3353 Depth=3
	s_andn2_saveexec_b64 s[30:31], s[68:69]
; %bb.4840:                             ;   in Loop: Header=BB4_3353 Depth=3
	v_or_b32_sdwa v8, v9, s39 dst_sel:DWORD dst_unused:UNUSED_PAD src0_sel:BYTE_3 src1_sel:DWORD
	v_cmp_eq_u64_e32 vcc, 0, v[42:43]
	v_cndmask_b32_e32 v16, v8, v16, vcc
; %bb.4841:                             ;   in Loop: Header=BB4_3353 Depth=3
	s_or_b64 exec, exec, s[30:31]
	v_lshrrev_b32_e32 v12, 24, v15
	v_lshrrev_b32_e32 v8, 24, v11
	s_and_b64 vcc, exec, s[28:29]
	v_cmp_lt_u64_e64 s[28:29], s[42:43], v[14:15]
	s_cbranch_vccnz .LBB4_4859
; %bb.4842:                             ;   in Loop: Header=BB4_3353 Depth=3
	v_mov_b32_e32 v17, 0
	v_mov_b32_e32 v9, 0
	s_and_saveexec_b64 s[30:31], s[28:29]
	s_cbranch_execz .LBB4_4850
; %bb.4843:                             ;   in Loop: Header=BB4_3353 Depth=3
	v_cmp_ne_u32_e32 vcc, s97, v12
	v_bfrev_b32_e32 v9, 1
	s_and_saveexec_b64 s[68:69], vcc
	s_cbranch_execz .LBB4_4849
; %bb.4844:                             ;   in Loop: Header=BB4_3353 Depth=3
	v_and_b32_e32 v9, 0x7c000000, v15
	v_bfe_u32 v50, v15, 24, 2
	v_cmp_ne_u32_e32 vcc, s37, v9
                                        ; implicit-def: $vgpr9
	s_and_saveexec_b64 s[70:71], vcc
	s_xor_b64 s[70:71], exec, s[70:71]
	s_cbranch_execz .LBB4_4846
; %bb.4845:                             ;   in Loop: Header=BB4_3353 Depth=3
	v_ffbh_u32_e32 v32, v50
	v_min_u32_e32 v32, 32, v32
	v_subrev_u32_e32 v33, 29, v32
	v_bfe_u32 v9, v15, 26, 5
	v_mov_b32_e32 v51, v56
	v_mov_b32_e32 v54, v57
	v_lshlrev_b64 v[56:57], v33, v[12:13]
	v_sub_u32_e32 v32, 30, v32
	v_and_b32_e32 v33, 3, v56
	v_cmp_eq_u32_e32 vcc, 0, v9
	v_cndmask_b32_e32 v9, v9, v32, vcc
	v_cndmask_b32_e32 v32, v50, v33, vcc
	v_bfrev_b32_e32 v33, 28
	v_lshl_add_u32 v9, v9, 23, v33
	v_and_or_b32 v9, v15, s96, v9
	v_mov_b32_e32 v57, v54
	v_mov_b32_e32 v56, v51
	v_lshl_or_b32 v9, v32, 21, v9
                                        ; implicit-def: $vgpr50
.LBB4_4846:                             ;   in Loop: Header=BB4_3353 Depth=3
	s_andn2_saveexec_b64 s[70:71], s[70:71]
; %bb.4847:                             ;   in Loop: Header=BB4_3353 Depth=3
	v_cmp_lt_i64_e32 vcc, -1, v[14:15]
	v_cndmask_b32_e32 v9, v6, v1, vcc
	v_cmp_eq_u32_e32 vcc, 0, v50
	v_mov_b32_e32 v32, 0x7f800001
	v_cndmask_b32_e32 v9, v32, v9, vcc
; %bb.4848:                             ;   in Loop: Header=BB4_3353 Depth=3
	s_or_b64 exec, exec, s[70:71]
.LBB4_4849:                             ;   in Loop: Header=BB4_3353 Depth=3
	s_or_b64 exec, exec, s[68:69]
.LBB4_4850:                             ;   in Loop: Header=BB4_3353 Depth=3
	s_or_b64 exec, exec, s[30:31]
	v_cmp_lt_u64_e32 vcc, s[42:43], v[10:11]
	s_and_saveexec_b64 s[30:31], vcc
	s_cbranch_execz .LBB4_4858
; %bb.4851:                             ;   in Loop: Header=BB4_3353 Depth=3
	v_cmp_ne_u32_e32 vcc, s97, v8
	v_bfrev_b32_e32 v17, 1
	s_and_saveexec_b64 s[68:69], vcc
	s_cbranch_execz .LBB4_4857
; %bb.4852:                             ;   in Loop: Header=BB4_3353 Depth=3
	v_and_b32_e32 v17, 0x7c000000, v11
	v_bfe_u32 v50, v11, 24, 2
	v_cmp_ne_u32_e32 vcc, s37, v17
                                        ; implicit-def: $vgpr17
	s_and_saveexec_b64 s[70:71], vcc
	s_xor_b64 s[70:71], exec, s[70:71]
	s_cbranch_execz .LBB4_4854
; %bb.4853:                             ;   in Loop: Header=BB4_3353 Depth=3
	v_ffbh_u32_e32 v32, v50
	v_min_u32_e32 v32, 32, v32
	v_subrev_u32_e32 v33, 29, v32
	v_bfe_u32 v17, v11, 26, 5
	v_mov_b32_e32 v51, v56
	v_mov_b32_e32 v54, v57
	v_lshlrev_b64 v[56:57], v33, v[8:9]
	v_sub_u32_e32 v32, 30, v32
	v_and_b32_e32 v33, 3, v56
	v_cmp_eq_u32_e32 vcc, 0, v17
	v_cndmask_b32_e32 v17, v17, v32, vcc
	v_cndmask_b32_e32 v32, v50, v33, vcc
	v_bfrev_b32_e32 v33, 28
	v_lshl_add_u32 v17, v17, 23, v33
	v_and_or_b32 v17, v11, s96, v17
	v_mov_b32_e32 v57, v54
	v_mov_b32_e32 v56, v51
	v_lshl_or_b32 v17, v32, 21, v17
                                        ; implicit-def: $vgpr50
.LBB4_4854:                             ;   in Loop: Header=BB4_3353 Depth=3
	s_andn2_saveexec_b64 s[70:71], s[70:71]
; %bb.4855:                             ;   in Loop: Header=BB4_3353 Depth=3
	v_cmp_lt_i64_e32 vcc, -1, v[10:11]
	v_cndmask_b32_e32 v17, v6, v1, vcc
	v_cmp_eq_u32_e32 vcc, 0, v50
	v_mov_b32_e32 v32, 0x7f800001
	v_cndmask_b32_e32 v17, v32, v17, vcc
; %bb.4856:                             ;   in Loop: Header=BB4_3353 Depth=3
	s_or_b64 exec, exec, s[70:71]
.LBB4_4857:                             ;   in Loop: Header=BB4_3353 Depth=3
	s_or_b64 exec, exec, s[68:69]
.LBB4_4858:                             ;   in Loop: Header=BB4_3353 Depth=3
	s_or_b64 exec, exec, s[30:31]
	v_max_f32_e32 v17, v17, v17
	v_max_f32_e32 v9, v9, v9
	;; [unrolled: 1-line block ×3, first 2 shown]
	s_branch .LBB4_4877
.LBB4_4859:                             ;   in Loop: Header=BB4_3353 Depth=3
                                        ; implicit-def: $vgpr9
	s_cbranch_execz .LBB4_4877
; %bb.4860:                             ;   in Loop: Header=BB4_3353 Depth=3
	v_mov_b32_e32 v17, 0
	v_mov_b32_e32 v9, 0
	s_and_saveexec_b64 s[30:31], s[28:29]
	s_cbranch_execz .LBB4_4868
; %bb.4861:                             ;   in Loop: Header=BB4_3353 Depth=3
	v_cmp_ne_u32_e32 vcc, s97, v12
	v_bfrev_b32_e32 v9, 1
	s_and_saveexec_b64 s[28:29], vcc
	s_cbranch_execz .LBB4_4867
; %bb.4862:                             ;   in Loop: Header=BB4_3353 Depth=3
	v_and_b32_e32 v9, 0x7c000000, v15
	v_bfe_u32 v54, v15, 24, 2
	v_cmp_ne_u32_e32 vcc, s37, v9
                                        ; implicit-def: $vgpr9
	s_and_saveexec_b64 s[68:69], vcc
	s_xor_b64 s[68:69], exec, s[68:69]
	s_cbranch_execz .LBB4_4864
; %bb.4863:                             ;   in Loop: Header=BB4_3353 Depth=3
	v_ffbh_u32_e32 v14, v54
	v_min_u32_e32 v14, 32, v14
	v_subrev_u32_e32 v32, 29, v14
	v_bfe_u32 v9, v15, 26, 5
	v_lshlrev_b64 v[50:51], v32, v[12:13]
	v_sub_u32_e32 v12, 30, v14
	v_and_b32_e32 v14, 3, v50
	v_cmp_eq_u32_e32 vcc, 0, v9
	v_cndmask_b32_e32 v9, v9, v12, vcc
	v_cndmask_b32_e32 v12, v54, v14, vcc
	v_bfrev_b32_e32 v14, 28
	v_lshl_add_u32 v9, v9, 23, v14
	v_and_or_b32 v9, v15, s96, v9
	v_lshl_or_b32 v9, v12, 21, v9
                                        ; implicit-def: $vgpr54
                                        ; implicit-def: $vgpr14_vgpr15
.LBB4_4864:                             ;   in Loop: Header=BB4_3353 Depth=3
	s_andn2_saveexec_b64 s[68:69], s[68:69]
; %bb.4865:                             ;   in Loop: Header=BB4_3353 Depth=3
	v_cmp_lt_i64_e32 vcc, -1, v[14:15]
	v_cndmask_b32_e32 v9, v6, v1, vcc
	v_cmp_eq_u32_e32 vcc, 0, v54
	v_mov_b32_e32 v12, 0x7f800001
	v_cndmask_b32_e32 v9, v12, v9, vcc
; %bb.4866:                             ;   in Loop: Header=BB4_3353 Depth=3
	s_or_b64 exec, exec, s[68:69]
.LBB4_4867:                             ;   in Loop: Header=BB4_3353 Depth=3
	s_or_b64 exec, exec, s[28:29]
.LBB4_4868:                             ;   in Loop: Header=BB4_3353 Depth=3
	s_or_b64 exec, exec, s[30:31]
	v_cmp_lt_u64_e32 vcc, s[42:43], v[10:11]
	s_and_saveexec_b64 s[28:29], vcc
	s_cbranch_execz .LBB4_4876
; %bb.4869:                             ;   in Loop: Header=BB4_3353 Depth=3
	v_cmp_ne_u32_e32 vcc, s97, v8
	v_bfrev_b32_e32 v17, 1
	s_and_saveexec_b64 s[30:31], vcc
	s_cbranch_execz .LBB4_4875
; %bb.4870:                             ;   in Loop: Header=BB4_3353 Depth=3
	v_and_b32_e32 v14, 0x7c000000, v11
	v_bfe_u32 v12, v11, 24, 2
	v_cmp_ne_u32_e32 vcc, s37, v14
                                        ; implicit-def: $vgpr17
	s_and_saveexec_b64 s[68:69], vcc
	s_xor_b64 s[68:69], exec, s[68:69]
	s_cbranch_execz .LBB4_4872
; %bb.4871:                             ;   in Loop: Header=BB4_3353 Depth=3
	v_ffbh_u32_e32 v14, v12
	v_min_u32_e32 v17, 32, v14
	v_subrev_u32_e32 v14, 29, v17
	v_bfe_u32 v10, v11, 26, 5
	v_lshlrev_b64 v[14:15], v14, v[8:9]
	v_sub_u32_e32 v8, 30, v17
	v_and_b32_e32 v14, 3, v14
	v_cmp_eq_u32_e32 vcc, 0, v10
	v_cndmask_b32_e32 v8, v10, v8, vcc
	v_cndmask_b32_e32 v10, v12, v14, vcc
	v_bfrev_b32_e32 v12, 28
	v_lshl_add_u32 v8, v8, 23, v12
	v_and_or_b32 v8, v11, s96, v8
	v_lshl_or_b32 v17, v10, 21, v8
                                        ; implicit-def: $vgpr12
                                        ; implicit-def: $vgpr10_vgpr11
.LBB4_4872:                             ;   in Loop: Header=BB4_3353 Depth=3
	s_andn2_saveexec_b64 s[68:69], s[68:69]
; %bb.4873:                             ;   in Loop: Header=BB4_3353 Depth=3
	v_cmp_lt_i64_e32 vcc, -1, v[10:11]
	v_cndmask_b32_e32 v8, v6, v1, vcc
	v_cmp_eq_u32_e32 vcc, 0, v12
	v_mov_b32_e32 v10, 0x7f800001
	v_cndmask_b32_e32 v17, v10, v8, vcc
; %bb.4874:                             ;   in Loop: Header=BB4_3353 Depth=3
	s_or_b64 exec, exec, s[68:69]
.LBB4_4875:                             ;   in Loop: Header=BB4_3353 Depth=3
	s_or_b64 exec, exec, s[30:31]
.LBB4_4876:                             ;   in Loop: Header=BB4_3353 Depth=3
	s_or_b64 exec, exec, s[28:29]
	v_max_f32_e32 v8, v17, v17
	v_max_f32_e32 v9, v9, v9
	v_min_f32_e32 v9, v9, v8
.LBB4_4877:                             ;   in Loop: Header=BB4_3353 Depth=3
	v_and_b32_sdwa v10, v9, s97 dst_sel:DWORD dst_unused:UNUSED_PAD src0_sel:BYTE_3 src1_sel:DWORD
	v_and_b32_e32 v14, 0x7f800000, v9
	v_mov_b32_e32 v15, v43
	v_and_b32_e32 v42, 0x7fffff, v9
	v_or_b32_e32 v8, 0x7b, v10
	v_cmp_ne_u64_e32 vcc, s[52:53], v[14:15]
	s_and_saveexec_b64 s[28:29], vcc
	s_xor_b64 s[30:31], exec, s[28:29]
	s_cbranch_execz .LBB4_4887
; %bb.4878:                             ;   in Loop: Header=BB4_3353 Depth=3
	v_and_b32_e32 v14, 0x7fffffff, v9
	v_mov_b32_e32 v15, v43
	v_cmp_gt_u64_e32 vcc, s[54:55], v[14:15]
	s_and_saveexec_b64 s[68:69], vcc
	s_cbranch_execz .LBB4_4886
; %bb.4879:                             ;   in Loop: Header=BB4_3353 Depth=3
	v_cmp_ne_u32_e32 vcc, 0, v9
	v_mov_b32_e32 v8, 0
	s_and_saveexec_b64 s[70:71], vcc
	s_cbranch_execz .LBB4_4885
; %bb.4880:                             ;   in Loop: Header=BB4_3353 Depth=3
	v_bfe_u32 v8, v9, 23, 8
	v_sub_u32_e32 v11, 0x71, v8
	v_cmp_gt_u32_e32 vcc, s38, v8
	v_add_u32_e32 v9, 0xffffff81, v8
	v_cndmask_b32_e32 v11, 0, v11, vcc
	v_cmp_eq_u32_e32 vcc, 0, v8
	v_mov_b32_e32 v8, 0xffffff82
	v_cndmask_b32_e32 v14, v9, v8, vcc
	v_mov_b32_e32 v8, 0x70
	v_or_b32_e32 v12, 0x800000, v42
	v_cndmask_b32_e32 v11, v11, v8, vcc
	v_cndmask_b32_e32 v42, v12, v42, vcc
	v_add_u32_e32 v8, 21, v11
	v_mov_b32_e32 v17, v57
	v_mov_b32_e32 v15, v56
	v_lshlrev_b64 v[8:9], v8, -1
	v_add_u32_e32 v12, 20, v11
	v_lshrrev_b64 v[56:57], v11, v[42:43]
	v_not_b32_e32 v9, v9
	v_not_b32_e32 v8, v8
	v_lshlrev_b64 v[50:51], v12, 1
	v_lshrrev_b32_e32 v12, 23, v56
	v_and_b32_e32 v9, 0, v9
	v_and_b32_e32 v8, v42, v8
	v_add3_u32 v14, v11, v14, v12
	v_bfe_u32 v11, v56, 21, 1
	v_add_u32_e32 v11, -1, v11
	v_cmp_eq_u64_e32 vcc, v[8:9], v[50:51]
	v_cndmask_b32_e32 v8, 0, v11, vcc
	v_add_u32_e32 v8, v8, v56
	v_and_b32_e32 v8, 0x1fffff, v8
	v_add_co_u32_e32 v8, vcc, v8, v56
	v_add_u32_e32 v12, 14, v14
	v_addc_co_u32_e32 v9, vcc, 0, v57, vcc
	v_cmp_ne_u32_e32 vcc, 0, v12
                                        ; implicit-def: $vgpr11
	s_and_saveexec_b64 s[28:29], vcc
	s_xor_b64 s[28:29], exec, s[28:29]
; %bb.4881:                             ;   in Loop: Header=BB4_3353 Depth=3
	v_add_u32_e32 v11, 15, v14
	v_cmp_lt_u64_e32 vcc, s[56:57], v[8:9]
	v_cndmask_b32_e32 v11, v12, v11, vcc
	v_cndmask_b32_e64 v12, 0, 1, vcc
	v_lshrrev_b64 v[8:9], v12, v[8:9]
; %bb.4882:                             ;   in Loop: Header=BB4_3353 Depth=3
	s_andn2_saveexec_b64 s[28:29], s[28:29]
; %bb.4883:                             ;   in Loop: Header=BB4_3353 Depth=3
	v_bfe_u32 v11, v8, 23, 1
; %bb.4884:                             ;   in Loop: Header=BB4_3353 Depth=3
	s_or_b64 exec, exec, s[28:29]
	v_lshrrev_b64 v[8:9], 21, v[8:9]
	v_cmp_gt_i32_e32 vcc, 32, v11
	v_cndmask_b32_e32 v9, 0, v9, vcc
	v_cndmask_b32_e32 v8, 3, v8, vcc
	v_cmp_eq_u64_e64 s[28:29], 0, v[8:9]
	v_min_i32_e32 v9, 31, v11
	v_lshlrev_b32_e32 v9, 2, v9
	v_cmp_eq_u32_e32 vcc, 0, v11
	v_and_b32_e32 v9, 0xfc, v9
	v_and_or_b32 v8, v8, 3, v9
	s_and_b64 s[28:29], vcc, s[28:29]
	v_cndmask_b32_e64 v8, v8, 0, s[28:29]
	v_or_b32_e32 v8, v8, v10
	v_mov_b32_e32 v56, v15
	v_mov_b32_e32 v57, v17
.LBB4_4885:                             ;   in Loop: Header=BB4_3353 Depth=3
	s_or_b64 exec, exec, s[70:71]
.LBB4_4886:                             ;   in Loop: Header=BB4_3353 Depth=3
	s_or_b64 exec, exec, s[68:69]
                                        ; implicit-def: $vgpr9
.LBB4_4887:                             ;   in Loop: Header=BB4_3353 Depth=3
	s_andn2_saveexec_b64 s[28:29], s[30:31]
	s_cbranch_execz .LBB4_3352
; %bb.4888:                             ;   in Loop: Header=BB4_3353 Depth=3
	v_or_b32_sdwa v9, v9, s39 dst_sel:DWORD dst_unused:UNUSED_PAD src0_sel:BYTE_3 src1_sel:DWORD
	v_cmp_eq_u64_e32 vcc, 0, v[42:43]
	v_cndmask_b32_e32 v8, v9, v8, vcc
	s_branch .LBB4_3352
.LBB4_4889:                             ;   in Loop: Header=BB4_3264 Depth=2
	s_or_b64 exec, exec, s[66:67]
	s_and_saveexec_b64 s[26:27], s[68:69]
	s_xor_b64 s[26:27], exec, s[26:27]
	s_cbranch_execz .LBB4_4891
; %bb.4890:                             ;   in Loop: Header=BB4_3264 Depth=2
	v_mov_b32_e32 v0, 1
	ds_write_b32 v0, v0
	s_trap 2
.LBB4_4891:                             ;   in Loop: Header=BB4_3264 Depth=2
	s_or_b64 exec, exec, s[64:65]
	;;#ASMSTART
	s_wakeup
	;;#ASMEND
.LBB4_4892:                             ;   in Loop: Header=BB4_3264 Depth=2
	s_or_b64 exec, exec, s[34:35]
.LBB4_4893:                             ;   in Loop: Header=BB4_3264 Depth=2
	s_andn2_saveexec_b64 vcc, s[30:31]
	s_cbranch_execz .LBB4_4895
; %bb.4894:                             ;   in Loop: Header=BB4_3264 Depth=2
	s_waitcnt vmcnt(0) lgkmcnt(0)
	buffer_wbinvl1_vol
	s_barrier
.LBB4_4895:                             ;   in Loop: Header=BB4_3264 Depth=2
	s_or_b64 exec, exec, vcc
.LBB4_4896:                             ;   in Loop: Header=BB4_3264 Depth=2
	s_or_b64 exec, exec, s[28:29]
                                        ; implicit-def: $vgpr0
	s_and_saveexec_b64 s[28:29], s[24:25]
	s_xor_b64 s[30:31], exec, s[28:29]
	s_cbranch_execz .LBB4_4900
; %bb.4897:                             ;   in Loop: Header=BB4_3264 Depth=2
	v_and_b32_e32 v2, 16, v34
	v_cmp_lt_i32_e32 vcc, 0, v31
	v_cmp_ne_u32_e64 s[28:29], 0, v2
	v_and_b32_e32 v0, 16, v34
	s_and_b64 vcc, s[28:29], vcc
	s_and_saveexec_b64 s[28:29], vcc
	s_cbranch_execz .LBB4_4899
; %bb.4898:                             ;   in Loop: Header=BB4_3264 Depth=2
	v_mov_b32_e32 v0, 1
	s_waitcnt vmcnt(0) lgkmcnt(0)
	buffer_wbinvl1_vol
.LBB4_4899:                             ;   in Loop: Header=BB4_3264 Depth=2
	s_or_b64 exec, exec, s[28:29]
	s_andn2_saveexec_b64 s[28:29], s[30:31]
	s_cbranch_execz .LBB4_4919
	s_branch .LBB4_4901
.LBB4_4900:                             ;   in Loop: Header=BB4_3264 Depth=2
	s_andn2_saveexec_b64 s[28:29], s[30:31]
	s_cbranch_execz .LBB4_4919
.LBB4_4901:                             ;   in Loop: Header=BB4_3264 Depth=2
	s_and_saveexec_b64 vcc, s[44:45]
	s_xor_b64 s[30:31], exec, vcc
	s_cbranch_execz .LBB4_4916
; %bb.4902:                             ;   in Loop: Header=BB4_3264 Depth=2
	s_and_saveexec_b64 s[34:35], s[16:17]
	s_cbranch_execz .LBB4_4915
; %bb.4903:                             ;   in Loop: Header=BB4_3264 Depth=2
	s_mov_b64 s[66:67], exec
	v_mbcnt_lo_u32_b32 v0, s66, 0
	v_mbcnt_hi_u32_b32 v0, s67, v0
	v_cmp_eq_u32_e32 vcc, 0, v0
	;;#ASMSTART
	s_waitcnt lgkmcnt(0) vmcnt(0)
	;;#ASMEND
	s_and_saveexec_b64 s[64:65], vcc
	s_cbranch_execz .LBB4_4905
; %bb.4904:                             ;   in Loop: Header=BB4_3264 Depth=2
	s_bcnt1_i32_b64 s26, s[66:67]
	v_mov_b32_e32 v42, s26
	ds_add_u64 v0, v[42:43]
	s_trap 2
.LBB4_4905:                             ;   in Loop: Header=BB4_3264 Depth=2
	s_or_b64 exec, exec, s[64:65]
	s_trap 2
	ds_read_b64 v[2:3], v0
	v_accvgpr_read_b32 v4, a14
	v_accvgpr_read_b32 v5, a15
	v_add_co_u32_e32 v4, vcc, v4, v46
	v_addc_co_u32_e32 v5, vcc, 0, v5, vcc
	v_accvgpr_write_b32 a15, v5
	v_accvgpr_write_b32 a14, v4
	s_waitcnt lgkmcnt(0)
	v_cmp_lt_u64_e32 vcc, v[2:3], v[4:5]
	s_and_saveexec_b64 s[64:65], vcc
	s_cbranch_execz .LBB4_4914
; %bb.4906:                             ;   in Loop: Header=BB4_3264 Depth=2
	s_mov_b32 s76, 0
	s_mov_b64 s[66:67], 0
                                        ; implicit-def: $sgpr68_sgpr69
                                        ; implicit-def: $sgpr70_sgpr71
	s_branch .LBB4_4908
.LBB4_4907:                             ;   in Loop: Header=BB4_4908 Depth=3
	s_or_b64 exec, exec, s[74:75]
	s_and_b64 s[26:27], exec, vcc
	s_or_b64 s[66:67], s[26:27], s[66:67]
	s_andn2_b64 s[26:27], s[68:69], exec
	s_and_b64 vcc, s[70:71], exec
	s_or_b64 s[68:69], s[26:27], vcc
	s_andn2_b64 exec, exec, s[66:67]
	s_cbranch_execz .LBB4_4912
.LBB4_4908:                             ;   Parent Loop BB4_47 Depth=1
                                        ;     Parent Loop BB4_3264 Depth=2
                                        ; =>    This Inner Loop Header: Depth=3
	s_add_i32 s76, s76, 1
	s_cmpk_lg_i32 s76, 0x2710
	s_cselect_b64 s[72:73], -1, 0
	s_and_b64 vcc, exec, s[72:73]
                                        ; implicit-def: $sgpr74_sgpr75
	s_cbranch_vccnz .LBB4_4910
; %bb.4909:                             ;   in Loop: Header=BB4_4908 Depth=3
	s_trap 2
	ds_read_b64 v[2:3], v0
	s_andn2_b64 s[72:73], s[72:73], exec
	s_mov_b32 s76, 0
	s_mov_b64 s[74:75], -1
	s_waitcnt vmcnt(0) lgkmcnt(0)
	flat_load_dword v0, v[2:3] glc
	s_waitcnt vmcnt(0) lgkmcnt(0)
	buffer_invl2
	buffer_wbinvl1_vol
	v_cmp_eq_u32_e32 vcc, 0, v0
	s_and_b64 vcc, vcc, exec
	s_or_b64 s[72:73], s[72:73], vcc
.LBB4_4910:                             ;   in Loop: Header=BB4_4908 Depth=3
	s_andn2_b64 s[70:71], s[70:71], exec
	s_and_b64 s[74:75], s[74:75], exec
	s_mov_b64 vcc, -1
	s_or_b64 s[70:71], s[70:71], s[74:75]
	s_and_saveexec_b64 s[74:75], s[72:73]
	s_cbranch_execz .LBB4_4907
; %bb.4911:                             ;   in Loop: Header=BB4_4908 Depth=3
	s_sleep 1
	s_trap 2
	ds_read_b64 v[2:3], v0
	v_accvgpr_read_b32 v4, a14
	v_accvgpr_read_b32 v5, a15
	s_andn2_b64 s[70:71], s[70:71], exec
	s_waitcnt lgkmcnt(0)
	v_cmp_ge_u64_e32 vcc, v[2:3], v[4:5]
	s_orn2_b64 vcc, vcc, exec
	s_branch .LBB4_4907
.LBB4_4912:                             ;   in Loop: Header=BB4_3264 Depth=2
	s_or_b64 exec, exec, s[66:67]
	s_and_saveexec_b64 s[26:27], s[68:69]
	s_xor_b64 s[26:27], exec, s[26:27]
	s_cbranch_execz .LBB4_4914
; %bb.4913:                             ;   in Loop: Header=BB4_3264 Depth=2
	v_mov_b32_e32 v0, 1
	ds_write_b32 v0, v0
	s_trap 2
.LBB4_4914:                             ;   in Loop: Header=BB4_3264 Depth=2
	s_or_b64 exec, exec, s[64:65]
	;;#ASMSTART
	s_wakeup
	;;#ASMEND
.LBB4_4915:                             ;   in Loop: Header=BB4_3264 Depth=2
	s_or_b64 exec, exec, s[34:35]
.LBB4_4916:                             ;   in Loop: Header=BB4_3264 Depth=2
	s_andn2_saveexec_b64 vcc, s[30:31]
	s_cbranch_execz .LBB4_4918
; %bb.4917:                             ;   in Loop: Header=BB4_3264 Depth=2
	;;#ASMSTART
	s_waitcnt lgkmcnt(0) vmcnt(0)
	;;#ASMEND
	s_barrier
.LBB4_4918:                             ;   in Loop: Header=BB4_3264 Depth=2
	s_or_b64 exec, exec, vcc
	v_and_b32_e32 v0, 16, v34
.LBB4_4919:                             ;   in Loop: Header=BB4_3264 Depth=2
	s_or_b64 exec, exec, s[28:29]
	v_cmp_ne_u32_e32 vcc, 0, v0
	s_xor_b64 s[28:29], s[12:13], -1
	s_and_b64 vcc, vcc, s[28:29]
	s_and_saveexec_b64 s[28:29], vcc
	s_cbranch_execz .LBB4_4921
; %bb.4920:                             ;   in Loop: Header=BB4_3264 Depth=2
	v_accvgpr_read_b32 v2, a22
	v_accvgpr_read_b32 v3, a23
	v_mov_b32_e32 v0, 1
	flat_store_dword v[2:3], v0
.LBB4_4921:                             ;   in Loop: Header=BB4_3264 Depth=2
	s_or_b64 exec, exec, s[28:29]
	v_and_b32_e32 v0, 48, v34
	v_cmp_ne_u32_e32 vcc, 0, v0
	s_and_saveexec_b64 s[28:29], vcc
	s_cbranch_execz .LBB4_3263
; %bb.4922:                             ;   in Loop: Header=BB4_3264 Depth=2
	v_accvgpr_read_b32 v2, a10
	v_accvgpr_read_b32 v3, a11
	v_add_co_u32_e32 v2, vcc, 2, v2
	v_addc_co_u32_e32 v3, vcc, 0, v3, vcc
	v_accvgpr_write_b32 a11, v3
	v_accvgpr_read_b32 v4, a16
	v_accvgpr_write_b32 a10, v2
	v_accvgpr_read_b32 v5, a17
	flat_store_dwordx2 v[4:5], v[2:3]
	s_branch .LBB4_3263
.LBB4_4923:                             ;   in Loop: Header=BB4_3264 Depth=2
	s_or_b64 exec, exec, s[64:65]
	v_accvgpr_read_b32 v29, a9
	v_accvgpr_read_b32 v28, a8
	;; [unrolled: 1-line block ×4, first 2 shown]
.LBB4_4924:                             ;   in Loop: Header=BB4_3264 Depth=2
	s_or_b64 exec, exec, s[34:35]
	v_lshlrev_b32_e32 v2, 11, v2
	v_mov_b32_e32 v0, v31
	v_cmp_ne_u32_e32 vcc, v0, v2
	s_mov_b64 s[28:29], 0
	v_mov_b32_e32 v0, 0
                                        ; implicit-def: $vgpr7
                                        ; implicit-def: $vgpr30
                                        ; implicit-def: $vgpr4
	s_and_saveexec_b64 s[64:65], vcc
	s_cbranch_execz .LBB4_5702
; %bb.4925:                             ;   in Loop: Header=BB4_3264 Depth=2
	v_mov_b32_e32 v0, v31
	v_sub_u32_e32 v4, v0, v2
	v_lshlrev_b32_e32 v0, 6, v44
	v_accvgpr_read_b32 v3, a40
	v_sub_u32_e32 v0, v3, v0
	v_ashrrev_i32_e32 v3, 31, v0
	v_lshrrev_b32_e32 v3, 26, v3
	v_ashrrev_i32_e32 v7, 31, v4
	v_add_u32_e32 v3, v0, v3
	v_lshrrev_b32_e32 v7, 22, v7
	v_ashrrev_i32_e32 v5, 6, v3
	v_and_b32_e32 v3, 0xffffffc0, v3
	v_add_u32_e32 v7, v4, v7
	v_sub_u32_e32 v3, v0, v3
	v_and_b32_e32 v28, 0xfffffc00, v7
	v_lshlrev_b32_e32 v0, 4, v3
	v_sub_u32_e32 v38, v4, v28
	v_lshl_add_u32 v0, v5, 10, v0
	v_ashrrev_i32_e32 v8, 10, v7
	v_cmp_lt_i32_e64 s[28:29], 15, v38
	v_sub_u32_e32 v39, v4, v0
	v_addc_co_u32_e64 v4, vcc, 0, v8, s[28:29]
	v_sub_u32_e32 v29, v4, v5
	v_cmp_lt_i32_e32 vcc, 15, v39
	s_and_saveexec_b64 s[66:67], vcc
	s_cbranch_execz .LBB4_5699
; %bb.4926:                             ;   in Loop: Header=BB4_3264 Depth=2
	s_trap 2
	ds_read_b128 v[8:11], v0
	v_add_u32_e32 v0, v0, v2
	v_ashrrev_i32_e32 v7, 31, v0
	s_bitcmp1_b32 s85, 0
	s_mov_b64 s[68:69], 0
	s_waitcnt lgkmcnt(0)
	v_add_co_u32_e32 v4, vcc, v8, v0
	v_addc_co_u32_e32 v5, vcc, v9, v7, vcc
	v_add_co_u32_e32 v16, vcc, v10, v0
	v_addc_co_u32_e32 v17, vcc, v11, v7, vcc
	s_cselect_b64 s[70:71], -1, 0
	v_pk_mov_b32 v[18:19], v[4:5], v[4:5] op_sel:[0,1]
	v_pk_mov_b32 v[20:21], v[16:17], v[16:17] op_sel:[0,1]
.LBB4_4927:                             ;   Parent Loop BB4_47 Depth=1
                                        ;     Parent Loop BB4_3264 Depth=2
                                        ; =>    This Loop Header: Depth=3
                                        ;         Child Loop BB4_5696 Depth 4
	global_load_dwordx4 v[12:15], v[18:19], off glc slc
	global_load_dwordx4 v[8:11], v[20:21], off glc slc
	s_and_b64 vcc, exec, s[70:71]
	s_waitcnt vmcnt(0)
	v_cmp_ne_u16_sdwa s[30:31], v12, v43 src0_sel:BYTE_0 src1_sel:DWORD
	s_cbranch_vccz .LBB4_4945
; %bb.4928:                             ;   in Loop: Header=BB4_4927 Depth=3
	v_mov_b32_e32 v7, 0
	v_mov_b32_e32 v0, 0
	s_and_saveexec_b64 s[34:35], s[30:31]
	s_cbranch_execz .LBB4_4936
; %bb.4929:                             ;   in Loop: Header=BB4_4927 Depth=3
	v_cmp_ne_u16_sdwa vcc, sext(v12), s94 src0_sel:BYTE_0 src1_sel:DWORD
	v_bfrev_b32_e32 v0, 1
	s_and_saveexec_b64 s[72:73], vcc
	s_cbranch_execz .LBB4_4935
; %bb.4930:                             ;   in Loop: Header=BB4_4927 Depth=3
	v_and_b32_e32 v0, 0x7c, v12
	v_and_b32_e32 v22, 3, v12
	v_cmp_ne_u32_e32 vcc, s95, v0
                                        ; implicit-def: $vgpr0
	s_and_saveexec_b64 s[74:75], vcc
	s_xor_b64 s[74:75], exec, s[74:75]
	s_cbranch_execz .LBB4_4932
; %bb.4931:                             ;   in Loop: Header=BB4_4927 Depth=3
	v_ffbh_u32_e32 v23, v22
	v_min_u32_e32 v23, 32, v23
	v_subrev_u32_e32 v24, 29, v23
	v_bfe_u32 v0, v12, 2, 5
	v_lshlrev_b64 v[24:25], v24, v[12:13]
	v_sub_u32_e32 v23, 30, v23
	v_and_b32_e32 v24, 3, v24
	v_cmp_eq_u32_e32 vcc, 0, v0
	v_cndmask_b32_e32 v0, v0, v23, vcc
	v_cndmask_b32_e32 v22, v22, v24, vcc
	v_bfrev_b32_e32 v24, 28
	v_lshlrev_b32_e32 v23, 24, v12
	v_lshl_add_u32 v0, v0, 23, v24
	v_and_or_b32 v0, v23, s96, v0
	v_lshl_or_b32 v0, v22, 21, v0
                                        ; implicit-def: $vgpr22
.LBB4_4932:                             ;   in Loop: Header=BB4_4927 Depth=3
	s_andn2_saveexec_b64 s[74:75], s[74:75]
; %bb.4933:                             ;   in Loop: Header=BB4_4927 Depth=3
	v_mov_b32_e32 v0, -1
	v_cmp_gt_i16_sdwa vcc, sext(v12), v0 src0_sel:BYTE_0 src1_sel:DWORD
	v_cndmask_b32_e32 v0, v6, v1, vcc
	v_cmp_eq_u32_e32 vcc, 0, v22
	v_mov_b32_e32 v22, 0x7f800001
	v_cndmask_b32_e32 v0, v22, v0, vcc
; %bb.4934:                             ;   in Loop: Header=BB4_4927 Depth=3
	s_or_b64 exec, exec, s[74:75]
.LBB4_4935:                             ;   in Loop: Header=BB4_4927 Depth=3
	s_or_b64 exec, exec, s[72:73]
.LBB4_4936:                             ;   in Loop: Header=BB4_4927 Depth=3
	s_or_b64 exec, exec, s[34:35]
	v_cmp_ne_u16_sdwa vcc, sext(v8), v43 src0_sel:BYTE_0 src1_sel:DWORD
	s_and_saveexec_b64 s[34:35], vcc
	s_cbranch_execz .LBB4_4944
; %bb.4937:                             ;   in Loop: Header=BB4_4927 Depth=3
	v_cmp_ne_u16_sdwa vcc, sext(v8), s94 src0_sel:BYTE_0 src1_sel:DWORD
	v_bfrev_b32_e32 v7, 1
	s_and_saveexec_b64 s[72:73], vcc
	s_cbranch_execz .LBB4_4943
; %bb.4938:                             ;   in Loop: Header=BB4_4927 Depth=3
	v_and_b32_e32 v7, 0x7c, v8
	v_and_b32_e32 v22, 3, v8
	v_cmp_ne_u32_e32 vcc, s95, v7
                                        ; implicit-def: $vgpr7
	s_and_saveexec_b64 s[74:75], vcc
	s_xor_b64 s[74:75], exec, s[74:75]
	s_cbranch_execz .LBB4_4940
; %bb.4939:                             ;   in Loop: Header=BB4_4927 Depth=3
	v_ffbh_u32_e32 v23, v22
	v_min_u32_e32 v23, 32, v23
	v_subrev_u32_e32 v24, 29, v23
	v_bfe_u32 v7, v8, 2, 5
	v_lshlrev_b64 v[24:25], v24, v[8:9]
	v_sub_u32_e32 v23, 30, v23
	v_and_b32_e32 v24, 3, v24
	v_cmp_eq_u32_e32 vcc, 0, v7
	v_cndmask_b32_e32 v7, v7, v23, vcc
	v_cndmask_b32_e32 v22, v22, v24, vcc
	v_bfrev_b32_e32 v24, 28
	v_lshlrev_b32_e32 v23, 24, v8
	v_lshl_add_u32 v7, v7, 23, v24
	v_and_or_b32 v7, v23, s96, v7
	v_lshl_or_b32 v7, v22, 21, v7
                                        ; implicit-def: $vgpr22
.LBB4_4940:                             ;   in Loop: Header=BB4_4927 Depth=3
	s_andn2_saveexec_b64 s[74:75], s[74:75]
; %bb.4941:                             ;   in Loop: Header=BB4_4927 Depth=3
	v_mov_b32_e32 v7, -1
	v_cmp_gt_i16_sdwa vcc, sext(v8), v7 src0_sel:BYTE_0 src1_sel:DWORD
	v_cndmask_b32_e32 v7, v6, v1, vcc
	v_cmp_eq_u32_e32 vcc, 0, v22
	v_mov_b32_e32 v22, 0x7f800001
	v_cndmask_b32_e32 v7, v22, v7, vcc
; %bb.4942:                             ;   in Loop: Header=BB4_4927 Depth=3
	s_or_b64 exec, exec, s[74:75]
.LBB4_4943:                             ;   in Loop: Header=BB4_4927 Depth=3
	s_or_b64 exec, exec, s[72:73]
.LBB4_4944:                             ;   in Loop: Header=BB4_4927 Depth=3
	s_or_b64 exec, exec, s[34:35]
	v_max_f32_e32 v7, v7, v7
	v_max_f32_e32 v0, v0, v0
	;; [unrolled: 1-line block ×3, first 2 shown]
	s_branch .LBB4_4963
.LBB4_4945:                             ;   in Loop: Header=BB4_4927 Depth=3
                                        ; implicit-def: $vgpr7
	s_cbranch_execz .LBB4_4963
; %bb.4946:                             ;   in Loop: Header=BB4_4927 Depth=3
	v_mov_b32_e32 v7, 0
	v_mov_b32_e32 v0, 0
	s_and_saveexec_b64 s[34:35], s[30:31]
	s_cbranch_execz .LBB4_4954
; %bb.4947:                             ;   in Loop: Header=BB4_4927 Depth=3
	v_cmp_ne_u16_sdwa vcc, sext(v12), s94 src0_sel:BYTE_0 src1_sel:DWORD
	v_bfrev_b32_e32 v0, 1
	s_and_saveexec_b64 s[30:31], vcc
	s_cbranch_execz .LBB4_4953
; %bb.4948:                             ;   in Loop: Header=BB4_4927 Depth=3
	v_and_b32_e32 v0, 0x7c, v12
	v_and_b32_e32 v22, 3, v12
	v_cmp_ne_u32_e32 vcc, s95, v0
                                        ; implicit-def: $vgpr0
	s_and_saveexec_b64 s[72:73], vcc
	s_xor_b64 s[72:73], exec, s[72:73]
	s_cbranch_execz .LBB4_4950
; %bb.4949:                             ;   in Loop: Header=BB4_4927 Depth=3
	v_ffbh_u32_e32 v23, v22
	v_min_u32_e32 v23, 32, v23
	v_subrev_u32_e32 v24, 29, v23
	v_bfe_u32 v0, v12, 2, 5
	v_lshlrev_b64 v[24:25], v24, v[12:13]
	v_sub_u32_e32 v23, 30, v23
	v_and_b32_e32 v24, 3, v24
	v_cmp_eq_u32_e32 vcc, 0, v0
	v_cndmask_b32_e32 v0, v0, v23, vcc
	v_cndmask_b32_e32 v22, v22, v24, vcc
	v_bfrev_b32_e32 v24, 28
	v_lshlrev_b32_e32 v23, 24, v12
	v_lshl_add_u32 v0, v0, 23, v24
	v_and_or_b32 v0, v23, s96, v0
	v_lshl_or_b32 v0, v22, 21, v0
                                        ; implicit-def: $vgpr22
.LBB4_4950:                             ;   in Loop: Header=BB4_4927 Depth=3
	s_andn2_saveexec_b64 s[72:73], s[72:73]
; %bb.4951:                             ;   in Loop: Header=BB4_4927 Depth=3
	v_mov_b32_e32 v0, -1
	v_cmp_gt_i16_sdwa vcc, sext(v12), v0 src0_sel:BYTE_0 src1_sel:DWORD
	v_cndmask_b32_e32 v0, v6, v1, vcc
	v_cmp_eq_u32_e32 vcc, 0, v22
	v_mov_b32_e32 v22, 0x7f800001
	v_cndmask_b32_e32 v0, v22, v0, vcc
; %bb.4952:                             ;   in Loop: Header=BB4_4927 Depth=3
	s_or_b64 exec, exec, s[72:73]
.LBB4_4953:                             ;   in Loop: Header=BB4_4927 Depth=3
	s_or_b64 exec, exec, s[30:31]
.LBB4_4954:                             ;   in Loop: Header=BB4_4927 Depth=3
	s_or_b64 exec, exec, s[34:35]
	v_cmp_ne_u16_sdwa vcc, sext(v8), v43 src0_sel:BYTE_0 src1_sel:DWORD
	s_and_saveexec_b64 s[30:31], vcc
	s_cbranch_execz .LBB4_4962
; %bb.4955:                             ;   in Loop: Header=BB4_4927 Depth=3
	v_cmp_ne_u16_sdwa vcc, sext(v8), s94 src0_sel:BYTE_0 src1_sel:DWORD
	v_bfrev_b32_e32 v7, 1
	s_and_saveexec_b64 s[34:35], vcc
	s_cbranch_execz .LBB4_4961
; %bb.4956:                             ;   in Loop: Header=BB4_4927 Depth=3
	v_and_b32_e32 v7, 0x7c, v8
	v_and_b32_e32 v22, 3, v8
	v_cmp_ne_u32_e32 vcc, s95, v7
                                        ; implicit-def: $vgpr7
	s_and_saveexec_b64 s[72:73], vcc
	s_xor_b64 s[72:73], exec, s[72:73]
	s_cbranch_execz .LBB4_4958
; %bb.4957:                             ;   in Loop: Header=BB4_4927 Depth=3
	v_ffbh_u32_e32 v23, v22
	v_min_u32_e32 v23, 32, v23
	v_subrev_u32_e32 v24, 29, v23
	v_bfe_u32 v7, v8, 2, 5
	v_lshlrev_b64 v[24:25], v24, v[8:9]
	v_sub_u32_e32 v23, 30, v23
	v_and_b32_e32 v24, 3, v24
	v_cmp_eq_u32_e32 vcc, 0, v7
	v_cndmask_b32_e32 v7, v7, v23, vcc
	v_cndmask_b32_e32 v22, v22, v24, vcc
	v_bfrev_b32_e32 v24, 28
	v_lshlrev_b32_e32 v23, 24, v8
	v_lshl_add_u32 v7, v7, 23, v24
	v_and_or_b32 v7, v23, s96, v7
	v_lshl_or_b32 v7, v22, 21, v7
                                        ; implicit-def: $vgpr22
.LBB4_4958:                             ;   in Loop: Header=BB4_4927 Depth=3
	s_andn2_saveexec_b64 s[72:73], s[72:73]
; %bb.4959:                             ;   in Loop: Header=BB4_4927 Depth=3
	v_mov_b32_e32 v7, -1
	v_cmp_gt_i16_sdwa vcc, sext(v8), v7 src0_sel:BYTE_0 src1_sel:DWORD
	v_cndmask_b32_e32 v7, v6, v1, vcc
	v_cmp_eq_u32_e32 vcc, 0, v22
	v_mov_b32_e32 v22, 0x7f800001
	v_cndmask_b32_e32 v7, v22, v7, vcc
; %bb.4960:                             ;   in Loop: Header=BB4_4927 Depth=3
	s_or_b64 exec, exec, s[72:73]
.LBB4_4961:                             ;   in Loop: Header=BB4_4927 Depth=3
	s_or_b64 exec, exec, s[34:35]
.LBB4_4962:                             ;   in Loop: Header=BB4_4927 Depth=3
	s_or_b64 exec, exec, s[30:31]
	v_max_f32_e32 v7, v7, v7
	v_max_f32_e32 v0, v0, v0
	v_min_f32_e32 v7, v0, v7
.LBB4_4963:                             ;   in Loop: Header=BB4_4927 Depth=3
	v_and_b32_sdwa v0, v7, s97 dst_sel:DWORD dst_unused:UNUSED_PAD src0_sel:BYTE_3 src1_sel:DWORD
	v_and_b32_e32 v22, 0x7f800000, v7
	v_mov_b32_e32 v23, v43
	v_and_b32_e32 v42, 0x7fffff, v7
	v_or_b32_e32 v52, 0x7b, v0
	v_cmp_ne_u64_e32 vcc, s[52:53], v[22:23]
	s_and_saveexec_b64 s[30:31], vcc
	s_xor_b64 s[34:35], exec, s[30:31]
	s_cbranch_execz .LBB4_4973
; %bb.4964:                             ;   in Loop: Header=BB4_4927 Depth=3
	v_and_b32_e32 v22, 0x7fffffff, v7
	v_mov_b32_e32 v23, v43
	v_cmp_gt_u64_e32 vcc, s[54:55], v[22:23]
	s_and_saveexec_b64 s[72:73], vcc
	s_cbranch_execz .LBB4_4972
; %bb.4965:                             ;   in Loop: Header=BB4_4927 Depth=3
	v_cmp_ne_u32_e32 vcc, 0, v7
	v_mov_b32_e32 v52, 0
	s_and_saveexec_b64 s[74:75], vcc
	s_cbranch_execz .LBB4_4971
; %bb.4966:                             ;   in Loop: Header=BB4_4927 Depth=3
	v_bfe_u32 v7, v7, 23, 8
	v_cmp_eq_u32_e32 vcc, 0, v7
	v_add_u32_e32 v22, 0xffffff81, v7
	v_cmp_gt_u32_e64 s[30:31], s38, v7
	v_sub_u32_e32 v7, 0x71, v7
	v_mov_b32_e32 v24, 0xffffff82
	v_cndmask_b32_e64 v7, 0, v7, s[30:31]
	v_cndmask_b32_e32 v26, v22, v24, vcc
	v_mov_b32_e32 v22, 0x70
	v_cndmask_b32_e32 v7, v7, v22, vcc
	v_or_b32_e32 v23, 0x800000, v42
	v_add_u32_e32 v22, 21, v7
	v_cndmask_b32_e32 v42, v23, v42, vcc
	v_lshlrev_b64 v[22:23], v22, -1
	v_not_b32_e32 v23, v23
	v_not_b32_e32 v22, v22
	v_add_u32_e32 v24, 20, v7
	v_and_b32_e32 v23, 0, v23
	v_and_b32_e32 v22, v42, v22
	v_lshlrev_b64 v[24:25], v24, 1
	v_cmp_eq_u64_e32 vcc, v[22:23], v[24:25]
	v_lshrrev_b64 v[22:23], v7, v[42:43]
	v_lshrrev_b32_e32 v24, 23, v22
	v_add3_u32 v25, v7, v26, v24
	v_bfe_u32 v7, v22, 21, 1
	v_add_u32_e32 v7, -1, v7
	v_cndmask_b32_e32 v7, 0, v7, vcc
	v_add_u32_e32 v7, v7, v22
	v_and_b32_e32 v7, 0x1fffff, v7
	v_add_co_u32_e32 v22, vcc, v7, v22
	v_add_u32_e32 v24, 14, v25
	v_addc_co_u32_e32 v23, vcc, 0, v23, vcc
	v_cmp_ne_u32_e32 vcc, 0, v24
                                        ; implicit-def: $vgpr7
	s_and_saveexec_b64 s[30:31], vcc
	s_xor_b64 s[30:31], exec, s[30:31]
; %bb.4967:                             ;   in Loop: Header=BB4_4927 Depth=3
	v_add_u32_e32 v7, 15, v25
	v_cmp_lt_u64_e32 vcc, s[56:57], v[22:23]
	v_cndmask_b32_e32 v7, v24, v7, vcc
	v_cndmask_b32_e64 v24, 0, 1, vcc
	v_lshrrev_b64 v[22:23], v24, v[22:23]
; %bb.4968:                             ;   in Loop: Header=BB4_4927 Depth=3
	s_andn2_saveexec_b64 vcc, s[30:31]
; %bb.4969:                             ;   in Loop: Header=BB4_4927 Depth=3
	v_bfe_u32 v7, v22, 23, 1
; %bb.4970:                             ;   in Loop: Header=BB4_4927 Depth=3
	s_or_b64 exec, exec, vcc
	v_lshrrev_b64 v[22:23], 21, v[22:23]
	v_cmp_gt_i32_e32 vcc, 32, v7
	v_cndmask_b32_e32 v23, 0, v23, vcc
	v_cndmask_b32_e32 v22, 3, v22, vcc
	v_cmp_eq_u32_e32 vcc, 0, v7
	v_min_i32_e32 v7, 31, v7
	v_cmp_eq_u64_e64 s[30:31], 0, v[22:23]
	v_lshlrev_b32_e32 v7, 2, v7
	v_and_or_b32 v7, v22, 3, v7
	s_and_b64 vcc, vcc, s[30:31]
	v_cndmask_b32_e64 v7, v7, 0, vcc
	v_or_b32_e32 v52, v7, v0
.LBB4_4971:                             ;   in Loop: Header=BB4_4927 Depth=3
	s_or_b64 exec, exec, s[74:75]
.LBB4_4972:                             ;   in Loop: Header=BB4_4927 Depth=3
	s_or_b64 exec, exec, s[72:73]
                                        ; implicit-def: $vgpr7
.LBB4_4973:                             ;   in Loop: Header=BB4_4927 Depth=3
	s_andn2_saveexec_b64 s[30:31], s[34:35]
; %bb.4974:                             ;   in Loop: Header=BB4_4927 Depth=3
	v_or_b32_sdwa v0, v7, s39 dst_sel:DWORD dst_unused:UNUSED_PAD src0_sel:BYTE_3 src1_sel:DWORD
	v_cmp_eq_u64_e32 vcc, 0, v[42:43]
	v_cndmask_b32_e32 v52, v0, v52, vcc
; %bb.4975:                             ;   in Loop: Header=BB4_4927 Depth=3
	s_or_b64 exec, exec, s[30:31]
	v_lshrrev_b16_e32 v42, 8, v12
	v_lshrrev_b16_e32 v22, 8, v8
	v_cmp_ne_u16_e64 s[30:31], 0, v42
	s_and_b64 vcc, exec, s[70:71]
	s_cbranch_vccz .LBB4_4993
; %bb.4976:                             ;   in Loop: Header=BB4_4927 Depth=3
	v_mov_b32_e32 v7, 0
	v_mov_b32_e32 v0, 0
	s_and_saveexec_b64 s[34:35], s[30:31]
	s_cbranch_execz .LBB4_4984
; %bb.4977:                             ;   in Loop: Header=BB4_4927 Depth=3
	v_cmp_ne_u16_e32 vcc, s97, v42
	v_bfrev_b32_e32 v0, 1
	s_and_saveexec_b64 s[72:73], vcc
	s_cbranch_execz .LBB4_4983
; %bb.4978:                             ;   in Loop: Header=BB4_4927 Depth=3
	v_and_b32_e32 v0, 0x7c, v42
	v_and_b32_e32 v23, 3, v42
	v_cmp_ne_u32_e32 vcc, s95, v0
                                        ; implicit-def: $vgpr0
	s_and_saveexec_b64 s[74:75], vcc
	s_xor_b64 s[74:75], exec, s[74:75]
	s_cbranch_execz .LBB4_4980
; %bb.4979:                             ;   in Loop: Header=BB4_4927 Depth=3
	v_ffbh_u32_e32 v24, v23
	v_min_u32_e32 v26, 32, v24
	v_subrev_u32_e32 v24, 29, v26
	v_bfe_u32 v0, v42, 2, 5
	v_lshlrev_b64 v[24:25], v24, v[42:43]
	v_sub_u32_e32 v25, 30, v26
	v_cmp_eq_u32_e32 vcc, 0, v0
	v_and_b32_e32 v24, 3, v24
	v_cndmask_b32_e32 v0, v0, v25, vcc
	v_bfrev_b32_e32 v25, 28
	v_cndmask_b32_e32 v23, v23, v24, vcc
	v_lshlrev_b32_e32 v24, 16, v12
	v_lshl_add_u32 v0, v0, 23, v25
	v_and_or_b32 v0, v24, s96, v0
	v_lshl_or_b32 v0, v23, 21, v0
                                        ; implicit-def: $vgpr23
.LBB4_4980:                             ;   in Loop: Header=BB4_4927 Depth=3
	s_andn2_saveexec_b64 s[74:75], s[74:75]
; %bb.4981:                             ;   in Loop: Header=BB4_4927 Depth=3
	v_cmp_lt_i16_e32 vcc, -1, v12
	v_cndmask_b32_e32 v0, v6, v1, vcc
	v_cmp_eq_u32_e32 vcc, 0, v23
	v_mov_b32_e32 v23, 0x7f800001
	v_cndmask_b32_e32 v0, v23, v0, vcc
; %bb.4982:                             ;   in Loop: Header=BB4_4927 Depth=3
	s_or_b64 exec, exec, s[74:75]
.LBB4_4983:                             ;   in Loop: Header=BB4_4927 Depth=3
	s_or_b64 exec, exec, s[72:73]
.LBB4_4984:                             ;   in Loop: Header=BB4_4927 Depth=3
	s_or_b64 exec, exec, s[34:35]
	v_cmp_ne_u16_e32 vcc, 0, v22
	s_and_saveexec_b64 s[34:35], vcc
	s_cbranch_execz .LBB4_4992
; %bb.4985:                             ;   in Loop: Header=BB4_4927 Depth=3
	v_cmp_ne_u16_e32 vcc, s97, v22
	v_bfrev_b32_e32 v7, 1
	s_and_saveexec_b64 s[72:73], vcc
	s_cbranch_execz .LBB4_4991
; %bb.4986:                             ;   in Loop: Header=BB4_4927 Depth=3
	v_and_b32_e32 v7, 0x7c, v22
	v_and_b32_e32 v24, 3, v22
	v_cmp_ne_u32_e32 vcc, s95, v7
                                        ; implicit-def: $vgpr7
	s_and_saveexec_b64 s[74:75], vcc
	s_xor_b64 s[74:75], exec, s[74:75]
	s_cbranch_execz .LBB4_4988
; %bb.4987:                             ;   in Loop: Header=BB4_4927 Depth=3
	v_ffbh_u32_e32 v25, v24
	v_min_u32_e32 v25, 32, v25
	v_mov_b32_e32 v23, v43
	v_subrev_u32_e32 v26, 29, v25
	v_bfe_u32 v7, v22, 2, 5
	v_lshlrev_b64 v[26:27], v26, v[22:23]
	v_sub_u32_e32 v23, 30, v25
	v_and_b32_e32 v25, 3, v26
	v_cmp_eq_u32_e32 vcc, 0, v7
	v_cndmask_b32_e32 v7, v7, v23, vcc
	v_cndmask_b32_e32 v23, v24, v25, vcc
	v_bfrev_b32_e32 v25, 28
	v_lshlrev_b32_e32 v24, 16, v8
	v_lshl_add_u32 v7, v7, 23, v25
	v_and_or_b32 v7, v24, s96, v7
	v_lshl_or_b32 v7, v23, 21, v7
                                        ; implicit-def: $vgpr24
.LBB4_4988:                             ;   in Loop: Header=BB4_4927 Depth=3
	s_andn2_saveexec_b64 s[74:75], s[74:75]
; %bb.4989:                             ;   in Loop: Header=BB4_4927 Depth=3
	v_cmp_lt_i16_e32 vcc, -1, v8
	v_cndmask_b32_e32 v7, v6, v1, vcc
	v_cmp_eq_u32_e32 vcc, 0, v24
	v_mov_b32_e32 v23, 0x7f800001
	v_cndmask_b32_e32 v7, v23, v7, vcc
; %bb.4990:                             ;   in Loop: Header=BB4_4927 Depth=3
	s_or_b64 exec, exec, s[74:75]
.LBB4_4991:                             ;   in Loop: Header=BB4_4927 Depth=3
	s_or_b64 exec, exec, s[72:73]
.LBB4_4992:                             ;   in Loop: Header=BB4_4927 Depth=3
	s_or_b64 exec, exec, s[34:35]
	v_max_f32_e32 v7, v7, v7
	v_max_f32_e32 v0, v0, v0
	v_max_f32_e32 v7, v0, v7
	s_branch .LBB4_5011
.LBB4_4993:                             ;   in Loop: Header=BB4_4927 Depth=3
                                        ; implicit-def: $vgpr7
	s_cbranch_execz .LBB4_5011
; %bb.4994:                             ;   in Loop: Header=BB4_4927 Depth=3
	v_mov_b32_e32 v7, 0
	v_mov_b32_e32 v0, 0
	s_and_saveexec_b64 s[34:35], s[30:31]
	s_cbranch_execz .LBB4_5002
; %bb.4995:                             ;   in Loop: Header=BB4_4927 Depth=3
	v_cmp_ne_u16_e32 vcc, s97, v42
	v_bfrev_b32_e32 v0, 1
	s_and_saveexec_b64 s[30:31], vcc
	s_cbranch_execz .LBB4_5001
; %bb.4996:                             ;   in Loop: Header=BB4_4927 Depth=3
	v_and_b32_e32 v0, 0x7c, v42
	v_and_b32_e32 v23, 3, v42
	v_cmp_ne_u32_e32 vcc, s95, v0
                                        ; implicit-def: $vgpr0
	s_and_saveexec_b64 s[72:73], vcc
	s_xor_b64 s[72:73], exec, s[72:73]
	s_cbranch_execz .LBB4_4998
; %bb.4997:                             ;   in Loop: Header=BB4_4927 Depth=3
	v_ffbh_u32_e32 v24, v23
	v_min_u32_e32 v26, 32, v24
	v_subrev_u32_e32 v24, 29, v26
	v_bfe_u32 v0, v42, 2, 5
	v_lshlrev_b64 v[24:25], v24, v[42:43]
	v_sub_u32_e32 v25, 30, v26
	v_cmp_eq_u32_e32 vcc, 0, v0
	v_and_b32_e32 v24, 3, v24
	v_cndmask_b32_e32 v0, v0, v25, vcc
	v_bfrev_b32_e32 v25, 28
	v_cndmask_b32_e32 v23, v23, v24, vcc
	v_lshlrev_b32_e32 v24, 16, v12
	v_lshl_add_u32 v0, v0, 23, v25
	v_and_or_b32 v0, v24, s96, v0
	v_lshl_or_b32 v0, v23, 21, v0
                                        ; implicit-def: $vgpr23
.LBB4_4998:                             ;   in Loop: Header=BB4_4927 Depth=3
	s_andn2_saveexec_b64 s[72:73], s[72:73]
; %bb.4999:                             ;   in Loop: Header=BB4_4927 Depth=3
	v_cmp_lt_i16_e32 vcc, -1, v12
	v_cndmask_b32_e32 v0, v6, v1, vcc
	v_cmp_eq_u32_e32 vcc, 0, v23
	v_mov_b32_e32 v23, 0x7f800001
	v_cndmask_b32_e32 v0, v23, v0, vcc
; %bb.5000:                             ;   in Loop: Header=BB4_4927 Depth=3
	s_or_b64 exec, exec, s[72:73]
.LBB4_5001:                             ;   in Loop: Header=BB4_4927 Depth=3
	s_or_b64 exec, exec, s[30:31]
.LBB4_5002:                             ;   in Loop: Header=BB4_4927 Depth=3
	s_or_b64 exec, exec, s[34:35]
	v_cmp_ne_u16_e32 vcc, 0, v22
	s_and_saveexec_b64 s[30:31], vcc
	s_cbranch_execz .LBB4_5010
; %bb.5003:                             ;   in Loop: Header=BB4_4927 Depth=3
	v_cmp_ne_u16_e32 vcc, s97, v22
	v_bfrev_b32_e32 v7, 1
	s_and_saveexec_b64 s[34:35], vcc
	s_cbranch_execz .LBB4_5009
; %bb.5004:                             ;   in Loop: Header=BB4_4927 Depth=3
	v_and_b32_e32 v7, 0x7c, v22
	v_and_b32_e32 v24, 3, v22
	v_cmp_ne_u32_e32 vcc, s95, v7
                                        ; implicit-def: $vgpr7
	s_and_saveexec_b64 s[72:73], vcc
	s_xor_b64 s[72:73], exec, s[72:73]
	s_cbranch_execz .LBB4_5006
; %bb.5005:                             ;   in Loop: Header=BB4_4927 Depth=3
	v_ffbh_u32_e32 v25, v24
	v_min_u32_e32 v25, 32, v25
	v_mov_b32_e32 v23, v43
	v_subrev_u32_e32 v26, 29, v25
	v_bfe_u32 v7, v22, 2, 5
	v_lshlrev_b64 v[22:23], v26, v[22:23]
	v_sub_u32_e32 v23, 30, v25
	v_and_b32_e32 v22, 3, v22
	v_cmp_eq_u32_e32 vcc, 0, v7
	v_cndmask_b32_e32 v7, v7, v23, vcc
	v_cndmask_b32_e32 v22, v24, v22, vcc
	v_bfrev_b32_e32 v24, 28
	v_lshlrev_b32_e32 v23, 16, v8
	v_lshl_add_u32 v7, v7, 23, v24
	v_and_or_b32 v7, v23, s96, v7
	v_lshl_or_b32 v7, v22, 21, v7
                                        ; implicit-def: $vgpr24
.LBB4_5006:                             ;   in Loop: Header=BB4_4927 Depth=3
	s_andn2_saveexec_b64 s[72:73], s[72:73]
; %bb.5007:                             ;   in Loop: Header=BB4_4927 Depth=3
	v_cmp_lt_i16_e32 vcc, -1, v8
	v_cndmask_b32_e32 v7, v6, v1, vcc
	v_cmp_eq_u32_e32 vcc, 0, v24
	v_mov_b32_e32 v22, 0x7f800001
	v_cndmask_b32_e32 v7, v22, v7, vcc
; %bb.5008:                             ;   in Loop: Header=BB4_4927 Depth=3
	s_or_b64 exec, exec, s[72:73]
.LBB4_5009:                             ;   in Loop: Header=BB4_4927 Depth=3
	s_or_b64 exec, exec, s[34:35]
.LBB4_5010:                             ;   in Loop: Header=BB4_4927 Depth=3
	s_or_b64 exec, exec, s[30:31]
	v_max_f32_e32 v7, v7, v7
	v_max_f32_e32 v0, v0, v0
	v_min_f32_e32 v7, v0, v7
.LBB4_5011:                             ;   in Loop: Header=BB4_4927 Depth=3
	v_and_b32_sdwa v0, v7, s97 dst_sel:DWORD dst_unused:UNUSED_PAD src0_sel:BYTE_3 src1_sel:DWORD
	v_and_b32_e32 v22, 0x7f800000, v7
	v_mov_b32_e32 v23, v43
	v_and_b32_e32 v42, 0x7fffff, v7
	v_or_b32_e32 v53, 0x7b, v0
	v_cmp_ne_u64_e32 vcc, s[52:53], v[22:23]
	s_and_saveexec_b64 s[30:31], vcc
	s_xor_b64 s[34:35], exec, s[30:31]
	s_cbranch_execz .LBB4_5021
; %bb.5012:                             ;   in Loop: Header=BB4_4927 Depth=3
	v_and_b32_e32 v22, 0x7fffffff, v7
	v_mov_b32_e32 v23, v43
	v_cmp_gt_u64_e32 vcc, s[54:55], v[22:23]
	s_and_saveexec_b64 s[72:73], vcc
	s_cbranch_execz .LBB4_5020
; %bb.5013:                             ;   in Loop: Header=BB4_4927 Depth=3
	v_cmp_ne_u32_e32 vcc, 0, v7
	v_mov_b32_e32 v53, 0
	s_and_saveexec_b64 s[74:75], vcc
	s_cbranch_execz .LBB4_5019
; %bb.5014:                             ;   in Loop: Header=BB4_4927 Depth=3
	v_bfe_u32 v7, v7, 23, 8
	v_cmp_eq_u32_e32 vcc, 0, v7
	v_add_u32_e32 v22, 0xffffff81, v7
	v_cmp_gt_u32_e64 s[30:31], s38, v7
	v_sub_u32_e32 v7, 0x71, v7
	v_mov_b32_e32 v24, 0xffffff82
	v_cndmask_b32_e64 v7, 0, v7, s[30:31]
	v_cndmask_b32_e32 v26, v22, v24, vcc
	v_mov_b32_e32 v22, 0x70
	v_cndmask_b32_e32 v7, v7, v22, vcc
	v_or_b32_e32 v23, 0x800000, v42
	v_add_u32_e32 v22, 21, v7
	v_cndmask_b32_e32 v42, v23, v42, vcc
	v_lshlrev_b64 v[22:23], v22, -1
	v_not_b32_e32 v23, v23
	v_not_b32_e32 v22, v22
	v_add_u32_e32 v24, 20, v7
	v_and_b32_e32 v23, 0, v23
	v_and_b32_e32 v22, v42, v22
	v_lshlrev_b64 v[24:25], v24, 1
	v_cmp_eq_u64_e32 vcc, v[22:23], v[24:25]
	v_lshrrev_b64 v[22:23], v7, v[42:43]
	v_lshrrev_b32_e32 v24, 23, v22
	v_add3_u32 v25, v7, v26, v24
	v_bfe_u32 v7, v22, 21, 1
	v_add_u32_e32 v7, -1, v7
	v_cndmask_b32_e32 v7, 0, v7, vcc
	v_add_u32_e32 v7, v7, v22
	v_and_b32_e32 v7, 0x1fffff, v7
	v_add_co_u32_e32 v22, vcc, v7, v22
	v_add_u32_e32 v24, 14, v25
	v_addc_co_u32_e32 v23, vcc, 0, v23, vcc
	v_cmp_ne_u32_e32 vcc, 0, v24
                                        ; implicit-def: $vgpr7
	s_and_saveexec_b64 s[30:31], vcc
	s_xor_b64 s[30:31], exec, s[30:31]
; %bb.5015:                             ;   in Loop: Header=BB4_4927 Depth=3
	v_add_u32_e32 v7, 15, v25
	v_cmp_lt_u64_e32 vcc, s[56:57], v[22:23]
	v_cndmask_b32_e32 v7, v24, v7, vcc
	v_cndmask_b32_e64 v24, 0, 1, vcc
	v_lshrrev_b64 v[22:23], v24, v[22:23]
; %bb.5016:                             ;   in Loop: Header=BB4_4927 Depth=3
	s_andn2_saveexec_b64 vcc, s[30:31]
; %bb.5017:                             ;   in Loop: Header=BB4_4927 Depth=3
	v_bfe_u32 v7, v22, 23, 1
; %bb.5018:                             ;   in Loop: Header=BB4_4927 Depth=3
	s_or_b64 exec, exec, vcc
	v_lshrrev_b64 v[22:23], 21, v[22:23]
	v_cmp_gt_i32_e32 vcc, 32, v7
	v_cndmask_b32_e32 v23, 0, v23, vcc
	v_cndmask_b32_e32 v22, 3, v22, vcc
	v_cmp_eq_u32_e32 vcc, 0, v7
	v_min_i32_e32 v7, 31, v7
	v_cmp_eq_u64_e64 s[30:31], 0, v[22:23]
	v_lshlrev_b32_e32 v7, 2, v7
	v_and_or_b32 v7, v22, 3, v7
	s_and_b64 vcc, vcc, s[30:31]
	v_cndmask_b32_e64 v7, v7, 0, vcc
	v_or_b32_e32 v53, v7, v0
.LBB4_5019:                             ;   in Loop: Header=BB4_4927 Depth=3
	s_or_b64 exec, exec, s[74:75]
.LBB4_5020:                             ;   in Loop: Header=BB4_4927 Depth=3
	s_or_b64 exec, exec, s[72:73]
                                        ; implicit-def: $vgpr7
.LBB4_5021:                             ;   in Loop: Header=BB4_4927 Depth=3
	s_andn2_saveexec_b64 s[30:31], s[34:35]
; %bb.5022:                             ;   in Loop: Header=BB4_4927 Depth=3
	v_or_b32_sdwa v0, v7, s39 dst_sel:DWORD dst_unused:UNUSED_PAD src0_sel:BYTE_3 src1_sel:DWORD
	v_cmp_eq_u64_e32 vcc, 0, v[42:43]
	v_cndmask_b32_e32 v53, v0, v53, vcc
; %bb.5023:                             ;   in Loop: Header=BB4_4927 Depth=3
	s_or_b64 exec, exec, s[30:31]
	v_lshrrev_b32_e32 v24, 16, v12
	v_lshrrev_b32_e32 v22, 16, v8
	v_cmp_ne_u16_sdwa s[30:31], v24, v43 src0_sel:BYTE_0 src1_sel:DWORD
	s_and_b64 vcc, exec, s[70:71]
	s_cbranch_vccz .LBB4_5041
; %bb.5024:                             ;   in Loop: Header=BB4_4927 Depth=3
	v_mov_b32_e32 v7, 0
	v_mov_b32_e32 v0, 0
	s_and_saveexec_b64 s[34:35], s[30:31]
	s_cbranch_execz .LBB4_5032
; %bb.5025:                             ;   in Loop: Header=BB4_4927 Depth=3
	v_cmp_ne_u16_sdwa vcc, v24, s97 src0_sel:BYTE_0 src1_sel:DWORD
	v_bfrev_b32_e32 v0, 1
	s_and_saveexec_b64 s[72:73], vcc
	s_cbranch_execz .LBB4_5031
; %bb.5026:                             ;   in Loop: Header=BB4_4927 Depth=3
	v_and_b32_e32 v0, 0x7c0000, v12
	v_bfe_u32 v23, v12, 16, 2
	v_cmp_ne_u32_e32 vcc, s36, v0
                                        ; implicit-def: $vgpr0
	s_and_saveexec_b64 s[74:75], vcc
	s_xor_b64 s[74:75], exec, s[74:75]
	s_cbranch_execz .LBB4_5028
; %bb.5027:                             ;   in Loop: Header=BB4_4927 Depth=3
	v_ffbh_u32_e32 v25, v23
	v_min_u32_e32 v25, 32, v25
	v_subrev_u32_e32 v26, 29, v25
	v_bfe_u32 v0, v12, 18, 5
	v_lshlrev_b64 v[26:27], v26, v[24:25]
	v_sub_u32_e32 v25, 30, v25
	v_and_b32_e32 v26, 3, v26
	v_cmp_eq_u32_e32 vcc, 0, v0
	v_cndmask_b32_e32 v0, v0, v25, vcc
	v_cndmask_b32_e32 v23, v23, v26, vcc
	v_bfrev_b32_e32 v26, 28
	v_lshlrev_b32_e32 v25, 24, v24
	v_lshl_add_u32 v0, v0, 23, v26
	v_and_or_b32 v0, v25, s96, v0
	v_lshl_or_b32 v0, v23, 21, v0
                                        ; implicit-def: $vgpr23
.LBB4_5028:                             ;   in Loop: Header=BB4_4927 Depth=3
	s_andn2_saveexec_b64 s[74:75], s[74:75]
; %bb.5029:                             ;   in Loop: Header=BB4_4927 Depth=3
	v_mov_b32_e32 v0, -1
	v_cmp_gt_i16_sdwa vcc, sext(v24), v0 src0_sel:BYTE_0 src1_sel:DWORD
	v_cndmask_b32_e32 v0, v6, v1, vcc
	v_cmp_eq_u32_e32 vcc, 0, v23
	v_mov_b32_e32 v23, 0x7f800001
	v_cndmask_b32_e32 v0, v23, v0, vcc
; %bb.5030:                             ;   in Loop: Header=BB4_4927 Depth=3
	s_or_b64 exec, exec, s[74:75]
.LBB4_5031:                             ;   in Loop: Header=BB4_4927 Depth=3
	s_or_b64 exec, exec, s[72:73]
.LBB4_5032:                             ;   in Loop: Header=BB4_4927 Depth=3
	s_or_b64 exec, exec, s[34:35]
	v_cmp_ne_u16_sdwa vcc, v22, v43 src0_sel:BYTE_0 src1_sel:DWORD
	s_and_saveexec_b64 s[34:35], vcc
	s_cbranch_execz .LBB4_5040
; %bb.5033:                             ;   in Loop: Header=BB4_4927 Depth=3
	v_cmp_ne_u16_sdwa vcc, v22, s97 src0_sel:BYTE_0 src1_sel:DWORD
	v_bfrev_b32_e32 v7, 1
	s_and_saveexec_b64 s[72:73], vcc
	s_cbranch_execz .LBB4_5039
; %bb.5034:                             ;   in Loop: Header=BB4_4927 Depth=3
	v_and_b32_e32 v7, 0x7c0000, v8
	v_bfe_u32 v23, v8, 16, 2
	v_cmp_ne_u32_e32 vcc, s36, v7
                                        ; implicit-def: $vgpr7
	s_and_saveexec_b64 s[74:75], vcc
	s_xor_b64 s[74:75], exec, s[74:75]
	s_cbranch_execz .LBB4_5036
; %bb.5035:                             ;   in Loop: Header=BB4_4927 Depth=3
	v_ffbh_u32_e32 v25, v23
	v_min_u32_e32 v25, 32, v25
	v_subrev_u32_e32 v26, 29, v25
	v_bfe_u32 v7, v8, 18, 5
	v_lshlrev_b64 v[26:27], v26, v[22:23]
	v_sub_u32_e32 v25, 30, v25
	v_and_b32_e32 v26, 3, v26
	v_cmp_eq_u32_e32 vcc, 0, v7
	v_cndmask_b32_e32 v7, v7, v25, vcc
	v_cndmask_b32_e32 v23, v23, v26, vcc
	v_bfrev_b32_e32 v26, 28
	v_lshlrev_b32_e32 v25, 24, v22
	v_lshl_add_u32 v7, v7, 23, v26
	v_and_or_b32 v7, v25, s96, v7
	v_lshl_or_b32 v7, v23, 21, v7
                                        ; implicit-def: $vgpr23
.LBB4_5036:                             ;   in Loop: Header=BB4_4927 Depth=3
	s_andn2_saveexec_b64 s[74:75], s[74:75]
; %bb.5037:                             ;   in Loop: Header=BB4_4927 Depth=3
	v_mov_b32_e32 v7, -1
	v_cmp_gt_i16_sdwa vcc, sext(v22), v7 src0_sel:BYTE_0 src1_sel:DWORD
	v_cndmask_b32_e32 v7, v6, v1, vcc
	v_cmp_eq_u32_e32 vcc, 0, v23
	v_mov_b32_e32 v23, 0x7f800001
	v_cndmask_b32_e32 v7, v23, v7, vcc
; %bb.5038:                             ;   in Loop: Header=BB4_4927 Depth=3
	s_or_b64 exec, exec, s[74:75]
.LBB4_5039:                             ;   in Loop: Header=BB4_4927 Depth=3
	s_or_b64 exec, exec, s[72:73]
.LBB4_5040:                             ;   in Loop: Header=BB4_4927 Depth=3
	s_or_b64 exec, exec, s[34:35]
	v_max_f32_e32 v7, v7, v7
	v_max_f32_e32 v0, v0, v0
	;; [unrolled: 1-line block ×3, first 2 shown]
	s_branch .LBB4_5059
.LBB4_5041:                             ;   in Loop: Header=BB4_4927 Depth=3
                                        ; implicit-def: $vgpr23
	s_cbranch_execz .LBB4_5059
; %bb.5042:                             ;   in Loop: Header=BB4_4927 Depth=3
	v_mov_b32_e32 v7, 0
	v_mov_b32_e32 v0, 0
	s_and_saveexec_b64 s[34:35], s[30:31]
	s_cbranch_execz .LBB4_5050
; %bb.5043:                             ;   in Loop: Header=BB4_4927 Depth=3
	v_cmp_ne_u16_sdwa vcc, v24, s97 src0_sel:BYTE_0 src1_sel:DWORD
	v_bfrev_b32_e32 v0, 1
	s_and_saveexec_b64 s[30:31], vcc
	s_cbranch_execz .LBB4_5049
; %bb.5044:                             ;   in Loop: Header=BB4_4927 Depth=3
	v_and_b32_e32 v0, 0x7c0000, v12
	v_bfe_u32 v23, v12, 16, 2
	v_cmp_ne_u32_e32 vcc, s36, v0
                                        ; implicit-def: $vgpr0
	s_and_saveexec_b64 s[72:73], vcc
	s_xor_b64 s[72:73], exec, s[72:73]
	s_cbranch_execz .LBB4_5046
; %bb.5045:                             ;   in Loop: Header=BB4_4927 Depth=3
	v_ffbh_u32_e32 v25, v23
	v_min_u32_e32 v25, 32, v25
	v_bfe_u32 v0, v12, 18, 5
	v_subrev_u32_e32 v26, 29, v25
	v_lshlrev_b64 v[26:27], v26, v[24:25]
	v_sub_u32_e32 v25, 30, v25
	v_cmp_eq_u32_e32 vcc, 0, v0
	v_cndmask_b32_e32 v0, v0, v25, vcc
	v_bfrev_b32_e32 v25, 28
	v_and_b32_e32 v26, 3, v26
	v_lshlrev_b32_e32 v24, 24, v24
	v_lshl_add_u32 v0, v0, 23, v25
	v_cndmask_b32_e32 v23, v23, v26, vcc
	v_and_or_b32 v0, v24, s96, v0
	v_lshl_or_b32 v0, v23, 21, v0
                                        ; implicit-def: $vgpr23
                                        ; implicit-def: $vgpr24
.LBB4_5046:                             ;   in Loop: Header=BB4_4927 Depth=3
	s_andn2_saveexec_b64 s[72:73], s[72:73]
; %bb.5047:                             ;   in Loop: Header=BB4_4927 Depth=3
	v_mov_b32_e32 v0, -1
	v_cmp_gt_i16_sdwa vcc, sext(v24), v0 src0_sel:BYTE_0 src1_sel:DWORD
	v_cndmask_b32_e32 v0, v6, v1, vcc
	v_cmp_eq_u32_e32 vcc, 0, v23
	v_mov_b32_e32 v23, 0x7f800001
	v_cndmask_b32_e32 v0, v23, v0, vcc
; %bb.5048:                             ;   in Loop: Header=BB4_4927 Depth=3
	s_or_b64 exec, exec, s[72:73]
.LBB4_5049:                             ;   in Loop: Header=BB4_4927 Depth=3
	s_or_b64 exec, exec, s[30:31]
.LBB4_5050:                             ;   in Loop: Header=BB4_4927 Depth=3
	s_or_b64 exec, exec, s[34:35]
	v_cmp_ne_u16_sdwa vcc, v22, v43 src0_sel:BYTE_0 src1_sel:DWORD
	s_and_saveexec_b64 s[30:31], vcc
	s_cbranch_execz .LBB4_5058
; %bb.5051:                             ;   in Loop: Header=BB4_4927 Depth=3
	v_cmp_ne_u16_sdwa vcc, v22, s97 src0_sel:BYTE_0 src1_sel:DWORD
	v_bfrev_b32_e32 v7, 1
	s_and_saveexec_b64 s[34:35], vcc
	s_cbranch_execz .LBB4_5057
; %bb.5052:                             ;   in Loop: Header=BB4_4927 Depth=3
	v_and_b32_e32 v7, 0x7c0000, v8
	v_bfe_u32 v23, v8, 16, 2
	v_cmp_ne_u32_e32 vcc, s36, v7
                                        ; implicit-def: $vgpr7
	s_and_saveexec_b64 s[72:73], vcc
	s_xor_b64 s[72:73], exec, s[72:73]
	s_cbranch_execz .LBB4_5054
; %bb.5053:                             ;   in Loop: Header=BB4_4927 Depth=3
	v_ffbh_u32_e32 v24, v23
	v_min_u32_e32 v26, 32, v24
	v_subrev_u32_e32 v24, 29, v26
	v_bfe_u32 v7, v8, 18, 5
	v_lshlrev_b64 v[24:25], v24, v[22:23]
	v_sub_u32_e32 v25, 30, v26
	v_and_b32_e32 v24, 3, v24
	v_cmp_eq_u32_e32 vcc, 0, v7
	v_cndmask_b32_e32 v7, v7, v25, vcc
	v_cndmask_b32_e32 v23, v23, v24, vcc
	v_bfrev_b32_e32 v24, 28
	v_lshlrev_b32_e32 v22, 24, v22
	v_lshl_add_u32 v7, v7, 23, v24
	v_and_or_b32 v7, v22, s96, v7
	v_lshl_or_b32 v7, v23, 21, v7
                                        ; implicit-def: $vgpr23
                                        ; implicit-def: $vgpr22
.LBB4_5054:                             ;   in Loop: Header=BB4_4927 Depth=3
	s_andn2_saveexec_b64 s[72:73], s[72:73]
; %bb.5055:                             ;   in Loop: Header=BB4_4927 Depth=3
	v_mov_b32_e32 v7, -1
	v_cmp_gt_i16_sdwa vcc, sext(v22), v7 src0_sel:BYTE_0 src1_sel:DWORD
	v_cndmask_b32_e32 v7, v6, v1, vcc
	v_cmp_eq_u32_e32 vcc, 0, v23
	v_mov_b32_e32 v22, 0x7f800001
	v_cndmask_b32_e32 v7, v22, v7, vcc
; %bb.5056:                             ;   in Loop: Header=BB4_4927 Depth=3
	s_or_b64 exec, exec, s[72:73]
.LBB4_5057:                             ;   in Loop: Header=BB4_4927 Depth=3
	s_or_b64 exec, exec, s[34:35]
.LBB4_5058:                             ;   in Loop: Header=BB4_4927 Depth=3
	s_or_b64 exec, exec, s[30:31]
	v_max_f32_e32 v7, v7, v7
	v_max_f32_e32 v0, v0, v0
	v_min_f32_e32 v23, v0, v7
.LBB4_5059:                             ;   in Loop: Header=BB4_4927 Depth=3
	v_and_b32_sdwa v0, v23, s97 dst_sel:DWORD dst_unused:UNUSED_PAD src0_sel:BYTE_3 src1_sel:DWORD
	v_and_b32_e32 v24, 0x7f800000, v23
	v_mov_b32_e32 v25, v43
	v_and_b32_e32 v42, 0x7fffff, v23
	v_or_b32_e32 v7, 0x7b, v0
	v_cmp_ne_u64_e32 vcc, s[52:53], v[24:25]
	s_and_saveexec_b64 s[30:31], vcc
	s_xor_b64 s[34:35], exec, s[30:31]
	s_cbranch_execz .LBB4_5069
; %bb.5060:                             ;   in Loop: Header=BB4_4927 Depth=3
	v_and_b32_e32 v24, 0x7fffffff, v23
	v_mov_b32_e32 v25, v43
	v_cmp_gt_u64_e32 vcc, s[54:55], v[24:25]
	s_and_saveexec_b64 s[72:73], vcc
	s_cbranch_execz .LBB4_5068
; %bb.5061:                             ;   in Loop: Header=BB4_4927 Depth=3
	v_cmp_ne_u32_e32 vcc, 0, v23
	v_mov_b32_e32 v7, 0
	s_and_saveexec_b64 s[74:75], vcc
	s_cbranch_execz .LBB4_5067
; %bb.5062:                             ;   in Loop: Header=BB4_4927 Depth=3
	v_bfe_u32 v7, v23, 23, 8
	v_cmp_eq_u32_e32 vcc, 0, v7
	v_add_u32_e32 v22, 0xffffff81, v7
	v_cmp_gt_u32_e64 s[30:31], s38, v7
	v_sub_u32_e32 v7, 0x71, v7
	v_mov_b32_e32 v24, 0xffffff82
	v_cndmask_b32_e64 v7, 0, v7, s[30:31]
	v_cndmask_b32_e32 v26, v22, v24, vcc
	v_mov_b32_e32 v22, 0x70
	v_cndmask_b32_e32 v7, v7, v22, vcc
	v_or_b32_e32 v23, 0x800000, v42
	v_add_u32_e32 v22, 21, v7
	v_cndmask_b32_e32 v42, v23, v42, vcc
	v_lshlrev_b64 v[22:23], v22, -1
	v_not_b32_e32 v23, v23
	v_not_b32_e32 v22, v22
	v_add_u32_e32 v24, 20, v7
	v_and_b32_e32 v23, 0, v23
	v_and_b32_e32 v22, v42, v22
	v_lshlrev_b64 v[24:25], v24, 1
	v_cmp_eq_u64_e32 vcc, v[22:23], v[24:25]
	v_lshrrev_b64 v[22:23], v7, v[42:43]
	v_lshrrev_b32_e32 v24, 23, v22
	v_add3_u32 v25, v7, v26, v24
	v_bfe_u32 v7, v22, 21, 1
	v_add_u32_e32 v7, -1, v7
	v_cndmask_b32_e32 v7, 0, v7, vcc
	v_add_u32_e32 v7, v7, v22
	v_and_b32_e32 v7, 0x1fffff, v7
	v_add_co_u32_e32 v22, vcc, v7, v22
	v_add_u32_e32 v24, 14, v25
	v_addc_co_u32_e32 v23, vcc, 0, v23, vcc
	v_cmp_ne_u32_e32 vcc, 0, v24
                                        ; implicit-def: $vgpr7
	s_and_saveexec_b64 s[30:31], vcc
	s_xor_b64 s[30:31], exec, s[30:31]
; %bb.5063:                             ;   in Loop: Header=BB4_4927 Depth=3
	v_add_u32_e32 v7, 15, v25
	v_cmp_lt_u64_e32 vcc, s[56:57], v[22:23]
	v_cndmask_b32_e32 v7, v24, v7, vcc
	v_cndmask_b32_e64 v24, 0, 1, vcc
	v_lshrrev_b64 v[22:23], v24, v[22:23]
; %bb.5064:                             ;   in Loop: Header=BB4_4927 Depth=3
	s_andn2_saveexec_b64 vcc, s[30:31]
; %bb.5065:                             ;   in Loop: Header=BB4_4927 Depth=3
	v_bfe_u32 v7, v22, 23, 1
; %bb.5066:                             ;   in Loop: Header=BB4_4927 Depth=3
	s_or_b64 exec, exec, vcc
	v_lshrrev_b64 v[22:23], 21, v[22:23]
	v_cmp_gt_i32_e32 vcc, 32, v7
	v_cndmask_b32_e32 v23, 0, v23, vcc
	v_cndmask_b32_e32 v22, 3, v22, vcc
	v_cmp_eq_u32_e32 vcc, 0, v7
	v_min_i32_e32 v7, 31, v7
	v_cmp_eq_u64_e64 s[30:31], 0, v[22:23]
	v_lshlrev_b32_e32 v7, 2, v7
	v_and_or_b32 v7, v22, 3, v7
	s_and_b64 vcc, vcc, s[30:31]
	v_cndmask_b32_e64 v7, v7, 0, vcc
	v_or_b32_e32 v7, v7, v0
.LBB4_5067:                             ;   in Loop: Header=BB4_4927 Depth=3
	s_or_b64 exec, exec, s[74:75]
.LBB4_5068:                             ;   in Loop: Header=BB4_4927 Depth=3
	s_or_b64 exec, exec, s[72:73]
                                        ; implicit-def: $vgpr23
.LBB4_5069:                             ;   in Loop: Header=BB4_4927 Depth=3
	s_andn2_saveexec_b64 s[30:31], s[34:35]
; %bb.5070:                             ;   in Loop: Header=BB4_4927 Depth=3
	v_or_b32_sdwa v0, v23, s39 dst_sel:DWORD dst_unused:UNUSED_PAD src0_sel:BYTE_3 src1_sel:DWORD
	v_cmp_eq_u64_e32 vcc, 0, v[42:43]
	v_cndmask_b32_e32 v7, v0, v7, vcc
; %bb.5071:                             ;   in Loop: Header=BB4_4927 Depth=3
	s_or_b64 exec, exec, s[30:31]
	v_lshrrev_b32_e32 v24, 24, v12
	v_lshrrev_b32_e32 v22, 24, v8
	v_cmp_lt_u32_e64 s[30:31], s43, v12
	s_and_b64 vcc, exec, s[70:71]
	s_cbranch_vccz .LBB4_5089
; %bb.5072:                             ;   in Loop: Header=BB4_4927 Depth=3
	v_mov_b32_e32 v23, 0
	v_mov_b32_e32 v0, 0
	s_and_saveexec_b64 s[34:35], s[30:31]
	s_cbranch_execz .LBB4_5080
; %bb.5073:                             ;   in Loop: Header=BB4_4927 Depth=3
	v_cmp_ne_u32_e32 vcc, s97, v24
	v_bfrev_b32_e32 v0, 1
	s_and_saveexec_b64 s[72:73], vcc
	s_cbranch_execz .LBB4_5079
; %bb.5074:                             ;   in Loop: Header=BB4_4927 Depth=3
	v_and_b32_e32 v0, 0x7c000000, v12
	v_bfe_u32 v25, v12, 24, 2
	v_cmp_ne_u32_e32 vcc, s37, v0
                                        ; implicit-def: $vgpr0
	s_and_saveexec_b64 s[74:75], vcc
	s_xor_b64 s[74:75], exec, s[74:75]
	s_cbranch_execz .LBB4_5076
; %bb.5075:                             ;   in Loop: Header=BB4_4927 Depth=3
	v_ffbh_u32_e32 v26, v25
	v_min_u32_e32 v30, 32, v26
	v_subrev_u32_e32 v26, 29, v30
	v_bfe_u32 v0, v12, 26, 5
	v_lshlrev_b64 v[26:27], v26, v[24:25]
	v_sub_u32_e32 v27, 30, v30
	v_and_b32_e32 v26, 3, v26
	v_cmp_eq_u32_e32 vcc, 0, v0
	v_cndmask_b32_e32 v0, v0, v27, vcc
	v_cndmask_b32_e32 v25, v25, v26, vcc
	v_bfrev_b32_e32 v26, 28
	v_lshl_add_u32 v0, v0, 23, v26
	v_and_or_b32 v0, v12, s96, v0
	v_lshl_or_b32 v0, v25, 21, v0
                                        ; implicit-def: $vgpr25
.LBB4_5076:                             ;   in Loop: Header=BB4_4927 Depth=3
	s_andn2_saveexec_b64 s[74:75], s[74:75]
; %bb.5077:                             ;   in Loop: Header=BB4_4927 Depth=3
	v_cmp_lt_i32_e32 vcc, -1, v12
	v_cndmask_b32_e32 v0, v6, v1, vcc
	v_cmp_eq_u32_e32 vcc, 0, v25
	v_mov_b32_e32 v25, 0x7f800001
	v_cndmask_b32_e32 v0, v25, v0, vcc
; %bb.5078:                             ;   in Loop: Header=BB4_4927 Depth=3
	s_or_b64 exec, exec, s[74:75]
.LBB4_5079:                             ;   in Loop: Header=BB4_4927 Depth=3
	s_or_b64 exec, exec, s[72:73]
.LBB4_5080:                             ;   in Loop: Header=BB4_4927 Depth=3
	s_or_b64 exec, exec, s[34:35]
	v_cmp_lt_u32_e32 vcc, s43, v8
	s_and_saveexec_b64 s[34:35], vcc
	s_cbranch_execz .LBB4_5088
; %bb.5081:                             ;   in Loop: Header=BB4_4927 Depth=3
	v_cmp_ne_u32_e32 vcc, s97, v22
	v_bfrev_b32_e32 v23, 1
	s_and_saveexec_b64 s[72:73], vcc
	s_cbranch_execz .LBB4_5087
; %bb.5082:                             ;   in Loop: Header=BB4_4927 Depth=3
	v_and_b32_e32 v23, 0x7c000000, v8
	v_bfe_u32 v25, v8, 24, 2
	v_cmp_ne_u32_e32 vcc, s37, v23
                                        ; implicit-def: $vgpr23
	s_and_saveexec_b64 s[74:75], vcc
	s_xor_b64 s[74:75], exec, s[74:75]
	s_cbranch_execz .LBB4_5084
; %bb.5083:                             ;   in Loop: Header=BB4_4927 Depth=3
	v_ffbh_u32_e32 v26, v25
	v_min_u32_e32 v30, 32, v26
	v_bfe_u32 v23, v8, 26, 5
	v_subrev_u32_e32 v26, 29, v30
	v_lshlrev_b64 v[26:27], v26, v[22:23]
	v_sub_u32_e32 v27, 30, v30
	v_and_b32_e32 v26, 3, v26
	v_cmp_eq_u32_e32 vcc, 0, v23
	v_cndmask_b32_e32 v23, v23, v27, vcc
	v_cndmask_b32_e32 v25, v25, v26, vcc
	v_bfrev_b32_e32 v26, 28
	v_lshl_add_u32 v23, v23, 23, v26
	v_and_or_b32 v23, v8, s96, v23
	v_lshl_or_b32 v23, v25, 21, v23
                                        ; implicit-def: $vgpr25
.LBB4_5084:                             ;   in Loop: Header=BB4_4927 Depth=3
	s_andn2_saveexec_b64 s[74:75], s[74:75]
; %bb.5085:                             ;   in Loop: Header=BB4_4927 Depth=3
	v_cmp_lt_i32_e32 vcc, -1, v8
	v_cndmask_b32_e32 v23, v6, v1, vcc
	v_cmp_eq_u32_e32 vcc, 0, v25
	v_mov_b32_e32 v25, 0x7f800001
	v_cndmask_b32_e32 v23, v25, v23, vcc
; %bb.5086:                             ;   in Loop: Header=BB4_4927 Depth=3
	s_or_b64 exec, exec, s[74:75]
.LBB4_5087:                             ;   in Loop: Header=BB4_4927 Depth=3
	s_or_b64 exec, exec, s[72:73]
.LBB4_5088:                             ;   in Loop: Header=BB4_4927 Depth=3
	s_or_b64 exec, exec, s[34:35]
	v_max_f32_e32 v23, v23, v23
	v_max_f32_e32 v0, v0, v0
	;; [unrolled: 1-line block ×3, first 2 shown]
	s_branch .LBB4_5107
.LBB4_5089:                             ;   in Loop: Header=BB4_4927 Depth=3
                                        ; implicit-def: $vgpr23
	s_cbranch_execz .LBB4_5107
; %bb.5090:                             ;   in Loop: Header=BB4_4927 Depth=3
	v_mov_b32_e32 v23, 0
	v_mov_b32_e32 v0, 0
	s_and_saveexec_b64 s[34:35], s[30:31]
	s_cbranch_execz .LBB4_5098
; %bb.5091:                             ;   in Loop: Header=BB4_4927 Depth=3
	v_cmp_ne_u32_e32 vcc, s97, v24
	v_bfrev_b32_e32 v0, 1
	s_and_saveexec_b64 s[30:31], vcc
	s_cbranch_execz .LBB4_5097
; %bb.5092:                             ;   in Loop: Header=BB4_4927 Depth=3
	v_and_b32_e32 v0, 0x7c000000, v12
	v_bfe_u32 v25, v12, 24, 2
	v_cmp_ne_u32_e32 vcc, s37, v0
                                        ; implicit-def: $vgpr0
	s_and_saveexec_b64 s[72:73], vcc
	s_xor_b64 s[72:73], exec, s[72:73]
	s_cbranch_execz .LBB4_5094
; %bb.5093:                             ;   in Loop: Header=BB4_4927 Depth=3
	v_ffbh_u32_e32 v26, v25
	v_min_u32_e32 v30, 32, v26
	v_subrev_u32_e32 v26, 29, v30
	v_bfe_u32 v0, v12, 26, 5
	v_lshlrev_b64 v[26:27], v26, v[24:25]
	v_sub_u32_e32 v24, 30, v30
	v_and_b32_e32 v26, 3, v26
	v_cmp_eq_u32_e32 vcc, 0, v0
	v_cndmask_b32_e32 v0, v0, v24, vcc
	v_cndmask_b32_e32 v24, v25, v26, vcc
	v_bfrev_b32_e32 v25, 28
	v_lshl_add_u32 v0, v0, 23, v25
	v_and_or_b32 v0, v12, s96, v0
	v_lshl_or_b32 v0, v24, 21, v0
                                        ; implicit-def: $vgpr25
.LBB4_5094:                             ;   in Loop: Header=BB4_4927 Depth=3
	s_andn2_saveexec_b64 s[72:73], s[72:73]
; %bb.5095:                             ;   in Loop: Header=BB4_4927 Depth=3
	v_cmp_lt_i32_e32 vcc, -1, v12
	v_cndmask_b32_e32 v0, v6, v1, vcc
	v_cmp_eq_u32_e32 vcc, 0, v25
	v_mov_b32_e32 v24, 0x7f800001
	v_cndmask_b32_e32 v0, v24, v0, vcc
; %bb.5096:                             ;   in Loop: Header=BB4_4927 Depth=3
	s_or_b64 exec, exec, s[72:73]
.LBB4_5097:                             ;   in Loop: Header=BB4_4927 Depth=3
	s_or_b64 exec, exec, s[30:31]
.LBB4_5098:                             ;   in Loop: Header=BB4_4927 Depth=3
	s_or_b64 exec, exec, s[34:35]
	v_cmp_lt_u32_e32 vcc, s43, v8
	s_and_saveexec_b64 s[30:31], vcc
	s_cbranch_execz .LBB4_5106
; %bb.5099:                             ;   in Loop: Header=BB4_4927 Depth=3
	v_cmp_ne_u32_e32 vcc, s97, v22
	v_bfrev_b32_e32 v23, 1
	s_and_saveexec_b64 s[34:35], vcc
	s_cbranch_execz .LBB4_5105
; %bb.5100:                             ;   in Loop: Header=BB4_4927 Depth=3
	v_and_b32_e32 v23, 0x7c000000, v8
	v_bfe_u32 v24, v8, 24, 2
	v_cmp_ne_u32_e32 vcc, s37, v23
                                        ; implicit-def: $vgpr23
	s_and_saveexec_b64 s[72:73], vcc
	s_xor_b64 s[72:73], exec, s[72:73]
	s_cbranch_execz .LBB4_5102
; %bb.5101:                             ;   in Loop: Header=BB4_4927 Depth=3
	v_ffbh_u32_e32 v23, v24
	v_min_u32_e32 v26, 32, v23
	v_subrev_u32_e32 v23, 29, v26
	v_bfe_u32 v25, v8, 26, 5
	v_lshlrev_b64 v[22:23], v23, v[22:23]
	v_sub_u32_e32 v23, 30, v26
	v_and_b32_e32 v22, 3, v22
	v_cmp_eq_u32_e32 vcc, 0, v25
	v_cndmask_b32_e32 v23, v25, v23, vcc
	v_cndmask_b32_e32 v22, v24, v22, vcc
	v_bfrev_b32_e32 v24, 28
	v_lshl_add_u32 v23, v23, 23, v24
	v_and_or_b32 v23, v8, s96, v23
	v_lshl_or_b32 v23, v22, 21, v23
                                        ; implicit-def: $vgpr24
.LBB4_5102:                             ;   in Loop: Header=BB4_4927 Depth=3
	s_andn2_saveexec_b64 s[72:73], s[72:73]
; %bb.5103:                             ;   in Loop: Header=BB4_4927 Depth=3
	v_cmp_lt_i32_e32 vcc, -1, v8
	v_cndmask_b32_e32 v22, v6, v1, vcc
	v_cmp_eq_u32_e32 vcc, 0, v24
	v_mov_b32_e32 v23, 0x7f800001
	v_cndmask_b32_e32 v23, v23, v22, vcc
; %bb.5104:                             ;   in Loop: Header=BB4_4927 Depth=3
	s_or_b64 exec, exec, s[72:73]
.LBB4_5105:                             ;   in Loop: Header=BB4_4927 Depth=3
	s_or_b64 exec, exec, s[34:35]
.LBB4_5106:                             ;   in Loop: Header=BB4_4927 Depth=3
	s_or_b64 exec, exec, s[30:31]
	v_max_f32_e32 v22, v23, v23
	v_max_f32_e32 v0, v0, v0
	v_min_f32_e32 v23, v0, v22
.LBB4_5107:                             ;   in Loop: Header=BB4_4927 Depth=3
	v_and_b32_sdwa v0, v23, s97 dst_sel:DWORD dst_unused:UNUSED_PAD src0_sel:BYTE_3 src1_sel:DWORD
	v_and_b32_e32 v24, 0x7f800000, v23
	v_mov_b32_e32 v25, v43
	v_and_b32_e32 v42, 0x7fffff, v23
	v_or_b32_e32 v30, 0x7b, v0
	v_cmp_ne_u64_e32 vcc, s[52:53], v[24:25]
	s_and_saveexec_b64 s[30:31], vcc
	s_xor_b64 s[34:35], exec, s[30:31]
	s_cbranch_execz .LBB4_5117
; %bb.5108:                             ;   in Loop: Header=BB4_4927 Depth=3
	v_and_b32_e32 v24, 0x7fffffff, v23
	v_mov_b32_e32 v25, v43
	v_cmp_gt_u64_e32 vcc, s[54:55], v[24:25]
	s_and_saveexec_b64 s[72:73], vcc
	s_cbranch_execz .LBB4_5116
; %bb.5109:                             ;   in Loop: Header=BB4_4927 Depth=3
	v_cmp_ne_u32_e32 vcc, 0, v23
	v_mov_b32_e32 v30, 0
	s_and_saveexec_b64 s[74:75], vcc
	s_cbranch_execz .LBB4_5115
; %bb.5110:                             ;   in Loop: Header=BB4_4927 Depth=3
	v_bfe_u32 v22, v23, 23, 8
	v_cmp_eq_u32_e32 vcc, 0, v22
	v_add_u32_e32 v23, 0xffffff81, v22
	v_cmp_gt_u32_e64 s[30:31], s38, v22
	v_sub_u32_e32 v22, 0x71, v22
	v_mov_b32_e32 v25, 0xffffff82
	v_cndmask_b32_e64 v22, 0, v22, s[30:31]
	v_cndmask_b32_e32 v26, v23, v25, vcc
	v_mov_b32_e32 v23, 0x70
	v_cndmask_b32_e32 v27, v22, v23, vcc
	v_add_u32_e32 v22, 21, v27
	v_or_b32_e32 v24, 0x800000, v42
	v_lshlrev_b64 v[22:23], v22, -1
	v_cndmask_b32_e32 v42, v24, v42, vcc
	v_not_b32_e32 v23, v23
	v_not_b32_e32 v22, v22
	v_add_u32_e32 v24, 20, v27
	v_and_b32_e32 v23, 0, v23
	v_and_b32_e32 v22, v42, v22
	v_lshlrev_b64 v[24:25], v24, 1
	v_cmp_eq_u64_e32 vcc, v[22:23], v[24:25]
	v_lshrrev_b64 v[22:23], v27, v[42:43]
	v_lshrrev_b32_e32 v24, 23, v22
	v_add3_u32 v26, v27, v26, v24
	v_bfe_u32 v24, v22, 21, 1
	v_add_u32_e32 v24, -1, v24
	v_cndmask_b32_e32 v24, 0, v24, vcc
	v_add_u32_e32 v24, v24, v22
	v_and_b32_e32 v24, 0x1fffff, v24
	v_add_co_u32_e32 v22, vcc, v24, v22
	v_add_u32_e32 v25, 14, v26
	v_addc_co_u32_e32 v23, vcc, 0, v23, vcc
	v_cmp_ne_u32_e32 vcc, 0, v25
                                        ; implicit-def: $vgpr24
	s_and_saveexec_b64 s[30:31], vcc
	s_xor_b64 s[30:31], exec, s[30:31]
; %bb.5111:                             ;   in Loop: Header=BB4_4927 Depth=3
	v_add_u32_e32 v24, 15, v26
	v_cmp_lt_u64_e32 vcc, s[56:57], v[22:23]
	v_cndmask_b32_e32 v24, v25, v24, vcc
	v_cndmask_b32_e64 v25, 0, 1, vcc
	v_lshrrev_b64 v[22:23], v25, v[22:23]
; %bb.5112:                             ;   in Loop: Header=BB4_4927 Depth=3
	s_andn2_saveexec_b64 vcc, s[30:31]
; %bb.5113:                             ;   in Loop: Header=BB4_4927 Depth=3
	v_bfe_u32 v24, v22, 23, 1
; %bb.5114:                             ;   in Loop: Header=BB4_4927 Depth=3
	s_or_b64 exec, exec, vcc
	v_lshrrev_b64 v[22:23], 21, v[22:23]
	v_cmp_gt_i32_e32 vcc, 32, v24
	v_cndmask_b32_e32 v23, 0, v23, vcc
	v_cndmask_b32_e32 v22, 3, v22, vcc
	v_cmp_eq_u64_e64 s[30:31], 0, v[22:23]
	v_min_i32_e32 v23, 31, v24
	v_cmp_eq_u32_e32 vcc, 0, v24
	v_lshlrev_b32_e32 v23, 2, v23
	v_and_or_b32 v22, v22, 3, v23
	s_and_b64 vcc, vcc, s[30:31]
	v_cndmask_b32_e64 v22, v22, 0, vcc
	v_or_b32_e32 v30, v22, v0
.LBB4_5115:                             ;   in Loop: Header=BB4_4927 Depth=3
	s_or_b64 exec, exec, s[74:75]
.LBB4_5116:                             ;   in Loop: Header=BB4_4927 Depth=3
	s_or_b64 exec, exec, s[72:73]
                                        ; implicit-def: $vgpr23
.LBB4_5117:                             ;   in Loop: Header=BB4_4927 Depth=3
	s_andn2_saveexec_b64 s[30:31], s[34:35]
; %bb.5118:                             ;   in Loop: Header=BB4_4927 Depth=3
	v_or_b32_sdwa v0, v23, s39 dst_sel:DWORD dst_unused:UNUSED_PAD src0_sel:BYTE_3 src1_sel:DWORD
	v_cmp_eq_u64_e32 vcc, 0, v[42:43]
	v_cndmask_b32_e32 v30, v0, v30, vcc
; %bb.5119:                             ;   in Loop: Header=BB4_4927 Depth=3
	s_or_b64 exec, exec, s[30:31]
	v_mov_b32_e32 v42, v13
	v_mov_b32_e32 v22, v9
	;; [unrolled: 1-line block ×3, first 2 shown]
	v_cmp_ne_u16_sdwa s[30:31], v13, v43 src0_sel:BYTE_0 src1_sel:DWORD
	s_and_b64 vcc, exec, s[70:71]
	s_cbranch_vccz .LBB4_5137
; %bb.5120:                             ;   in Loop: Header=BB4_4927 Depth=3
	v_mov_b32_e32 v24, 0
	v_mov_b32_e32 v0, 0
	s_and_saveexec_b64 s[34:35], s[30:31]
	s_cbranch_execz .LBB4_5128
; %bb.5121:                             ;   in Loop: Header=BB4_4927 Depth=3
	v_cmp_ne_u16_sdwa vcc, v13, s97 src0_sel:BYTE_0 src1_sel:DWORD
	v_bfrev_b32_e32 v0, 1
	s_and_saveexec_b64 s[72:73], vcc
	s_cbranch_execz .LBB4_5127
; %bb.5122:                             ;   in Loop: Header=BB4_4927 Depth=3
	v_and_b32_e32 v0, 0x7c, v13
	v_and_b32_e32 v25, 3, v13
	v_cmp_ne_u32_e32 vcc, s95, v0
                                        ; implicit-def: $vgpr0
	s_and_saveexec_b64 s[74:75], vcc
	s_xor_b64 s[74:75], exec, s[74:75]
	s_cbranch_execz .LBB4_5124
; %bb.5123:                             ;   in Loop: Header=BB4_4927 Depth=3
	v_ffbh_u32_e32 v26, v25
	v_min_u32_e32 v32, 32, v26
	v_subrev_u32_e32 v26, 29, v32
	v_bfe_u32 v0, v13, 2, 5
	v_lshlrev_b64 v[26:27], v26, v[42:43]
	v_sub_u32_e32 v27, 30, v32
	v_cmp_eq_u32_e32 vcc, 0, v0
	v_and_b32_e32 v26, 3, v26
	v_cndmask_b32_e32 v0, v0, v27, vcc
	v_bfrev_b32_e32 v27, 28
	v_cndmask_b32_e32 v25, v25, v26, vcc
	v_lshlrev_b32_e32 v26, 24, v13
	v_lshl_add_u32 v0, v0, 23, v27
	v_and_or_b32 v0, v26, s96, v0
	v_lshl_or_b32 v0, v25, 21, v0
                                        ; implicit-def: $vgpr25
.LBB4_5124:                             ;   in Loop: Header=BB4_4927 Depth=3
	s_andn2_saveexec_b64 s[74:75], s[74:75]
; %bb.5125:                             ;   in Loop: Header=BB4_4927 Depth=3
	v_mov_b32_e32 v0, -1
	v_cmp_gt_i16_sdwa vcc, sext(v13), v0 src0_sel:BYTE_0 src1_sel:DWORD
	v_cndmask_b32_e32 v0, v6, v1, vcc
	v_cmp_eq_u32_e32 vcc, 0, v25
	v_mov_b32_e32 v25, 0x7f800001
	v_cndmask_b32_e32 v0, v25, v0, vcc
; %bb.5126:                             ;   in Loop: Header=BB4_4927 Depth=3
	s_or_b64 exec, exec, s[74:75]
.LBB4_5127:                             ;   in Loop: Header=BB4_4927 Depth=3
	s_or_b64 exec, exec, s[72:73]
.LBB4_5128:                             ;   in Loop: Header=BB4_4927 Depth=3
	s_or_b64 exec, exec, s[34:35]
	v_cmp_ne_u16_sdwa vcc, v9, v43 src0_sel:BYTE_0 src1_sel:DWORD
	s_and_saveexec_b64 s[34:35], vcc
	s_cbranch_execz .LBB4_5136
; %bb.5129:                             ;   in Loop: Header=BB4_4927 Depth=3
	v_cmp_ne_u16_sdwa vcc, v9, s97 src0_sel:BYTE_0 src1_sel:DWORD
	v_bfrev_b32_e32 v24, 1
	s_and_saveexec_b64 s[72:73], vcc
	s_cbranch_execz .LBB4_5135
; %bb.5130:                             ;   in Loop: Header=BB4_4927 Depth=3
	v_and_b32_e32 v24, 0x7c, v9
	v_and_b32_e32 v25, 3, v9
	v_cmp_ne_u32_e32 vcc, s95, v24
                                        ; implicit-def: $vgpr24
	s_and_saveexec_b64 s[74:75], vcc
	s_xor_b64 s[74:75], exec, s[74:75]
	s_cbranch_execz .LBB4_5132
; %bb.5131:                             ;   in Loop: Header=BB4_4927 Depth=3
	v_ffbh_u32_e32 v26, v25
	v_min_u32_e32 v32, 32, v26
	v_subrev_u32_e32 v26, 29, v32
	v_bfe_u32 v24, v9, 2, 5
	v_lshlrev_b64 v[26:27], v26, v[22:23]
	v_sub_u32_e32 v27, 30, v32
	v_cmp_eq_u32_e32 vcc, 0, v24
	v_and_b32_e32 v26, 3, v26
	v_cndmask_b32_e32 v24, v24, v27, vcc
	v_bfrev_b32_e32 v27, 28
	v_cndmask_b32_e32 v25, v25, v26, vcc
	v_lshlrev_b32_e32 v26, 24, v9
	v_lshl_add_u32 v24, v24, 23, v27
	v_and_or_b32 v24, v26, s96, v24
	v_lshl_or_b32 v24, v25, 21, v24
                                        ; implicit-def: $vgpr25
.LBB4_5132:                             ;   in Loop: Header=BB4_4927 Depth=3
	s_andn2_saveexec_b64 s[74:75], s[74:75]
; %bb.5133:                             ;   in Loop: Header=BB4_4927 Depth=3
	v_mov_b32_e32 v24, -1
	v_cmp_gt_i16_sdwa vcc, sext(v9), v24 src0_sel:BYTE_0 src1_sel:DWORD
	v_cndmask_b32_e32 v24, v6, v1, vcc
	v_cmp_eq_u32_e32 vcc, 0, v25
	v_mov_b32_e32 v25, 0x7f800001
	v_cndmask_b32_e32 v24, v25, v24, vcc
; %bb.5134:                             ;   in Loop: Header=BB4_4927 Depth=3
	s_or_b64 exec, exec, s[74:75]
.LBB4_5135:                             ;   in Loop: Header=BB4_4927 Depth=3
	s_or_b64 exec, exec, s[72:73]
.LBB4_5136:                             ;   in Loop: Header=BB4_4927 Depth=3
	s_or_b64 exec, exec, s[34:35]
	v_max_f32_e32 v24, v24, v24
	v_max_f32_e32 v0, v0, v0
	;; [unrolled: 1-line block ×3, first 2 shown]
	s_branch .LBB4_5155
.LBB4_5137:                             ;   in Loop: Header=BB4_4927 Depth=3
                                        ; implicit-def: $vgpr26
	s_cbranch_execz .LBB4_5155
; %bb.5138:                             ;   in Loop: Header=BB4_4927 Depth=3
	v_mov_b32_e32 v24, 0
	v_mov_b32_e32 v0, 0
	s_and_saveexec_b64 s[34:35], s[30:31]
	s_cbranch_execz .LBB4_5146
; %bb.5139:                             ;   in Loop: Header=BB4_4927 Depth=3
	v_cmp_ne_u16_sdwa vcc, v13, s97 src0_sel:BYTE_0 src1_sel:DWORD
	v_bfrev_b32_e32 v0, 1
	s_and_saveexec_b64 s[30:31], vcc
	s_cbranch_execz .LBB4_5145
; %bb.5140:                             ;   in Loop: Header=BB4_4927 Depth=3
	v_and_b32_e32 v0, 0x7c, v13
	v_and_b32_e32 v25, 3, v13
	v_cmp_ne_u32_e32 vcc, s95, v0
                                        ; implicit-def: $vgpr0
	s_and_saveexec_b64 s[72:73], vcc
	s_xor_b64 s[72:73], exec, s[72:73]
	s_cbranch_execz .LBB4_5142
; %bb.5141:                             ;   in Loop: Header=BB4_4927 Depth=3
	v_ffbh_u32_e32 v26, v25
	v_min_u32_e32 v32, 32, v26
	v_subrev_u32_e32 v26, 29, v32
	v_bfe_u32 v0, v13, 2, 5
	v_lshlrev_b64 v[26:27], v26, v[42:43]
	v_sub_u32_e32 v27, 30, v32
	v_cmp_eq_u32_e32 vcc, 0, v0
	v_and_b32_e32 v26, 3, v26
	v_cndmask_b32_e32 v0, v0, v27, vcc
	v_bfrev_b32_e32 v27, 28
	v_cndmask_b32_e32 v25, v25, v26, vcc
	v_lshlrev_b32_e32 v26, 24, v13
	v_lshl_add_u32 v0, v0, 23, v27
	v_and_or_b32 v0, v26, s96, v0
	v_lshl_or_b32 v0, v25, 21, v0
                                        ; implicit-def: $vgpr25
.LBB4_5142:                             ;   in Loop: Header=BB4_4927 Depth=3
	s_andn2_saveexec_b64 s[72:73], s[72:73]
; %bb.5143:                             ;   in Loop: Header=BB4_4927 Depth=3
	v_mov_b32_e32 v0, -1
	v_cmp_gt_i16_sdwa vcc, sext(v13), v0 src0_sel:BYTE_0 src1_sel:DWORD
	v_cndmask_b32_e32 v0, v6, v1, vcc
	v_cmp_eq_u32_e32 vcc, 0, v25
	v_mov_b32_e32 v25, 0x7f800001
	v_cndmask_b32_e32 v0, v25, v0, vcc
; %bb.5144:                             ;   in Loop: Header=BB4_4927 Depth=3
	s_or_b64 exec, exec, s[72:73]
.LBB4_5145:                             ;   in Loop: Header=BB4_4927 Depth=3
	s_or_b64 exec, exec, s[30:31]
.LBB4_5146:                             ;   in Loop: Header=BB4_4927 Depth=3
	s_or_b64 exec, exec, s[34:35]
	v_cmp_ne_u16_sdwa vcc, v9, v43 src0_sel:BYTE_0 src1_sel:DWORD
	s_and_saveexec_b64 s[30:31], vcc
	s_cbranch_execz .LBB4_5154
; %bb.5147:                             ;   in Loop: Header=BB4_4927 Depth=3
	v_cmp_ne_u16_sdwa vcc, v9, s97 src0_sel:BYTE_0 src1_sel:DWORD
	v_bfrev_b32_e32 v24, 1
	s_and_saveexec_b64 s[34:35], vcc
	s_cbranch_execz .LBB4_5153
; %bb.5148:                             ;   in Loop: Header=BB4_4927 Depth=3
	v_and_b32_e32 v24, 0x7c, v9
	v_and_b32_e32 v25, 3, v9
	v_cmp_ne_u32_e32 vcc, s95, v24
                                        ; implicit-def: $vgpr24
	s_and_saveexec_b64 s[72:73], vcc
	s_xor_b64 s[72:73], exec, s[72:73]
	s_cbranch_execz .LBB4_5150
; %bb.5149:                             ;   in Loop: Header=BB4_4927 Depth=3
	v_ffbh_u32_e32 v26, v25
	v_min_u32_e32 v32, 32, v26
	v_subrev_u32_e32 v26, 29, v32
	v_bfe_u32 v24, v9, 2, 5
	v_lshlrev_b64 v[26:27], v26, v[22:23]
	v_sub_u32_e32 v23, 30, v32
	v_and_b32_e32 v26, 3, v26
	v_cmp_eq_u32_e32 vcc, 0, v24
	v_cndmask_b32_e32 v23, v24, v23, vcc
	v_cndmask_b32_e32 v24, v25, v26, vcc
	v_bfrev_b32_e32 v26, 28
	v_lshlrev_b32_e32 v25, 24, v9
	v_lshl_add_u32 v23, v23, 23, v26
	v_and_or_b32 v23, v25, s96, v23
	v_lshl_or_b32 v24, v24, 21, v23
                                        ; implicit-def: $vgpr25
.LBB4_5150:                             ;   in Loop: Header=BB4_4927 Depth=3
	s_andn2_saveexec_b64 s[72:73], s[72:73]
; %bb.5151:                             ;   in Loop: Header=BB4_4927 Depth=3
	v_mov_b32_e32 v23, -1
	v_cmp_gt_i16_sdwa vcc, sext(v9), v23 src0_sel:BYTE_0 src1_sel:DWORD
	v_cndmask_b32_e32 v23, v6, v1, vcc
	v_cmp_eq_u32_e32 vcc, 0, v25
	v_mov_b32_e32 v24, 0x7f800001
	v_cndmask_b32_e32 v24, v24, v23, vcc
; %bb.5152:                             ;   in Loop: Header=BB4_4927 Depth=3
	s_or_b64 exec, exec, s[72:73]
.LBB4_5153:                             ;   in Loop: Header=BB4_4927 Depth=3
	s_or_b64 exec, exec, s[34:35]
.LBB4_5154:                             ;   in Loop: Header=BB4_4927 Depth=3
	s_or_b64 exec, exec, s[30:31]
	v_max_f32_e32 v23, v24, v24
	v_max_f32_e32 v0, v0, v0
	v_min_f32_e32 v26, v0, v23
.LBB4_5155:                             ;   in Loop: Header=BB4_4927 Depth=3
	v_and_b32_sdwa v0, v26, s97 dst_sel:DWORD dst_unused:UNUSED_PAD src0_sel:BYTE_3 src1_sel:DWORD
	v_and_b32_e32 v36, 0x7f800000, v26
	v_mov_b32_e32 v37, v43
	v_and_b32_e32 v24, 0x7fffff, v26
	v_mov_b32_e32 v25, v43
	v_or_b32_e32 v40, 0x7b, v0
	v_cmp_ne_u64_e32 vcc, s[52:53], v[36:37]
	s_and_saveexec_b64 s[30:31], vcc
	s_xor_b64 s[34:35], exec, s[30:31]
	s_cbranch_execz .LBB4_5165
; %bb.5156:                             ;   in Loop: Header=BB4_4927 Depth=3
	v_and_b32_e32 v36, 0x7fffffff, v26
	v_mov_b32_e32 v37, v43
	v_cmp_gt_u64_e32 vcc, s[54:55], v[36:37]
	s_and_saveexec_b64 s[72:73], vcc
	s_cbranch_execz .LBB4_5164
; %bb.5157:                             ;   in Loop: Header=BB4_4927 Depth=3
	v_cmp_ne_u32_e32 vcc, 0, v26
	v_mov_b32_e32 v40, 0
	s_and_saveexec_b64 s[74:75], vcc
	s_cbranch_execz .LBB4_5163
; %bb.5158:                             ;   in Loop: Header=BB4_4927 Depth=3
	v_bfe_u32 v23, v26, 23, 8
	v_cmp_eq_u32_e32 vcc, 0, v23
	v_add_u32_e32 v26, 0xffffff81, v23
	v_cmp_gt_u32_e64 s[30:31], s38, v23
	v_sub_u32_e32 v23, 0x71, v23
	v_mov_b32_e32 v32, 0xffffff82
	v_cndmask_b32_e64 v23, 0, v23, s[30:31]
	v_cndmask_b32_e32 v32, v26, v32, vcc
	v_mov_b32_e32 v26, 0x70
	v_cndmask_b32_e32 v23, v23, v26, vcc
	v_or_b32_e32 v27, 0x800000, v24
	v_add_u32_e32 v26, 21, v23
	v_cndmask_b32_e32 v24, v27, v24, vcc
	v_lshlrev_b64 v[26:27], v26, -1
	v_not_b32_e32 v27, v27
	v_not_b32_e32 v26, v26
	v_add_u32_e32 v33, 20, v23
	v_and_b32_e32 v27, 0, v27
	v_and_b32_e32 v26, v24, v26
	v_lshlrev_b64 v[36:37], v33, 1
	v_lshrrev_b64 v[24:25], v23, v[24:25]
	v_cmp_eq_u64_e32 vcc, v[26:27], v[36:37]
	v_lshrrev_b32_e32 v26, 23, v24
	v_add3_u32 v27, v23, v32, v26
	v_bfe_u32 v23, v24, 21, 1
	v_add_u32_e32 v23, -1, v23
	v_cndmask_b32_e32 v23, 0, v23, vcc
	v_add_u32_e32 v23, v23, v24
	v_and_b32_e32 v23, 0x1fffff, v23
	v_add_co_u32_e32 v24, vcc, v23, v24
	v_add_u32_e32 v26, 14, v27
	v_addc_co_u32_e32 v25, vcc, 0, v25, vcc
	v_cmp_ne_u32_e32 vcc, 0, v26
                                        ; implicit-def: $vgpr23
	s_and_saveexec_b64 s[30:31], vcc
	s_xor_b64 s[30:31], exec, s[30:31]
; %bb.5159:                             ;   in Loop: Header=BB4_4927 Depth=3
	v_add_u32_e32 v23, 15, v27
	v_cmp_lt_u64_e32 vcc, s[56:57], v[24:25]
	v_cndmask_b32_e32 v23, v26, v23, vcc
	v_cndmask_b32_e64 v26, 0, 1, vcc
	v_lshrrev_b64 v[24:25], v26, v[24:25]
; %bb.5160:                             ;   in Loop: Header=BB4_4927 Depth=3
	s_andn2_saveexec_b64 vcc, s[30:31]
; %bb.5161:                             ;   in Loop: Header=BB4_4927 Depth=3
	v_bfe_u32 v23, v24, 23, 1
; %bb.5162:                             ;   in Loop: Header=BB4_4927 Depth=3
	s_or_b64 exec, exec, vcc
	v_lshrrev_b64 v[24:25], 21, v[24:25]
	v_cmp_gt_i32_e32 vcc, 32, v23
	v_cndmask_b32_e32 v25, 0, v25, vcc
	v_cndmask_b32_e32 v24, 3, v24, vcc
	v_cmp_eq_u32_e32 vcc, 0, v23
	v_min_i32_e32 v23, 31, v23
	v_cmp_eq_u64_e64 s[30:31], 0, v[24:25]
	v_lshlrev_b32_e32 v23, 2, v23
	v_and_or_b32 v23, v24, 3, v23
	s_and_b64 vcc, vcc, s[30:31]
	v_cndmask_b32_e64 v23, v23, 0, vcc
	v_or_b32_e32 v40, v23, v0
.LBB4_5163:                             ;   in Loop: Header=BB4_4927 Depth=3
	s_or_b64 exec, exec, s[74:75]
.LBB4_5164:                             ;   in Loop: Header=BB4_4927 Depth=3
	s_or_b64 exec, exec, s[72:73]
                                        ; implicit-def: $vgpr26
                                        ; implicit-def: $vgpr24_vgpr25
.LBB4_5165:                             ;   in Loop: Header=BB4_4927 Depth=3
	s_andn2_saveexec_b64 s[30:31], s[34:35]
; %bb.5166:                             ;   in Loop: Header=BB4_4927 Depth=3
	v_or_b32_sdwa v0, v26, s39 dst_sel:DWORD dst_unused:UNUSED_PAD src0_sel:BYTE_3 src1_sel:DWORD
	v_cmp_eq_u64_e32 vcc, 0, v[24:25]
	v_cndmask_b32_e32 v40, v0, v40, vcc
; %bb.5167:                             ;   in Loop: Header=BB4_4927 Depth=3
	s_or_b64 exec, exec, s[30:31]
	v_lshrrev_b16_e32 v26, 8, v42
	v_lshrrev_b16_e32 v24, 8, v22
	v_cmp_ne_u16_e64 s[30:31], 0, v26
	s_and_b64 vcc, exec, s[70:71]
	s_cbranch_vccz .LBB4_5185
; %bb.5168:                             ;   in Loop: Header=BB4_4927 Depth=3
	v_mov_b32_e32 v23, 0
	v_mov_b32_e32 v0, 0
	s_and_saveexec_b64 s[34:35], s[30:31]
	s_cbranch_execz .LBB4_5176
; %bb.5169:                             ;   in Loop: Header=BB4_4927 Depth=3
	v_cmp_ne_u16_e32 vcc, s97, v26
	v_bfrev_b32_e32 v0, 1
	s_and_saveexec_b64 s[72:73], vcc
	s_cbranch_execz .LBB4_5175
; %bb.5170:                             ;   in Loop: Header=BB4_4927 Depth=3
	v_and_b32_e32 v0, 0x7c, v26
	v_and_b32_e32 v25, 3, v26
	v_cmp_ne_u32_e32 vcc, s95, v0
                                        ; implicit-def: $vgpr0
	s_and_saveexec_b64 s[74:75], vcc
	s_xor_b64 s[74:75], exec, s[74:75]
	s_cbranch_execz .LBB4_5172
; %bb.5171:                             ;   in Loop: Header=BB4_4927 Depth=3
	v_ffbh_u32_e32 v32, v25
	v_min_u32_e32 v32, 32, v32
	v_mov_b32_e32 v27, v43
	v_subrev_u32_e32 v33, 29, v32
	v_bfe_u32 v0, v26, 2, 5
	v_lshlrev_b64 v[36:37], v33, v[26:27]
	v_sub_u32_e32 v27, 30, v32
	v_and_b32_e32 v32, 3, v36
	v_cmp_eq_u32_e32 vcc, 0, v0
	v_cndmask_b32_e32 v0, v0, v27, vcc
	v_cndmask_b32_e32 v25, v25, v32, vcc
	v_bfrev_b32_e32 v32, 28
	v_lshlrev_b32_e32 v27, 16, v42
	v_lshl_add_u32 v0, v0, 23, v32
	v_and_or_b32 v0, v27, s96, v0
	v_lshl_or_b32 v0, v25, 21, v0
                                        ; implicit-def: $vgpr25
.LBB4_5172:                             ;   in Loop: Header=BB4_4927 Depth=3
	s_andn2_saveexec_b64 s[74:75], s[74:75]
; %bb.5173:                             ;   in Loop: Header=BB4_4927 Depth=3
	v_cmp_lt_i16_e32 vcc, -1, v42
	v_cndmask_b32_e32 v0, v6, v1, vcc
	v_cmp_eq_u32_e32 vcc, 0, v25
	v_mov_b32_e32 v25, 0x7f800001
	v_cndmask_b32_e32 v0, v25, v0, vcc
; %bb.5174:                             ;   in Loop: Header=BB4_4927 Depth=3
	s_or_b64 exec, exec, s[74:75]
.LBB4_5175:                             ;   in Loop: Header=BB4_4927 Depth=3
	s_or_b64 exec, exec, s[72:73]
.LBB4_5176:                             ;   in Loop: Header=BB4_4927 Depth=3
	s_or_b64 exec, exec, s[34:35]
	v_cmp_ne_u16_e32 vcc, 0, v24
	s_and_saveexec_b64 s[34:35], vcc
	s_cbranch_execz .LBB4_5184
; %bb.5177:                             ;   in Loop: Header=BB4_4927 Depth=3
	v_cmp_ne_u16_e32 vcc, s97, v24
	v_bfrev_b32_e32 v23, 1
	s_and_saveexec_b64 s[72:73], vcc
	s_cbranch_execz .LBB4_5183
; %bb.5178:                             ;   in Loop: Header=BB4_4927 Depth=3
	v_and_b32_e32 v23, 0x7c, v24
	v_and_b32_e32 v27, 3, v24
	v_cmp_ne_u32_e32 vcc, s95, v23
                                        ; implicit-def: $vgpr23
	s_and_saveexec_b64 s[74:75], vcc
	s_xor_b64 s[74:75], exec, s[74:75]
	s_cbranch_execz .LBB4_5180
; %bb.5179:                             ;   in Loop: Header=BB4_4927 Depth=3
	v_ffbh_u32_e32 v32, v27
	v_min_u32_e32 v32, 32, v32
	v_mov_b32_e32 v25, v43
	v_subrev_u32_e32 v33, 29, v32
	v_bfe_u32 v23, v24, 2, 5
	v_lshlrev_b64 v[36:37], v33, v[24:25]
	v_sub_u32_e32 v25, 30, v32
	v_and_b32_e32 v32, 3, v36
	v_cmp_eq_u32_e32 vcc, 0, v23
	v_cndmask_b32_e32 v23, v23, v25, vcc
	v_cndmask_b32_e32 v25, v27, v32, vcc
	v_bfrev_b32_e32 v32, 28
	v_lshlrev_b32_e32 v27, 16, v22
	v_lshl_add_u32 v23, v23, 23, v32
	v_and_or_b32 v23, v27, s96, v23
	v_lshl_or_b32 v23, v25, 21, v23
                                        ; implicit-def: $vgpr27
.LBB4_5180:                             ;   in Loop: Header=BB4_4927 Depth=3
	s_andn2_saveexec_b64 s[74:75], s[74:75]
; %bb.5181:                             ;   in Loop: Header=BB4_4927 Depth=3
	v_cmp_lt_i16_e32 vcc, -1, v22
	v_cndmask_b32_e32 v23, v6, v1, vcc
	v_cmp_eq_u32_e32 vcc, 0, v27
	v_mov_b32_e32 v25, 0x7f800001
	v_cndmask_b32_e32 v23, v25, v23, vcc
; %bb.5182:                             ;   in Loop: Header=BB4_4927 Depth=3
	s_or_b64 exec, exec, s[74:75]
.LBB4_5183:                             ;   in Loop: Header=BB4_4927 Depth=3
	s_or_b64 exec, exec, s[72:73]
.LBB4_5184:                             ;   in Loop: Header=BB4_4927 Depth=3
	s_or_b64 exec, exec, s[34:35]
	v_max_f32_e32 v23, v23, v23
	v_max_f32_e32 v0, v0, v0
	;; [unrolled: 1-line block ×3, first 2 shown]
	s_branch .LBB4_5203
.LBB4_5185:                             ;   in Loop: Header=BB4_4927 Depth=3
                                        ; implicit-def: $vgpr23
	s_cbranch_execz .LBB4_5203
; %bb.5186:                             ;   in Loop: Header=BB4_4927 Depth=3
	v_mov_b32_e32 v25, 0
	v_mov_b32_e32 v0, 0
	s_and_saveexec_b64 s[34:35], s[30:31]
	s_cbranch_execz .LBB4_5194
; %bb.5187:                             ;   in Loop: Header=BB4_4927 Depth=3
	v_cmp_ne_u16_e32 vcc, s97, v26
	v_bfrev_b32_e32 v0, 1
	s_and_saveexec_b64 s[30:31], vcc
	s_cbranch_execz .LBB4_5193
; %bb.5188:                             ;   in Loop: Header=BB4_4927 Depth=3
	v_and_b32_e32 v0, 0x7c, v26
	v_and_b32_e32 v23, 3, v26
	v_cmp_ne_u32_e32 vcc, s95, v0
                                        ; implicit-def: $vgpr0
	s_and_saveexec_b64 s[72:73], vcc
	s_xor_b64 s[72:73], exec, s[72:73]
	s_cbranch_execz .LBB4_5190
; %bb.5189:                             ;   in Loop: Header=BB4_4927 Depth=3
	v_ffbh_u32_e32 v32, v23
	v_min_u32_e32 v32, 32, v32
	v_mov_b32_e32 v27, v43
	v_subrev_u32_e32 v33, 29, v32
	v_bfe_u32 v0, v26, 2, 5
	v_lshlrev_b64 v[26:27], v33, v[26:27]
	v_sub_u32_e32 v27, 30, v32
	v_cmp_eq_u32_e32 vcc, 0, v0
	v_and_b32_e32 v26, 3, v26
	v_cndmask_b32_e32 v0, v0, v27, vcc
	v_bfrev_b32_e32 v27, 28
	v_cndmask_b32_e32 v23, v23, v26, vcc
	v_lshlrev_b32_e32 v26, 16, v42
	v_lshl_add_u32 v0, v0, 23, v27
	v_and_or_b32 v0, v26, s96, v0
	v_lshl_or_b32 v0, v23, 21, v0
                                        ; implicit-def: $vgpr23
.LBB4_5190:                             ;   in Loop: Header=BB4_4927 Depth=3
	s_andn2_saveexec_b64 s[72:73], s[72:73]
; %bb.5191:                             ;   in Loop: Header=BB4_4927 Depth=3
	v_cmp_lt_i16_e32 vcc, -1, v42
	v_cndmask_b32_e32 v0, v6, v1, vcc
	v_cmp_eq_u32_e32 vcc, 0, v23
	v_mov_b32_e32 v23, 0x7f800001
	v_cndmask_b32_e32 v0, v23, v0, vcc
; %bb.5192:                             ;   in Loop: Header=BB4_4927 Depth=3
	s_or_b64 exec, exec, s[72:73]
.LBB4_5193:                             ;   in Loop: Header=BB4_4927 Depth=3
	s_or_b64 exec, exec, s[30:31]
.LBB4_5194:                             ;   in Loop: Header=BB4_4927 Depth=3
	s_or_b64 exec, exec, s[34:35]
	v_cmp_ne_u16_e32 vcc, 0, v24
	s_and_saveexec_b64 s[30:31], vcc
	s_cbranch_execz .LBB4_5202
; %bb.5195:                             ;   in Loop: Header=BB4_4927 Depth=3
	v_cmp_ne_u16_e32 vcc, s97, v24
	v_bfrev_b32_e32 v25, 1
	s_and_saveexec_b64 s[34:35], vcc
	s_cbranch_execz .LBB4_5201
; %bb.5196:                             ;   in Loop: Header=BB4_4927 Depth=3
	v_and_b32_e32 v23, 0x7c, v24
	v_and_b32_e32 v26, 3, v24
	v_cmp_ne_u32_e32 vcc, s95, v23
                                        ; implicit-def: $vgpr25
	s_and_saveexec_b64 s[72:73], vcc
	s_xor_b64 s[72:73], exec, s[72:73]
	s_cbranch_execz .LBB4_5198
; %bb.5197:                             ;   in Loop: Header=BB4_4927 Depth=3
	v_ffbh_u32_e32 v27, v26
	v_min_u32_e32 v27, 32, v27
	v_mov_b32_e32 v25, v43
	v_subrev_u32_e32 v32, 29, v27
	v_bfe_u32 v23, v24, 2, 5
	v_lshlrev_b64 v[24:25], v32, v[24:25]
	v_sub_u32_e32 v25, 30, v27
	v_cmp_eq_u32_e32 vcc, 0, v23
	v_cndmask_b32_e32 v23, v23, v25, vcc
	v_bfrev_b32_e32 v25, 28
	v_and_b32_e32 v24, 3, v24
	v_lshlrev_b32_e32 v22, 16, v22
	v_lshl_add_u32 v23, v23, 23, v25
	v_cndmask_b32_e32 v24, v26, v24, vcc
	v_and_or_b32 v22, v22, s96, v23
	v_lshl_or_b32 v25, v24, 21, v22
                                        ; implicit-def: $vgpr26
                                        ; implicit-def: $vgpr22_vgpr23
.LBB4_5198:                             ;   in Loop: Header=BB4_4927 Depth=3
	s_andn2_saveexec_b64 s[72:73], s[72:73]
; %bb.5199:                             ;   in Loop: Header=BB4_4927 Depth=3
	v_cmp_lt_i16_e32 vcc, -1, v22
	v_cndmask_b32_e32 v22, v6, v1, vcc
	v_cmp_eq_u32_e32 vcc, 0, v26
	v_mov_b32_e32 v23, 0x7f800001
	v_cndmask_b32_e32 v25, v23, v22, vcc
; %bb.5200:                             ;   in Loop: Header=BB4_4927 Depth=3
	s_or_b64 exec, exec, s[72:73]
.LBB4_5201:                             ;   in Loop: Header=BB4_4927 Depth=3
	s_or_b64 exec, exec, s[34:35]
.LBB4_5202:                             ;   in Loop: Header=BB4_4927 Depth=3
	s_or_b64 exec, exec, s[30:31]
	v_max_f32_e32 v22, v25, v25
	v_max_f32_e32 v0, v0, v0
	v_min_f32_e32 v23, v0, v22
.LBB4_5203:                             ;   in Loop: Header=BB4_4927 Depth=3
	v_and_b32_sdwa v24, v23, s97 dst_sel:DWORD dst_unused:UNUSED_PAD src0_sel:BYTE_3 src1_sel:DWORD
	v_and_b32_e32 v26, 0x7f800000, v23
	v_mov_b32_e32 v27, v43
	v_and_b32_e32 v42, 0x7fffff, v23
	v_or_b32_e32 v0, 0x7b, v24
	v_cmp_ne_u64_e32 vcc, s[52:53], v[26:27]
	s_and_saveexec_b64 s[30:31], vcc
	s_xor_b64 s[34:35], exec, s[30:31]
	s_cbranch_execz .LBB4_5213
; %bb.5204:                             ;   in Loop: Header=BB4_4927 Depth=3
	v_and_b32_e32 v26, 0x7fffffff, v23
	v_mov_b32_e32 v27, v43
	v_cmp_gt_u64_e32 vcc, s[54:55], v[26:27]
	s_and_saveexec_b64 s[72:73], vcc
	s_cbranch_execz .LBB4_5212
; %bb.5205:                             ;   in Loop: Header=BB4_4927 Depth=3
	v_cmp_ne_u32_e32 vcc, 0, v23
	v_mov_b32_e32 v0, 0
	s_and_saveexec_b64 s[74:75], vcc
	s_cbranch_execz .LBB4_5211
; %bb.5206:                             ;   in Loop: Header=BB4_4927 Depth=3
	v_bfe_u32 v0, v23, 23, 8
	v_cmp_eq_u32_e32 vcc, 0, v0
	v_add_u32_e32 v22, 0xffffff81, v0
	v_cmp_gt_u32_e64 s[30:31], s38, v0
	v_sub_u32_e32 v0, 0x71, v0
	v_mov_b32_e32 v25, 0xffffff82
	v_cndmask_b32_e64 v0, 0, v0, s[30:31]
	v_cndmask_b32_e32 v25, v22, v25, vcc
	v_mov_b32_e32 v22, 0x70
	v_cndmask_b32_e32 v0, v0, v22, vcc
	v_or_b32_e32 v23, 0x800000, v42
	v_add_u32_e32 v22, 21, v0
	v_cndmask_b32_e32 v42, v23, v42, vcc
	v_lshlrev_b64 v[22:23], v22, -1
	v_not_b32_e32 v23, v23
	v_not_b32_e32 v22, v22
	v_add_u32_e32 v26, 20, v0
	v_and_b32_e32 v23, 0, v23
	v_and_b32_e32 v22, v42, v22
	v_lshlrev_b64 v[26:27], v26, 1
	v_cmp_eq_u64_e32 vcc, v[22:23], v[26:27]
	v_lshrrev_b64 v[22:23], v0, v[42:43]
	v_lshrrev_b32_e32 v26, 23, v22
	v_add3_u32 v26, v0, v25, v26
	v_bfe_u32 v0, v22, 21, 1
	v_add_u32_e32 v0, -1, v0
	v_cndmask_b32_e32 v0, 0, v0, vcc
	v_add_u32_e32 v0, v0, v22
	v_and_b32_e32 v0, 0x1fffff, v0
	v_add_co_u32_e32 v22, vcc, v0, v22
	v_add_u32_e32 v25, 14, v26
	v_addc_co_u32_e32 v23, vcc, 0, v23, vcc
	v_cmp_ne_u32_e32 vcc, 0, v25
                                        ; implicit-def: $vgpr0
	s_and_saveexec_b64 s[30:31], vcc
	s_xor_b64 s[30:31], exec, s[30:31]
; %bb.5207:                             ;   in Loop: Header=BB4_4927 Depth=3
	v_add_u32_e32 v0, 15, v26
	v_cmp_lt_u64_e32 vcc, s[56:57], v[22:23]
	v_cndmask_b32_e32 v0, v25, v0, vcc
	v_cndmask_b32_e64 v25, 0, 1, vcc
	v_lshrrev_b64 v[22:23], v25, v[22:23]
; %bb.5208:                             ;   in Loop: Header=BB4_4927 Depth=3
	s_andn2_saveexec_b64 vcc, s[30:31]
; %bb.5209:                             ;   in Loop: Header=BB4_4927 Depth=3
	v_bfe_u32 v0, v22, 23, 1
; %bb.5210:                             ;   in Loop: Header=BB4_4927 Depth=3
	s_or_b64 exec, exec, vcc
	v_lshrrev_b64 v[22:23], 21, v[22:23]
	v_cmp_gt_i32_e32 vcc, 32, v0
	v_cndmask_b32_e32 v23, 0, v23, vcc
	v_cndmask_b32_e32 v22, 3, v22, vcc
	v_cmp_eq_u32_e32 vcc, 0, v0
	v_min_i32_e32 v0, 31, v0
	v_cmp_eq_u64_e64 s[30:31], 0, v[22:23]
	v_lshlrev_b32_e32 v0, 2, v0
	v_and_or_b32 v0, v22, 3, v0
	s_and_b64 vcc, vcc, s[30:31]
	v_cndmask_b32_e64 v0, v0, 0, vcc
	v_or_b32_e32 v0, v0, v24
.LBB4_5211:                             ;   in Loop: Header=BB4_4927 Depth=3
	s_or_b64 exec, exec, s[74:75]
.LBB4_5212:                             ;   in Loop: Header=BB4_4927 Depth=3
	s_or_b64 exec, exec, s[72:73]
                                        ; implicit-def: $vgpr23
.LBB4_5213:                             ;   in Loop: Header=BB4_4927 Depth=3
	s_andn2_saveexec_b64 s[30:31], s[34:35]
; %bb.5214:                             ;   in Loop: Header=BB4_4927 Depth=3
	v_or_b32_sdwa v22, v23, s39 dst_sel:DWORD dst_unused:UNUSED_PAD src0_sel:BYTE_3 src1_sel:DWORD
	v_cmp_eq_u64_e32 vcc, 0, v[42:43]
	v_cndmask_b32_e32 v0, v22, v0, vcc
; %bb.5215:                             ;   in Loop: Header=BB4_4927 Depth=3
	s_or_b64 exec, exec, s[30:31]
	v_lshrrev_b32_e32 v24, 16, v13
	v_lshrrev_b32_e32 v22, 16, v9
	v_cmp_ne_u16_sdwa s[30:31], v24, v43 src0_sel:BYTE_0 src1_sel:DWORD
	s_and_b64 vcc, exec, s[70:71]
	s_cbranch_vccz .LBB4_5233
; %bb.5216:                             ;   in Loop: Header=BB4_4927 Depth=3
	v_mov_b32_e32 v25, 0
	v_mov_b32_e32 v23, 0
	s_and_saveexec_b64 s[34:35], s[30:31]
	s_cbranch_execz .LBB4_5224
; %bb.5217:                             ;   in Loop: Header=BB4_4927 Depth=3
	v_cmp_ne_u16_sdwa vcc, v24, s97 src0_sel:BYTE_0 src1_sel:DWORD
	v_bfrev_b32_e32 v23, 1
	s_and_saveexec_b64 s[72:73], vcc
	s_cbranch_execz .LBB4_5223
; %bb.5218:                             ;   in Loop: Header=BB4_4927 Depth=3
	v_and_b32_e32 v23, 0x7c0000, v13
	v_bfe_u32 v26, v13, 16, 2
	v_cmp_ne_u32_e32 vcc, s36, v23
                                        ; implicit-def: $vgpr23
	s_and_saveexec_b64 s[74:75], vcc
	s_xor_b64 s[74:75], exec, s[74:75]
	s_cbranch_execz .LBB4_5220
; %bb.5219:                             ;   in Loop: Header=BB4_4927 Depth=3
	v_ffbh_u32_e32 v27, v26
	v_min_u32_e32 v27, 32, v27
	v_subrev_u32_e32 v32, 29, v27
	v_bfe_u32 v23, v13, 18, 5
	v_lshlrev_b64 v[36:37], v32, v[24:25]
	v_sub_u32_e32 v27, 30, v27
	v_and_b32_e32 v32, 3, v36
	v_cmp_eq_u32_e32 vcc, 0, v23
	v_cndmask_b32_e32 v23, v23, v27, vcc
	v_cndmask_b32_e32 v26, v26, v32, vcc
	v_bfrev_b32_e32 v32, 28
	v_lshlrev_b32_e32 v27, 24, v24
	v_lshl_add_u32 v23, v23, 23, v32
	v_and_or_b32 v23, v27, s96, v23
	v_lshl_or_b32 v23, v26, 21, v23
                                        ; implicit-def: $vgpr26
.LBB4_5220:                             ;   in Loop: Header=BB4_4927 Depth=3
	s_andn2_saveexec_b64 s[74:75], s[74:75]
; %bb.5221:                             ;   in Loop: Header=BB4_4927 Depth=3
	v_mov_b32_e32 v23, -1
	v_cmp_gt_i16_sdwa vcc, sext(v24), v23 src0_sel:BYTE_0 src1_sel:DWORD
	v_cndmask_b32_e32 v23, v6, v1, vcc
	v_cmp_eq_u32_e32 vcc, 0, v26
	v_mov_b32_e32 v26, 0x7f800001
	v_cndmask_b32_e32 v23, v26, v23, vcc
; %bb.5222:                             ;   in Loop: Header=BB4_4927 Depth=3
	s_or_b64 exec, exec, s[74:75]
.LBB4_5223:                             ;   in Loop: Header=BB4_4927 Depth=3
	s_or_b64 exec, exec, s[72:73]
.LBB4_5224:                             ;   in Loop: Header=BB4_4927 Depth=3
	s_or_b64 exec, exec, s[34:35]
	v_cmp_ne_u16_sdwa vcc, v22, v43 src0_sel:BYTE_0 src1_sel:DWORD
	s_and_saveexec_b64 s[34:35], vcc
	s_cbranch_execz .LBB4_5232
; %bb.5225:                             ;   in Loop: Header=BB4_4927 Depth=3
	v_cmp_ne_u16_sdwa vcc, v22, s97 src0_sel:BYTE_0 src1_sel:DWORD
	v_bfrev_b32_e32 v25, 1
	s_and_saveexec_b64 s[72:73], vcc
	s_cbranch_execz .LBB4_5231
; %bb.5226:                             ;   in Loop: Header=BB4_4927 Depth=3
	v_and_b32_e32 v25, 0x7c0000, v9
	v_bfe_u32 v26, v9, 16, 2
	v_cmp_ne_u32_e32 vcc, s36, v25
                                        ; implicit-def: $vgpr25
	s_and_saveexec_b64 s[74:75], vcc
	s_xor_b64 s[74:75], exec, s[74:75]
	s_cbranch_execz .LBB4_5228
; %bb.5227:                             ;   in Loop: Header=BB4_4927 Depth=3
	v_ffbh_u32_e32 v27, v26
	v_min_u32_e32 v27, 32, v27
	v_subrev_u32_e32 v32, 29, v27
	v_bfe_u32 v25, v9, 18, 5
	v_lshlrev_b64 v[36:37], v32, v[22:23]
	v_sub_u32_e32 v27, 30, v27
	v_and_b32_e32 v32, 3, v36
	v_cmp_eq_u32_e32 vcc, 0, v25
	v_cndmask_b32_e32 v25, v25, v27, vcc
	v_cndmask_b32_e32 v26, v26, v32, vcc
	v_bfrev_b32_e32 v32, 28
	v_lshlrev_b32_e32 v27, 24, v22
	v_lshl_add_u32 v25, v25, 23, v32
	v_and_or_b32 v25, v27, s96, v25
	v_lshl_or_b32 v25, v26, 21, v25
                                        ; implicit-def: $vgpr26
.LBB4_5228:                             ;   in Loop: Header=BB4_4927 Depth=3
	s_andn2_saveexec_b64 s[74:75], s[74:75]
; %bb.5229:                             ;   in Loop: Header=BB4_4927 Depth=3
	v_mov_b32_e32 v25, -1
	v_cmp_gt_i16_sdwa vcc, sext(v22), v25 src0_sel:BYTE_0 src1_sel:DWORD
	v_cndmask_b32_e32 v25, v6, v1, vcc
	v_cmp_eq_u32_e32 vcc, 0, v26
	v_mov_b32_e32 v26, 0x7f800001
	v_cndmask_b32_e32 v25, v26, v25, vcc
; %bb.5230:                             ;   in Loop: Header=BB4_4927 Depth=3
	s_or_b64 exec, exec, s[74:75]
.LBB4_5231:                             ;   in Loop: Header=BB4_4927 Depth=3
	s_or_b64 exec, exec, s[72:73]
.LBB4_5232:                             ;   in Loop: Header=BB4_4927 Depth=3
	s_or_b64 exec, exec, s[34:35]
	v_max_f32_e32 v25, v25, v25
	v_max_f32_e32 v23, v23, v23
	;; [unrolled: 1-line block ×3, first 2 shown]
	s_branch .LBB4_5251
.LBB4_5233:                             ;   in Loop: Header=BB4_4927 Depth=3
                                        ; implicit-def: $vgpr23
	s_cbranch_execz .LBB4_5251
; %bb.5234:                             ;   in Loop: Header=BB4_4927 Depth=3
	v_mov_b32_e32 v25, 0
	v_mov_b32_e32 v23, 0
	s_and_saveexec_b64 s[34:35], s[30:31]
	s_cbranch_execz .LBB4_5242
; %bb.5235:                             ;   in Loop: Header=BB4_4927 Depth=3
	v_cmp_ne_u16_sdwa vcc, v24, s97 src0_sel:BYTE_0 src1_sel:DWORD
	v_bfrev_b32_e32 v23, 1
	s_and_saveexec_b64 s[30:31], vcc
	s_cbranch_execz .LBB4_5241
; %bb.5236:                             ;   in Loop: Header=BB4_4927 Depth=3
	v_and_b32_e32 v23, 0x7c0000, v13
	v_bfe_u32 v26, v13, 16, 2
	v_cmp_ne_u32_e32 vcc, s36, v23
                                        ; implicit-def: $vgpr23
	s_and_saveexec_b64 s[72:73], vcc
	s_xor_b64 s[72:73], exec, s[72:73]
	s_cbranch_execz .LBB4_5238
; %bb.5237:                             ;   in Loop: Header=BB4_4927 Depth=3
	v_ffbh_u32_e32 v27, v26
	v_bfe_u32 v23, v13, 18, 5
	v_min_u32_e32 v27, 32, v27
	v_subrev_u32_e32 v32, 29, v27
	v_sub_u32_e32 v27, 30, v27
	v_cmp_eq_u32_e32 vcc, 0, v23
	v_lshlrev_b64 v[36:37], v32, v[24:25]
	v_cndmask_b32_e32 v23, v23, v27, vcc
	v_bfrev_b32_e32 v27, 28
	v_and_b32_e32 v32, 3, v36
	v_lshlrev_b32_e32 v24, 24, v24
	v_lshl_add_u32 v23, v23, 23, v27
	v_cndmask_b32_e32 v26, v26, v32, vcc
	v_and_or_b32 v23, v24, s96, v23
	v_lshl_or_b32 v23, v26, 21, v23
                                        ; implicit-def: $vgpr26
                                        ; implicit-def: $vgpr24
.LBB4_5238:                             ;   in Loop: Header=BB4_4927 Depth=3
	s_andn2_saveexec_b64 s[72:73], s[72:73]
; %bb.5239:                             ;   in Loop: Header=BB4_4927 Depth=3
	v_mov_b32_e32 v23, -1
	v_cmp_gt_i16_sdwa vcc, sext(v24), v23 src0_sel:BYTE_0 src1_sel:DWORD
	v_cndmask_b32_e32 v23, v6, v1, vcc
	v_cmp_eq_u32_e32 vcc, 0, v26
	v_mov_b32_e32 v24, 0x7f800001
	v_cndmask_b32_e32 v23, v24, v23, vcc
; %bb.5240:                             ;   in Loop: Header=BB4_4927 Depth=3
	s_or_b64 exec, exec, s[72:73]
.LBB4_5241:                             ;   in Loop: Header=BB4_4927 Depth=3
	s_or_b64 exec, exec, s[30:31]
.LBB4_5242:                             ;   in Loop: Header=BB4_4927 Depth=3
	s_or_b64 exec, exec, s[34:35]
	v_cmp_ne_u16_sdwa vcc, v22, v43 src0_sel:BYTE_0 src1_sel:DWORD
	s_and_saveexec_b64 s[30:31], vcc
	s_cbranch_execz .LBB4_5250
; %bb.5243:                             ;   in Loop: Header=BB4_4927 Depth=3
	v_cmp_ne_u16_sdwa vcc, v22, s97 src0_sel:BYTE_0 src1_sel:DWORD
	v_bfrev_b32_e32 v25, 1
	s_and_saveexec_b64 s[34:35], vcc
	s_cbranch_execz .LBB4_5249
; %bb.5244:                             ;   in Loop: Header=BB4_4927 Depth=3
	v_and_b32_e32 v25, 0x7c0000, v9
	v_bfe_u32 v24, v9, 16, 2
	v_cmp_ne_u32_e32 vcc, s36, v25
                                        ; implicit-def: $vgpr25
	s_and_saveexec_b64 s[72:73], vcc
	s_xor_b64 s[72:73], exec, s[72:73]
	s_cbranch_execz .LBB4_5246
; %bb.5245:                             ;   in Loop: Header=BB4_4927 Depth=3
	v_ffbh_u32_e32 v26, v24
	v_min_u32_e32 v32, 32, v26
	v_subrev_u32_e32 v26, 29, v32
	v_bfe_u32 v25, v9, 18, 5
	v_lshlrev_b64 v[26:27], v26, v[22:23]
	v_sub_u32_e32 v27, 30, v32
	v_and_b32_e32 v26, 3, v26
	v_cmp_eq_u32_e32 vcc, 0, v25
	v_cndmask_b32_e32 v25, v25, v27, vcc
	v_cndmask_b32_e32 v24, v24, v26, vcc
	v_bfrev_b32_e32 v26, 28
	v_lshlrev_b32_e32 v22, 24, v22
	v_lshl_add_u32 v25, v25, 23, v26
	v_and_or_b32 v22, v22, s96, v25
	v_lshl_or_b32 v25, v24, 21, v22
                                        ; implicit-def: $vgpr24
                                        ; implicit-def: $vgpr22
.LBB4_5246:                             ;   in Loop: Header=BB4_4927 Depth=3
	s_andn2_saveexec_b64 s[72:73], s[72:73]
; %bb.5247:                             ;   in Loop: Header=BB4_4927 Depth=3
	v_mov_b32_e32 v25, -1
	v_cmp_gt_i16_sdwa vcc, sext(v22), v25 src0_sel:BYTE_0 src1_sel:DWORD
	v_cndmask_b32_e32 v22, v6, v1, vcc
	v_cmp_eq_u32_e32 vcc, 0, v24
	v_mov_b32_e32 v24, 0x7f800001
	v_cndmask_b32_e32 v25, v24, v22, vcc
; %bb.5248:                             ;   in Loop: Header=BB4_4927 Depth=3
	s_or_b64 exec, exec, s[72:73]
.LBB4_5249:                             ;   in Loop: Header=BB4_4927 Depth=3
	s_or_b64 exec, exec, s[34:35]
.LBB4_5250:                             ;   in Loop: Header=BB4_4927 Depth=3
	s_or_b64 exec, exec, s[30:31]
	v_max_f32_e32 v22, v25, v25
	v_max_f32_e32 v23, v23, v23
	v_min_f32_e32 v23, v23, v22
.LBB4_5251:                             ;   in Loop: Header=BB4_4927 Depth=3
	v_and_b32_sdwa v24, v23, s97 dst_sel:DWORD dst_unused:UNUSED_PAD src0_sel:BYTE_3 src1_sel:DWORD
	v_and_b32_e32 v26, 0x7f800000, v23
	v_mov_b32_e32 v27, v43
	v_and_b32_e32 v42, 0x7fffff, v23
	v_or_b32_e32 v25, 0x7b, v24
	v_cmp_ne_u64_e32 vcc, s[52:53], v[26:27]
	s_and_saveexec_b64 s[30:31], vcc
	s_xor_b64 s[34:35], exec, s[30:31]
	s_cbranch_execz .LBB4_5261
; %bb.5252:                             ;   in Loop: Header=BB4_4927 Depth=3
	v_and_b32_e32 v26, 0x7fffffff, v23
	v_mov_b32_e32 v27, v43
	v_cmp_gt_u64_e32 vcc, s[54:55], v[26:27]
	s_and_saveexec_b64 s[72:73], vcc
	s_cbranch_execz .LBB4_5260
; %bb.5253:                             ;   in Loop: Header=BB4_4927 Depth=3
	v_cmp_ne_u32_e32 vcc, 0, v23
	v_mov_b32_e32 v25, 0
	s_and_saveexec_b64 s[74:75], vcc
	s_cbranch_execz .LBB4_5259
; %bb.5254:                             ;   in Loop: Header=BB4_4927 Depth=3
	v_bfe_u32 v22, v23, 23, 8
	v_cmp_eq_u32_e32 vcc, 0, v22
	v_add_u32_e32 v23, 0xffffff81, v22
	v_cmp_gt_u32_e64 s[30:31], s38, v22
	v_sub_u32_e32 v22, 0x71, v22
	v_mov_b32_e32 v26, 0xffffff82
	v_cndmask_b32_e64 v22, 0, v22, s[30:31]
	v_cndmask_b32_e32 v32, v23, v26, vcc
	v_mov_b32_e32 v23, 0x70
	v_cndmask_b32_e32 v33, v22, v23, vcc
	v_add_u32_e32 v22, 21, v33
	v_or_b32_e32 v25, 0x800000, v42
	v_lshlrev_b64 v[22:23], v22, -1
	v_cndmask_b32_e32 v42, v25, v42, vcc
	v_not_b32_e32 v23, v23
	v_not_b32_e32 v22, v22
	v_add_u32_e32 v25, 20, v33
	v_and_b32_e32 v23, 0, v23
	v_and_b32_e32 v22, v42, v22
	v_lshlrev_b64 v[26:27], v25, 1
	v_cmp_eq_u64_e32 vcc, v[22:23], v[26:27]
	v_lshrrev_b64 v[22:23], v33, v[42:43]
	v_lshrrev_b32_e32 v25, 23, v22
	v_add3_u32 v27, v33, v32, v25
	v_bfe_u32 v25, v22, 21, 1
	v_add_u32_e32 v25, -1, v25
	v_cndmask_b32_e32 v25, 0, v25, vcc
	v_add_u32_e32 v25, v25, v22
	v_and_b32_e32 v25, 0x1fffff, v25
	v_add_co_u32_e32 v22, vcc, v25, v22
	v_add_u32_e32 v26, 14, v27
	v_addc_co_u32_e32 v23, vcc, 0, v23, vcc
	v_cmp_ne_u32_e32 vcc, 0, v26
                                        ; implicit-def: $vgpr25
	s_and_saveexec_b64 s[30:31], vcc
	s_xor_b64 s[30:31], exec, s[30:31]
; %bb.5255:                             ;   in Loop: Header=BB4_4927 Depth=3
	v_add_u32_e32 v25, 15, v27
	v_cmp_lt_u64_e32 vcc, s[56:57], v[22:23]
	v_cndmask_b32_e32 v25, v26, v25, vcc
	v_cndmask_b32_e64 v26, 0, 1, vcc
	v_lshrrev_b64 v[22:23], v26, v[22:23]
; %bb.5256:                             ;   in Loop: Header=BB4_4927 Depth=3
	s_andn2_saveexec_b64 vcc, s[30:31]
; %bb.5257:                             ;   in Loop: Header=BB4_4927 Depth=3
	v_bfe_u32 v25, v22, 23, 1
; %bb.5258:                             ;   in Loop: Header=BB4_4927 Depth=3
	s_or_b64 exec, exec, vcc
	v_lshrrev_b64 v[22:23], 21, v[22:23]
	v_cmp_gt_i32_e32 vcc, 32, v25
	v_cndmask_b32_e32 v23, 0, v23, vcc
	v_cndmask_b32_e32 v22, 3, v22, vcc
	v_cmp_eq_u64_e64 s[30:31], 0, v[22:23]
	v_min_i32_e32 v23, 31, v25
	v_cmp_eq_u32_e32 vcc, 0, v25
	v_lshlrev_b32_e32 v23, 2, v23
	v_and_or_b32 v22, v22, 3, v23
	s_and_b64 vcc, vcc, s[30:31]
	v_cndmask_b32_e64 v22, v22, 0, vcc
	v_or_b32_e32 v25, v22, v24
.LBB4_5259:                             ;   in Loop: Header=BB4_4927 Depth=3
	s_or_b64 exec, exec, s[74:75]
.LBB4_5260:                             ;   in Loop: Header=BB4_4927 Depth=3
	s_or_b64 exec, exec, s[72:73]
                                        ; implicit-def: $vgpr23
.LBB4_5261:                             ;   in Loop: Header=BB4_4927 Depth=3
	s_andn2_saveexec_b64 s[30:31], s[34:35]
; %bb.5262:                             ;   in Loop: Header=BB4_4927 Depth=3
	v_or_b32_sdwa v22, v23, s39 dst_sel:DWORD dst_unused:UNUSED_PAD src0_sel:BYTE_3 src1_sel:DWORD
	v_cmp_eq_u64_e32 vcc, 0, v[42:43]
	v_cndmask_b32_e32 v25, v22, v25, vcc
; %bb.5263:                             ;   in Loop: Header=BB4_4927 Depth=3
	s_or_b64 exec, exec, s[30:31]
	v_lshrrev_b32_e32 v24, 24, v13
	v_lshrrev_b32_e32 v22, 24, v9
	v_cmp_lt_u64_e64 s[30:31], s[42:43], v[12:13]
	s_and_b64 vcc, exec, s[70:71]
	s_cbranch_vccz .LBB4_5281
; %bb.5264:                             ;   in Loop: Header=BB4_4927 Depth=3
	v_mov_b32_e32 v26, 0
	v_mov_b32_e32 v23, 0
	s_and_saveexec_b64 s[34:35], s[30:31]
	s_cbranch_execz .LBB4_5272
; %bb.5265:                             ;   in Loop: Header=BB4_4927 Depth=3
	v_cmp_ne_u32_e32 vcc, s97, v24
	v_bfrev_b32_e32 v23, 1
	s_and_saveexec_b64 s[72:73], vcc
	s_cbranch_execz .LBB4_5271
; %bb.5266:                             ;   in Loop: Header=BB4_4927 Depth=3
	v_and_b32_e32 v23, 0x7c000000, v13
	v_bfe_u32 v27, v13, 24, 2
	v_cmp_ne_u32_e32 vcc, s37, v23
                                        ; implicit-def: $vgpr23
	s_and_saveexec_b64 s[74:75], vcc
	s_xor_b64 s[74:75], exec, s[74:75]
	s_cbranch_execz .LBB4_5268
; %bb.5267:                             ;   in Loop: Header=BB4_4927 Depth=3
	v_ffbh_u32_e32 v32, v27
	v_bfe_u32 v23, v13, 26, 5
	v_min_u32_e32 v32, 32, v32
	v_subrev_u32_e32 v33, 29, v32
	v_sub_u32_e32 v32, 30, v32
	v_cmp_eq_u32_e32 vcc, 0, v23
	v_lshlrev_b64 v[36:37], v33, v[24:25]
	v_cndmask_b32_e32 v23, v23, v32, vcc
	v_bfrev_b32_e32 v32, 28
	v_and_b32_e32 v33, 3, v36
	v_lshl_add_u32 v23, v23, 23, v32
	v_cndmask_b32_e32 v27, v27, v33, vcc
	v_and_or_b32 v23, v13, s96, v23
	v_lshl_or_b32 v23, v27, 21, v23
                                        ; implicit-def: $vgpr27
.LBB4_5268:                             ;   in Loop: Header=BB4_4927 Depth=3
	s_andn2_saveexec_b64 s[74:75], s[74:75]
; %bb.5269:                             ;   in Loop: Header=BB4_4927 Depth=3
	v_cmp_lt_i64_e32 vcc, -1, v[12:13]
	v_cndmask_b32_e32 v23, v6, v1, vcc
	v_cmp_eq_u32_e32 vcc, 0, v27
	v_mov_b32_e32 v27, 0x7f800001
	v_cndmask_b32_e32 v23, v27, v23, vcc
; %bb.5270:                             ;   in Loop: Header=BB4_4927 Depth=3
	s_or_b64 exec, exec, s[74:75]
.LBB4_5271:                             ;   in Loop: Header=BB4_4927 Depth=3
	s_or_b64 exec, exec, s[72:73]
.LBB4_5272:                             ;   in Loop: Header=BB4_4927 Depth=3
	s_or_b64 exec, exec, s[34:35]
	v_cmp_lt_u64_e32 vcc, s[42:43], v[8:9]
	s_and_saveexec_b64 s[34:35], vcc
	s_cbranch_execz .LBB4_5280
; %bb.5273:                             ;   in Loop: Header=BB4_4927 Depth=3
	v_cmp_ne_u32_e32 vcc, s97, v22
	v_bfrev_b32_e32 v26, 1
	s_and_saveexec_b64 s[72:73], vcc
	s_cbranch_execz .LBB4_5279
; %bb.5274:                             ;   in Loop: Header=BB4_4927 Depth=3
	v_and_b32_e32 v26, 0x7c000000, v9
	v_bfe_u32 v27, v9, 24, 2
	v_cmp_ne_u32_e32 vcc, s37, v26
                                        ; implicit-def: $vgpr26
	s_and_saveexec_b64 s[74:75], vcc
	s_xor_b64 s[74:75], exec, s[74:75]
	s_cbranch_execz .LBB4_5276
; %bb.5275:                             ;   in Loop: Header=BB4_4927 Depth=3
	v_ffbh_u32_e32 v32, v27
	v_bfe_u32 v26, v9, 26, 5
	v_min_u32_e32 v32, 32, v32
	v_subrev_u32_e32 v33, 29, v32
	v_sub_u32_e32 v32, 30, v32
	v_cmp_eq_u32_e32 vcc, 0, v26
	v_lshlrev_b64 v[36:37], v33, v[22:23]
	v_cndmask_b32_e32 v26, v26, v32, vcc
	v_bfrev_b32_e32 v32, 28
	v_and_b32_e32 v33, 3, v36
	v_lshl_add_u32 v26, v26, 23, v32
	v_cndmask_b32_e32 v27, v27, v33, vcc
	v_and_or_b32 v26, v9, s96, v26
	v_lshl_or_b32 v26, v27, 21, v26
                                        ; implicit-def: $vgpr27
.LBB4_5276:                             ;   in Loop: Header=BB4_4927 Depth=3
	s_andn2_saveexec_b64 s[74:75], s[74:75]
; %bb.5277:                             ;   in Loop: Header=BB4_4927 Depth=3
	v_cmp_lt_i64_e32 vcc, -1, v[8:9]
	v_cndmask_b32_e32 v26, v6, v1, vcc
	v_cmp_eq_u32_e32 vcc, 0, v27
	v_mov_b32_e32 v27, 0x7f800001
	v_cndmask_b32_e32 v26, v27, v26, vcc
; %bb.5278:                             ;   in Loop: Header=BB4_4927 Depth=3
	s_or_b64 exec, exec, s[74:75]
.LBB4_5279:                             ;   in Loop: Header=BB4_4927 Depth=3
	s_or_b64 exec, exec, s[72:73]
.LBB4_5280:                             ;   in Loop: Header=BB4_4927 Depth=3
	s_or_b64 exec, exec, s[34:35]
	v_max_f32_e32 v26, v26, v26
	v_max_f32_e32 v23, v23, v23
	;; [unrolled: 1-line block ×3, first 2 shown]
	s_branch .LBB4_5299
.LBB4_5281:                             ;   in Loop: Header=BB4_4927 Depth=3
                                        ; implicit-def: $vgpr23
	s_cbranch_execz .LBB4_5299
; %bb.5282:                             ;   in Loop: Header=BB4_4927 Depth=3
	v_mov_b32_e32 v26, 0
	v_mov_b32_e32 v23, 0
	s_and_saveexec_b64 s[34:35], s[30:31]
	s_cbranch_execz .LBB4_5290
; %bb.5283:                             ;   in Loop: Header=BB4_4927 Depth=3
	v_cmp_ne_u32_e32 vcc, s97, v24
	v_bfrev_b32_e32 v23, 1
	s_and_saveexec_b64 s[30:31], vcc
	s_cbranch_execz .LBB4_5289
; %bb.5284:                             ;   in Loop: Header=BB4_4927 Depth=3
	v_and_b32_e32 v23, 0x7c000000, v13
	v_bfe_u32 v27, v13, 24, 2
	v_cmp_ne_u32_e32 vcc, s37, v23
                                        ; implicit-def: $vgpr23
	s_and_saveexec_b64 s[72:73], vcc
	s_xor_b64 s[72:73], exec, s[72:73]
	s_cbranch_execz .LBB4_5286
; %bb.5285:                             ;   in Loop: Header=BB4_4927 Depth=3
	v_ffbh_u32_e32 v23, v27
	v_min_u32_e32 v23, 32, v23
	v_subrev_u32_e32 v32, 29, v23
	v_bfe_u32 v12, v13, 26, 5
	v_lshlrev_b64 v[36:37], v32, v[24:25]
	v_sub_u32_e32 v23, 30, v23
	v_and_b32_e32 v24, 3, v36
	v_cmp_eq_u32_e32 vcc, 0, v12
	v_cndmask_b32_e32 v12, v12, v23, vcc
	v_cndmask_b32_e32 v23, v27, v24, vcc
	v_bfrev_b32_e32 v24, 28
	v_lshl_add_u32 v12, v12, 23, v24
	v_and_or_b32 v12, v13, s96, v12
	v_lshl_or_b32 v23, v23, 21, v12
                                        ; implicit-def: $vgpr27
.LBB4_5286:                             ;   in Loop: Header=BB4_4927 Depth=3
	s_andn2_saveexec_b64 s[72:73], s[72:73]
; %bb.5287:                             ;   in Loop: Header=BB4_4927 Depth=3
	v_cmp_lt_i64_e32 vcc, -1, v[12:13]
	v_cndmask_b32_e32 v12, v6, v1, vcc
	v_cmp_eq_u32_e32 vcc, 0, v27
	v_mov_b32_e32 v13, 0x7f800001
	v_cndmask_b32_e32 v23, v13, v12, vcc
; %bb.5288:                             ;   in Loop: Header=BB4_4927 Depth=3
	s_or_b64 exec, exec, s[72:73]
.LBB4_5289:                             ;   in Loop: Header=BB4_4927 Depth=3
	s_or_b64 exec, exec, s[30:31]
.LBB4_5290:                             ;   in Loop: Header=BB4_4927 Depth=3
	s_or_b64 exec, exec, s[34:35]
	v_cmp_lt_u64_e32 vcc, s[42:43], v[8:9]
	s_and_saveexec_b64 s[30:31], vcc
	s_cbranch_execz .LBB4_5298
; %bb.5291:                             ;   in Loop: Header=BB4_4927 Depth=3
	v_cmp_ne_u32_e32 vcc, s97, v22
	v_bfrev_b32_e32 v26, 1
	s_and_saveexec_b64 s[34:35], vcc
	s_cbranch_execz .LBB4_5297
; %bb.5292:                             ;   in Loop: Header=BB4_4927 Depth=3
	v_and_b32_e32 v13, 0x7c000000, v9
	v_bfe_u32 v12, v9, 24, 2
	v_cmp_ne_u32_e32 vcc, s37, v13
                                        ; implicit-def: $vgpr26
	s_and_saveexec_b64 s[72:73], vcc
	s_xor_b64 s[72:73], exec, s[72:73]
	s_cbranch_execz .LBB4_5294
; %bb.5293:                             ;   in Loop: Header=BB4_4927 Depth=3
	v_ffbh_u32_e32 v13, v12
	v_bfe_u32 v8, v9, 26, 5
	v_min_u32_e32 v13, 32, v13
	v_subrev_u32_e32 v24, 29, v13
	v_sub_u32_e32 v13, 30, v13
	v_cmp_eq_u32_e32 vcc, 0, v8
	v_lshlrev_b64 v[26:27], v24, v[22:23]
	v_cndmask_b32_e32 v8, v8, v13, vcc
	v_bfrev_b32_e32 v13, 28
	v_and_b32_e32 v22, 3, v26
	v_lshl_add_u32 v8, v8, 23, v13
	v_cndmask_b32_e32 v12, v12, v22, vcc
	v_and_or_b32 v8, v9, s96, v8
	v_lshl_or_b32 v26, v12, 21, v8
                                        ; implicit-def: $vgpr12
.LBB4_5294:                             ;   in Loop: Header=BB4_4927 Depth=3
	s_andn2_saveexec_b64 s[72:73], s[72:73]
; %bb.5295:                             ;   in Loop: Header=BB4_4927 Depth=3
	v_cmp_lt_i64_e32 vcc, -1, v[8:9]
	v_cndmask_b32_e32 v8, v6, v1, vcc
	v_cmp_eq_u32_e32 vcc, 0, v12
	v_mov_b32_e32 v9, 0x7f800001
	v_cndmask_b32_e32 v26, v9, v8, vcc
; %bb.5296:                             ;   in Loop: Header=BB4_4927 Depth=3
	s_or_b64 exec, exec, s[72:73]
.LBB4_5297:                             ;   in Loop: Header=BB4_4927 Depth=3
	s_or_b64 exec, exec, s[34:35]
.LBB4_5298:                             ;   in Loop: Header=BB4_4927 Depth=3
	s_or_b64 exec, exec, s[30:31]
	v_max_f32_e32 v8, v26, v26
	v_max_f32_e32 v9, v23, v23
	v_min_f32_e32 v23, v9, v8
.LBB4_5299:                             ;   in Loop: Header=BB4_4927 Depth=3
	v_and_b32_sdwa v12, v23, s97 dst_sel:DWORD dst_unused:UNUSED_PAD src0_sel:BYTE_3 src1_sel:DWORD
	v_and_b32_e32 v8, 0x7f800000, v23
	v_mov_b32_e32 v9, v43
	v_and_b32_e32 v42, 0x7fffff, v23
	v_or_b32_e32 v24, 0x7b, v12
	v_cmp_ne_u64_e32 vcc, s[52:53], v[8:9]
	s_and_saveexec_b64 s[30:31], vcc
	s_xor_b64 s[34:35], exec, s[30:31]
	s_cbranch_execz .LBB4_5327
; %bb.5300:                             ;   in Loop: Header=BB4_4927 Depth=3
	v_and_b32_e32 v8, 0x7fffffff, v23
	v_mov_b32_e32 v9, v43
	v_cmp_gt_u64_e32 vcc, s[54:55], v[8:9]
	s_and_saveexec_b64 s[72:73], vcc
	s_cbranch_execz .LBB4_5308
; %bb.5301:                             ;   in Loop: Header=BB4_4927 Depth=3
	v_cmp_ne_u32_e32 vcc, 0, v23
	v_mov_b32_e32 v24, 0
	s_and_saveexec_b64 s[74:75], vcc
	s_cbranch_execz .LBB4_5307
; %bb.5302:                             ;   in Loop: Header=BB4_4927 Depth=3
	v_bfe_u32 v8, v23, 23, 8
	v_cmp_eq_u32_e32 vcc, 0, v8
	v_add_u32_e32 v9, 0xffffff81, v8
	v_cmp_gt_u32_e64 s[30:31], s38, v8
	v_sub_u32_e32 v8, 0x71, v8
	v_mov_b32_e32 v22, 0xffffff82
	v_cndmask_b32_e64 v8, 0, v8, s[30:31]
	v_cndmask_b32_e32 v24, v9, v22, vcc
	v_mov_b32_e32 v9, 0x70
	v_cndmask_b32_e32 v26, v8, v9, vcc
	v_add_u32_e32 v8, 21, v26
	v_or_b32_e32 v13, 0x800000, v42
	v_lshlrev_b64 v[8:9], v8, -1
	v_cndmask_b32_e32 v42, v13, v42, vcc
	v_not_b32_e32 v9, v9
	v_not_b32_e32 v8, v8
	v_add_u32_e32 v13, 20, v26
	v_and_b32_e32 v9, 0, v9
	v_and_b32_e32 v8, v42, v8
	v_lshlrev_b64 v[22:23], v13, 1
	v_cmp_eq_u64_e32 vcc, v[8:9], v[22:23]
	v_lshrrev_b64 v[8:9], v26, v[42:43]
	v_lshrrev_b32_e32 v13, 23, v8
	v_add3_u32 v23, v26, v24, v13
	v_bfe_u32 v13, v8, 21, 1
	v_add_u32_e32 v13, -1, v13
	v_cndmask_b32_e32 v13, 0, v13, vcc
	v_add_u32_e32 v13, v13, v8
	v_and_b32_e32 v13, 0x1fffff, v13
	v_add_co_u32_e32 v8, vcc, v13, v8
	v_add_u32_e32 v22, 14, v23
	v_addc_co_u32_e32 v9, vcc, 0, v9, vcc
	v_cmp_ne_u32_e32 vcc, 0, v22
                                        ; implicit-def: $vgpr13
	s_and_saveexec_b64 s[30:31], vcc
	s_xor_b64 s[30:31], exec, s[30:31]
; %bb.5303:                             ;   in Loop: Header=BB4_4927 Depth=3
	v_add_u32_e32 v13, 15, v23
	v_cmp_lt_u64_e32 vcc, s[56:57], v[8:9]
	v_cndmask_b32_e32 v13, v22, v13, vcc
	v_cndmask_b32_e64 v22, 0, 1, vcc
	v_lshrrev_b64 v[8:9], v22, v[8:9]
; %bb.5304:                             ;   in Loop: Header=BB4_4927 Depth=3
	s_andn2_saveexec_b64 vcc, s[30:31]
; %bb.5305:                             ;   in Loop: Header=BB4_4927 Depth=3
	v_bfe_u32 v13, v8, 23, 1
; %bb.5306:                             ;   in Loop: Header=BB4_4927 Depth=3
	s_or_b64 exec, exec, vcc
	v_lshrrev_b64 v[8:9], 21, v[8:9]
	v_cmp_gt_i32_e32 vcc, 32, v13
	v_cndmask_b32_e32 v9, 0, v9, vcc
	v_cndmask_b32_e32 v8, 3, v8, vcc
	v_cmp_eq_u64_e64 s[30:31], 0, v[8:9]
	v_min_i32_e32 v9, 31, v13
	v_lshlrev_b32_e32 v9, 2, v9
	v_cmp_eq_u32_e32 vcc, 0, v13
	v_and_b32_e32 v9, 0xfc, v9
	v_and_or_b32 v8, v8, 3, v9
	s_and_b64 vcc, vcc, s[30:31]
	v_cndmask_b32_e64 v8, v8, 0, vcc
	v_or_b32_e32 v24, v8, v12
.LBB4_5307:                             ;   in Loop: Header=BB4_4927 Depth=3
	s_or_b64 exec, exec, s[74:75]
.LBB4_5308:                             ;   in Loop: Header=BB4_4927 Depth=3
	s_or_b64 exec, exec, s[72:73]
                                        ; implicit-def: $vgpr23
	s_andn2_saveexec_b64 s[30:31], s[34:35]
	s_cbranch_execnz .LBB4_5328
.LBB4_5309:                             ;   in Loop: Header=BB4_4927 Depth=3
	s_or_b64 exec, exec, s[30:31]
	v_cmp_ne_u16_sdwa s[30:31], v14, v43 src0_sel:BYTE_0 src1_sel:DWORD
	s_and_b64 vcc, exec, s[70:71]
	s_cbranch_vccz .LBB4_5329
.LBB4_5310:                             ;   in Loop: Header=BB4_4927 Depth=3
	v_mov_b32_e32 v9, 0
	v_mov_b32_e32 v8, 0
	s_and_saveexec_b64 s[34:35], s[30:31]
	s_cbranch_execz .LBB4_5318
; %bb.5311:                             ;   in Loop: Header=BB4_4927 Depth=3
	v_cmp_ne_u16_sdwa vcc, sext(v14), s94 src0_sel:BYTE_0 src1_sel:DWORD
	v_bfrev_b32_e32 v8, 1
	s_and_saveexec_b64 s[72:73], vcc
	s_cbranch_execz .LBB4_5317
; %bb.5312:                             ;   in Loop: Header=BB4_4927 Depth=3
	v_and_b32_e32 v8, 0x7c, v14
	v_and_b32_e32 v12, 3, v14
	v_cmp_ne_u32_e32 vcc, s95, v8
                                        ; implicit-def: $vgpr8
	s_and_saveexec_b64 s[74:75], vcc
	s_xor_b64 s[74:75], exec, s[74:75]
	s_cbranch_execz .LBB4_5314
; %bb.5313:                             ;   in Loop: Header=BB4_4927 Depth=3
	v_ffbh_u32_e32 v13, v12
	v_min_u32_e32 v13, 32, v13
	v_subrev_u32_e32 v22, 29, v13
	v_bfe_u32 v8, v14, 2, 5
	v_lshlrev_b64 v[22:23], v22, v[14:15]
	v_sub_u32_e32 v13, 30, v13
	v_and_b32_e32 v22, 3, v22
	v_cmp_eq_u32_e32 vcc, 0, v8
	v_cndmask_b32_e32 v8, v8, v13, vcc
	v_cndmask_b32_e32 v12, v12, v22, vcc
	v_bfrev_b32_e32 v22, 28
	v_lshlrev_b32_e32 v13, 24, v14
	v_lshl_add_u32 v8, v8, 23, v22
	v_and_or_b32 v8, v13, s96, v8
	v_lshl_or_b32 v8, v12, 21, v8
                                        ; implicit-def: $vgpr12
.LBB4_5314:                             ;   in Loop: Header=BB4_4927 Depth=3
	s_andn2_saveexec_b64 s[74:75], s[74:75]
; %bb.5315:                             ;   in Loop: Header=BB4_4927 Depth=3
	v_mov_b32_e32 v8, -1
	v_cmp_gt_i16_sdwa vcc, sext(v14), v8 src0_sel:BYTE_0 src1_sel:DWORD
	v_cndmask_b32_e32 v8, v6, v1, vcc
	v_cmp_eq_u32_e32 vcc, 0, v12
	v_mov_b32_e32 v12, 0x7f800001
	v_cndmask_b32_e32 v8, v12, v8, vcc
; %bb.5316:                             ;   in Loop: Header=BB4_4927 Depth=3
	s_or_b64 exec, exec, s[74:75]
.LBB4_5317:                             ;   in Loop: Header=BB4_4927 Depth=3
	s_or_b64 exec, exec, s[72:73]
.LBB4_5318:                             ;   in Loop: Header=BB4_4927 Depth=3
	s_or_b64 exec, exec, s[34:35]
	v_cmp_ne_u16_sdwa vcc, sext(v10), v43 src0_sel:BYTE_0 src1_sel:DWORD
	s_and_saveexec_b64 s[34:35], vcc
	s_cbranch_execz .LBB4_5326
; %bb.5319:                             ;   in Loop: Header=BB4_4927 Depth=3
	v_cmp_ne_u16_sdwa vcc, sext(v10), s94 src0_sel:BYTE_0 src1_sel:DWORD
	v_bfrev_b32_e32 v9, 1
	s_and_saveexec_b64 s[72:73], vcc
	s_cbranch_execz .LBB4_5325
; %bb.5320:                             ;   in Loop: Header=BB4_4927 Depth=3
	v_and_b32_e32 v9, 0x7c, v10
	v_and_b32_e32 v12, 3, v10
	v_cmp_ne_u32_e32 vcc, s95, v9
                                        ; implicit-def: $vgpr9
	s_and_saveexec_b64 s[74:75], vcc
	s_xor_b64 s[74:75], exec, s[74:75]
	s_cbranch_execz .LBB4_5322
; %bb.5321:                             ;   in Loop: Header=BB4_4927 Depth=3
	v_ffbh_u32_e32 v13, v12
	v_min_u32_e32 v13, 32, v13
	v_subrev_u32_e32 v22, 29, v13
	v_bfe_u32 v9, v10, 2, 5
	v_lshlrev_b64 v[22:23], v22, v[10:11]
	v_sub_u32_e32 v13, 30, v13
	v_and_b32_e32 v22, 3, v22
	v_cmp_eq_u32_e32 vcc, 0, v9
	v_cndmask_b32_e32 v9, v9, v13, vcc
	v_cndmask_b32_e32 v12, v12, v22, vcc
	v_bfrev_b32_e32 v22, 28
	v_lshlrev_b32_e32 v13, 24, v10
	v_lshl_add_u32 v9, v9, 23, v22
	v_and_or_b32 v9, v13, s96, v9
	v_lshl_or_b32 v9, v12, 21, v9
                                        ; implicit-def: $vgpr12
.LBB4_5322:                             ;   in Loop: Header=BB4_4927 Depth=3
	s_andn2_saveexec_b64 s[74:75], s[74:75]
; %bb.5323:                             ;   in Loop: Header=BB4_4927 Depth=3
	v_mov_b32_e32 v9, -1
	v_cmp_gt_i16_sdwa vcc, sext(v10), v9 src0_sel:BYTE_0 src1_sel:DWORD
	v_cndmask_b32_e32 v9, v6, v1, vcc
	v_cmp_eq_u32_e32 vcc, 0, v12
	v_mov_b32_e32 v12, 0x7f800001
	v_cndmask_b32_e32 v9, v12, v9, vcc
; %bb.5324:                             ;   in Loop: Header=BB4_4927 Depth=3
	s_or_b64 exec, exec, s[74:75]
.LBB4_5325:                             ;   in Loop: Header=BB4_4927 Depth=3
	s_or_b64 exec, exec, s[72:73]
.LBB4_5326:                             ;   in Loop: Header=BB4_4927 Depth=3
	s_or_b64 exec, exec, s[34:35]
	v_max_f32_e32 v9, v9, v9
	v_max_f32_e32 v8, v8, v8
	;; [unrolled: 1-line block ×3, first 2 shown]
	s_branch .LBB4_5347
.LBB4_5327:                             ;   in Loop: Header=BB4_4927 Depth=3
	s_andn2_saveexec_b64 s[30:31], s[34:35]
	s_cbranch_execz .LBB4_5309
.LBB4_5328:                             ;   in Loop: Header=BB4_4927 Depth=3
	v_or_b32_sdwa v8, v23, s39 dst_sel:DWORD dst_unused:UNUSED_PAD src0_sel:BYTE_3 src1_sel:DWORD
	v_cmp_eq_u64_e32 vcc, 0, v[42:43]
	v_cndmask_b32_e32 v24, v8, v24, vcc
	s_or_b64 exec, exec, s[30:31]
	v_cmp_ne_u16_sdwa s[30:31], v14, v43 src0_sel:BYTE_0 src1_sel:DWORD
	s_and_b64 vcc, exec, s[70:71]
	s_cbranch_vccnz .LBB4_5310
.LBB4_5329:                             ;   in Loop: Header=BB4_4927 Depth=3
                                        ; implicit-def: $vgpr8
	s_cbranch_execz .LBB4_5347
; %bb.5330:                             ;   in Loop: Header=BB4_4927 Depth=3
	v_mov_b32_e32 v9, 0
	v_mov_b32_e32 v8, 0
	s_and_saveexec_b64 s[34:35], s[30:31]
	s_cbranch_execz .LBB4_5338
; %bb.5331:                             ;   in Loop: Header=BB4_4927 Depth=3
	v_cmp_ne_u16_sdwa vcc, sext(v14), s94 src0_sel:BYTE_0 src1_sel:DWORD
	v_bfrev_b32_e32 v8, 1
	s_and_saveexec_b64 s[30:31], vcc
	s_cbranch_execz .LBB4_5337
; %bb.5332:                             ;   in Loop: Header=BB4_4927 Depth=3
	v_and_b32_e32 v8, 0x7c, v14
	v_and_b32_e32 v12, 3, v14
	v_cmp_ne_u32_e32 vcc, s95, v8
                                        ; implicit-def: $vgpr8
	s_and_saveexec_b64 s[72:73], vcc
	s_xor_b64 s[72:73], exec, s[72:73]
	s_cbranch_execz .LBB4_5334
; %bb.5333:                             ;   in Loop: Header=BB4_4927 Depth=3
	v_ffbh_u32_e32 v13, v12
	v_min_u32_e32 v13, 32, v13
	v_subrev_u32_e32 v22, 29, v13
	v_bfe_u32 v8, v14, 2, 5
	v_lshlrev_b64 v[22:23], v22, v[14:15]
	v_sub_u32_e32 v13, 30, v13
	v_and_b32_e32 v22, 3, v22
	v_cmp_eq_u32_e32 vcc, 0, v8
	v_cndmask_b32_e32 v8, v8, v13, vcc
	v_cndmask_b32_e32 v12, v12, v22, vcc
	v_bfrev_b32_e32 v22, 28
	v_lshlrev_b32_e32 v13, 24, v14
	v_lshl_add_u32 v8, v8, 23, v22
	v_and_or_b32 v8, v13, s96, v8
	v_lshl_or_b32 v8, v12, 21, v8
                                        ; implicit-def: $vgpr12
.LBB4_5334:                             ;   in Loop: Header=BB4_4927 Depth=3
	s_andn2_saveexec_b64 s[72:73], s[72:73]
; %bb.5335:                             ;   in Loop: Header=BB4_4927 Depth=3
	v_mov_b32_e32 v8, -1
	v_cmp_gt_i16_sdwa vcc, sext(v14), v8 src0_sel:BYTE_0 src1_sel:DWORD
	v_cndmask_b32_e32 v8, v6, v1, vcc
	v_cmp_eq_u32_e32 vcc, 0, v12
	v_mov_b32_e32 v12, 0x7f800001
	v_cndmask_b32_e32 v8, v12, v8, vcc
; %bb.5336:                             ;   in Loop: Header=BB4_4927 Depth=3
	s_or_b64 exec, exec, s[72:73]
.LBB4_5337:                             ;   in Loop: Header=BB4_4927 Depth=3
	s_or_b64 exec, exec, s[30:31]
.LBB4_5338:                             ;   in Loop: Header=BB4_4927 Depth=3
	s_or_b64 exec, exec, s[34:35]
	v_cmp_ne_u16_sdwa vcc, sext(v10), v43 src0_sel:BYTE_0 src1_sel:DWORD
	s_and_saveexec_b64 s[30:31], vcc
	s_cbranch_execz .LBB4_5346
; %bb.5339:                             ;   in Loop: Header=BB4_4927 Depth=3
	v_cmp_ne_u16_sdwa vcc, sext(v10), s94 src0_sel:BYTE_0 src1_sel:DWORD
	v_bfrev_b32_e32 v9, 1
	s_and_saveexec_b64 s[34:35], vcc
	s_cbranch_execz .LBB4_5345
; %bb.5340:                             ;   in Loop: Header=BB4_4927 Depth=3
	v_and_b32_e32 v9, 0x7c, v10
	v_and_b32_e32 v12, 3, v10
	v_cmp_ne_u32_e32 vcc, s95, v9
                                        ; implicit-def: $vgpr9
	s_and_saveexec_b64 s[72:73], vcc
	s_xor_b64 s[72:73], exec, s[72:73]
	s_cbranch_execz .LBB4_5342
; %bb.5341:                             ;   in Loop: Header=BB4_4927 Depth=3
	v_ffbh_u32_e32 v13, v12
	v_min_u32_e32 v13, 32, v13
	v_subrev_u32_e32 v22, 29, v13
	v_bfe_u32 v9, v10, 2, 5
	v_lshlrev_b64 v[22:23], v22, v[10:11]
	v_sub_u32_e32 v13, 30, v13
	v_and_b32_e32 v22, 3, v22
	v_cmp_eq_u32_e32 vcc, 0, v9
	v_cndmask_b32_e32 v9, v9, v13, vcc
	v_cndmask_b32_e32 v12, v12, v22, vcc
	v_bfrev_b32_e32 v22, 28
	v_lshlrev_b32_e32 v13, 24, v10
	v_lshl_add_u32 v9, v9, 23, v22
	v_and_or_b32 v9, v13, s96, v9
	v_lshl_or_b32 v9, v12, 21, v9
                                        ; implicit-def: $vgpr12
.LBB4_5342:                             ;   in Loop: Header=BB4_4927 Depth=3
	s_andn2_saveexec_b64 s[72:73], s[72:73]
; %bb.5343:                             ;   in Loop: Header=BB4_4927 Depth=3
	v_mov_b32_e32 v9, -1
	v_cmp_gt_i16_sdwa vcc, sext(v10), v9 src0_sel:BYTE_0 src1_sel:DWORD
	v_cndmask_b32_e32 v9, v6, v1, vcc
	v_cmp_eq_u32_e32 vcc, 0, v12
	v_mov_b32_e32 v12, 0x7f800001
	v_cndmask_b32_e32 v9, v12, v9, vcc
; %bb.5344:                             ;   in Loop: Header=BB4_4927 Depth=3
	s_or_b64 exec, exec, s[72:73]
.LBB4_5345:                             ;   in Loop: Header=BB4_4927 Depth=3
	s_or_b64 exec, exec, s[34:35]
.LBB4_5346:                             ;   in Loop: Header=BB4_4927 Depth=3
	s_or_b64 exec, exec, s[30:31]
	v_max_f32_e32 v9, v9, v9
	v_max_f32_e32 v8, v8, v8
	v_min_f32_e32 v8, v8, v9
.LBB4_5347:                             ;   in Loop: Header=BB4_4927 Depth=3
	v_and_b32_sdwa v12, v8, s97 dst_sel:DWORD dst_unused:UNUSED_PAD src0_sel:BYTE_3 src1_sel:DWORD
	v_and_b32_e32 v22, 0x7f800000, v8
	v_mov_b32_e32 v23, v43
	v_and_b32_e32 v42, 0x7fffff, v8
	v_or_b32_e32 v26, 0x7b, v12
	v_cmp_ne_u64_e32 vcc, s[52:53], v[22:23]
	s_and_saveexec_b64 s[30:31], vcc
	s_xor_b64 s[34:35], exec, s[30:31]
	s_cbranch_execz .LBB4_5357
; %bb.5348:                             ;   in Loop: Header=BB4_4927 Depth=3
	v_and_b32_e32 v22, 0x7fffffff, v8
	v_mov_b32_e32 v23, v43
	v_cmp_gt_u64_e32 vcc, s[54:55], v[22:23]
	s_and_saveexec_b64 s[72:73], vcc
	s_cbranch_execz .LBB4_5356
; %bb.5349:                             ;   in Loop: Header=BB4_4927 Depth=3
	v_cmp_ne_u32_e32 vcc, 0, v8
	v_mov_b32_e32 v26, 0
	s_and_saveexec_b64 s[74:75], vcc
	s_cbranch_execz .LBB4_5355
; %bb.5350:                             ;   in Loop: Header=BB4_4927 Depth=3
	v_bfe_u32 v8, v8, 23, 8
	v_cmp_eq_u32_e32 vcc, 0, v8
	v_add_u32_e32 v9, 0xffffff81, v8
	v_cmp_gt_u32_e64 s[30:31], s38, v8
	v_sub_u32_e32 v8, 0x71, v8
	v_mov_b32_e32 v22, 0xffffff82
	v_cndmask_b32_e64 v8, 0, v8, s[30:31]
	v_cndmask_b32_e32 v26, v9, v22, vcc
	v_mov_b32_e32 v9, 0x70
	v_cndmask_b32_e32 v27, v8, v9, vcc
	v_add_u32_e32 v8, 21, v27
	v_or_b32_e32 v13, 0x800000, v42
	v_lshlrev_b64 v[8:9], v8, -1
	v_cndmask_b32_e32 v42, v13, v42, vcc
	v_not_b32_e32 v9, v9
	v_not_b32_e32 v8, v8
	v_add_u32_e32 v13, 20, v27
	v_and_b32_e32 v9, 0, v9
	v_and_b32_e32 v8, v42, v8
	v_lshlrev_b64 v[22:23], v13, 1
	v_cmp_eq_u64_e32 vcc, v[8:9], v[22:23]
	v_lshrrev_b64 v[8:9], v27, v[42:43]
	v_lshrrev_b32_e32 v13, 23, v8
	v_add3_u32 v23, v27, v26, v13
	v_bfe_u32 v13, v8, 21, 1
	v_add_u32_e32 v13, -1, v13
	v_cndmask_b32_e32 v13, 0, v13, vcc
	v_add_u32_e32 v13, v13, v8
	v_and_b32_e32 v13, 0x1fffff, v13
	v_add_co_u32_e32 v8, vcc, v13, v8
	v_add_u32_e32 v22, 14, v23
	v_addc_co_u32_e32 v9, vcc, 0, v9, vcc
	v_cmp_ne_u32_e32 vcc, 0, v22
                                        ; implicit-def: $vgpr13
	s_and_saveexec_b64 s[30:31], vcc
	s_xor_b64 s[30:31], exec, s[30:31]
; %bb.5351:                             ;   in Loop: Header=BB4_4927 Depth=3
	v_add_u32_e32 v13, 15, v23
	v_cmp_lt_u64_e32 vcc, s[56:57], v[8:9]
	v_cndmask_b32_e32 v13, v22, v13, vcc
	v_cndmask_b32_e64 v22, 0, 1, vcc
	v_lshrrev_b64 v[8:9], v22, v[8:9]
; %bb.5352:                             ;   in Loop: Header=BB4_4927 Depth=3
	s_andn2_saveexec_b64 vcc, s[30:31]
; %bb.5353:                             ;   in Loop: Header=BB4_4927 Depth=3
	v_bfe_u32 v13, v8, 23, 1
; %bb.5354:                             ;   in Loop: Header=BB4_4927 Depth=3
	s_or_b64 exec, exec, vcc
	v_lshrrev_b64 v[8:9], 21, v[8:9]
	v_cmp_gt_i32_e32 vcc, 32, v13
	v_cndmask_b32_e32 v9, 0, v9, vcc
	v_cndmask_b32_e32 v8, 3, v8, vcc
	v_cmp_eq_u64_e64 s[30:31], 0, v[8:9]
	v_min_i32_e32 v9, 31, v13
	v_cmp_eq_u32_e32 vcc, 0, v13
	v_lshlrev_b32_e32 v9, 2, v9
	v_and_or_b32 v8, v8, 3, v9
	s_and_b64 vcc, vcc, s[30:31]
	v_cndmask_b32_e64 v8, v8, 0, vcc
	v_or_b32_e32 v26, v8, v12
.LBB4_5355:                             ;   in Loop: Header=BB4_4927 Depth=3
	s_or_b64 exec, exec, s[74:75]
.LBB4_5356:                             ;   in Loop: Header=BB4_4927 Depth=3
	s_or_b64 exec, exec, s[72:73]
                                        ; implicit-def: $vgpr8
.LBB4_5357:                             ;   in Loop: Header=BB4_4927 Depth=3
	s_andn2_saveexec_b64 s[30:31], s[34:35]
; %bb.5358:                             ;   in Loop: Header=BB4_4927 Depth=3
	v_or_b32_sdwa v8, v8, s39 dst_sel:DWORD dst_unused:UNUSED_PAD src0_sel:BYTE_3 src1_sel:DWORD
	v_cmp_eq_u64_e32 vcc, 0, v[42:43]
	v_cndmask_b32_e32 v26, v8, v26, vcc
; %bb.5359:                             ;   in Loop: Header=BB4_4927 Depth=3
	s_or_b64 exec, exec, s[30:31]
	v_lshrrev_b16_e32 v42, 8, v14
	v_lshrrev_b16_e32 v8, 8, v10
	v_cmp_ne_u16_e64 s[30:31], 0, v42
	s_and_b64 vcc, exec, s[70:71]
	s_cbranch_vccz .LBB4_5377
; %bb.5360:                             ;   in Loop: Header=BB4_4927 Depth=3
	v_mov_b32_e32 v9, 0
	v_mov_b32_e32 v12, 0
	s_and_saveexec_b64 s[34:35], s[30:31]
	s_cbranch_execz .LBB4_5368
; %bb.5361:                             ;   in Loop: Header=BB4_4927 Depth=3
	v_cmp_ne_u16_e32 vcc, s97, v42
	v_bfrev_b32_e32 v12, 1
	s_and_saveexec_b64 s[72:73], vcc
	s_cbranch_execz .LBB4_5367
; %bb.5362:                             ;   in Loop: Header=BB4_4927 Depth=3
	v_and_b32_e32 v12, 0x7c, v42
	v_and_b32_e32 v13, 3, v42
	v_cmp_ne_u32_e32 vcc, s95, v12
                                        ; implicit-def: $vgpr12
	s_and_saveexec_b64 s[74:75], vcc
	s_xor_b64 s[74:75], exec, s[74:75]
	s_cbranch_execz .LBB4_5364
; %bb.5363:                             ;   in Loop: Header=BB4_4927 Depth=3
	v_ffbh_u32_e32 v22, v13
	v_min_u32_e32 v27, 32, v22
	v_subrev_u32_e32 v22, 29, v27
	v_bfe_u32 v12, v42, 2, 5
	v_lshlrev_b64 v[22:23], v22, v[42:43]
	v_sub_u32_e32 v23, 30, v27
	v_cmp_eq_u32_e32 vcc, 0, v12
	v_and_b32_e32 v22, 3, v22
	v_cndmask_b32_e32 v12, v12, v23, vcc
	v_bfrev_b32_e32 v23, 28
	v_cndmask_b32_e32 v13, v13, v22, vcc
	v_lshlrev_b32_e32 v22, 16, v14
	v_lshl_add_u32 v12, v12, 23, v23
	v_and_or_b32 v12, v22, s96, v12
	v_lshl_or_b32 v12, v13, 21, v12
                                        ; implicit-def: $vgpr13
.LBB4_5364:                             ;   in Loop: Header=BB4_4927 Depth=3
	s_andn2_saveexec_b64 s[74:75], s[74:75]
; %bb.5365:                             ;   in Loop: Header=BB4_4927 Depth=3
	v_cmp_lt_i16_e32 vcc, -1, v14
	v_cndmask_b32_e32 v12, v6, v1, vcc
	v_cmp_eq_u32_e32 vcc, 0, v13
	v_mov_b32_e32 v13, 0x7f800001
	v_cndmask_b32_e32 v12, v13, v12, vcc
; %bb.5366:                             ;   in Loop: Header=BB4_4927 Depth=3
	s_or_b64 exec, exec, s[74:75]
.LBB4_5367:                             ;   in Loop: Header=BB4_4927 Depth=3
	s_or_b64 exec, exec, s[72:73]
.LBB4_5368:                             ;   in Loop: Header=BB4_4927 Depth=3
	s_or_b64 exec, exec, s[34:35]
	v_cmp_ne_u16_e32 vcc, 0, v8
	s_and_saveexec_b64 s[34:35], vcc
	s_cbranch_execz .LBB4_5376
; %bb.5369:                             ;   in Loop: Header=BB4_4927 Depth=3
	v_cmp_ne_u16_e32 vcc, s97, v8
	v_bfrev_b32_e32 v9, 1
	s_and_saveexec_b64 s[72:73], vcc
	s_cbranch_execz .LBB4_5375
; %bb.5370:                             ;   in Loop: Header=BB4_4927 Depth=3
	v_and_b32_e32 v9, 0x7c, v8
	v_and_b32_e32 v13, 3, v8
	v_cmp_ne_u32_e32 vcc, s95, v9
                                        ; implicit-def: $vgpr9
	s_and_saveexec_b64 s[74:75], vcc
	s_xor_b64 s[74:75], exec, s[74:75]
	s_cbranch_execz .LBB4_5372
; %bb.5371:                             ;   in Loop: Header=BB4_4927 Depth=3
	v_ffbh_u32_e32 v22, v13
	v_min_u32_e32 v32, 32, v22
	v_mov_b32_e32 v9, v43
	v_bfe_u32 v27, v8, 2, 5
	v_subrev_u32_e32 v22, 29, v32
	v_lshlrev_b64 v[22:23], v22, v[8:9]
	v_sub_u32_e32 v9, 30, v32
	v_cmp_eq_u32_e32 vcc, 0, v27
	v_and_b32_e32 v22, 3, v22
	v_cndmask_b32_e32 v9, v27, v9, vcc
	v_bfrev_b32_e32 v23, 28
	v_cndmask_b32_e32 v13, v13, v22, vcc
	v_lshlrev_b32_e32 v22, 16, v10
	v_lshl_add_u32 v9, v9, 23, v23
	v_and_or_b32 v9, v22, s96, v9
	v_lshl_or_b32 v9, v13, 21, v9
                                        ; implicit-def: $vgpr13
.LBB4_5372:                             ;   in Loop: Header=BB4_4927 Depth=3
	s_andn2_saveexec_b64 s[74:75], s[74:75]
; %bb.5373:                             ;   in Loop: Header=BB4_4927 Depth=3
	v_cmp_lt_i16_e32 vcc, -1, v10
	v_cndmask_b32_e32 v9, v6, v1, vcc
	v_cmp_eq_u32_e32 vcc, 0, v13
	v_mov_b32_e32 v13, 0x7f800001
	v_cndmask_b32_e32 v9, v13, v9, vcc
; %bb.5374:                             ;   in Loop: Header=BB4_4927 Depth=3
	s_or_b64 exec, exec, s[74:75]
.LBB4_5375:                             ;   in Loop: Header=BB4_4927 Depth=3
	s_or_b64 exec, exec, s[72:73]
.LBB4_5376:                             ;   in Loop: Header=BB4_4927 Depth=3
	s_or_b64 exec, exec, s[34:35]
	v_max_f32_e32 v9, v9, v9
	v_max_f32_e32 v12, v12, v12
	v_max_f32_e32 v9, v12, v9
	s_branch .LBB4_5395
.LBB4_5377:                             ;   in Loop: Header=BB4_4927 Depth=3
                                        ; implicit-def: $vgpr9
	s_cbranch_execz .LBB4_5395
; %bb.5378:                             ;   in Loop: Header=BB4_4927 Depth=3
	v_mov_b32_e32 v9, 0
	v_mov_b32_e32 v12, 0
	s_and_saveexec_b64 s[34:35], s[30:31]
	s_cbranch_execz .LBB4_5386
; %bb.5379:                             ;   in Loop: Header=BB4_4927 Depth=3
	v_cmp_ne_u16_e32 vcc, s97, v42
	v_bfrev_b32_e32 v12, 1
	s_and_saveexec_b64 s[30:31], vcc
	s_cbranch_execz .LBB4_5385
; %bb.5380:                             ;   in Loop: Header=BB4_4927 Depth=3
	v_and_b32_e32 v12, 0x7c, v42
	v_and_b32_e32 v13, 3, v42
	v_cmp_ne_u32_e32 vcc, s95, v12
                                        ; implicit-def: $vgpr12
	s_and_saveexec_b64 s[72:73], vcc
	s_xor_b64 s[72:73], exec, s[72:73]
	s_cbranch_execz .LBB4_5382
; %bb.5381:                             ;   in Loop: Header=BB4_4927 Depth=3
	v_ffbh_u32_e32 v22, v13
	v_min_u32_e32 v27, 32, v22
	v_subrev_u32_e32 v22, 29, v27
	v_bfe_u32 v12, v42, 2, 5
	v_lshlrev_b64 v[22:23], v22, v[42:43]
	v_sub_u32_e32 v23, 30, v27
	v_cmp_eq_u32_e32 vcc, 0, v12
	v_and_b32_e32 v22, 3, v22
	v_cndmask_b32_e32 v12, v12, v23, vcc
	v_bfrev_b32_e32 v23, 28
	v_cndmask_b32_e32 v13, v13, v22, vcc
	v_lshlrev_b32_e32 v22, 16, v14
	v_lshl_add_u32 v12, v12, 23, v23
	v_and_or_b32 v12, v22, s96, v12
	v_lshl_or_b32 v12, v13, 21, v12
                                        ; implicit-def: $vgpr13
.LBB4_5382:                             ;   in Loop: Header=BB4_4927 Depth=3
	s_andn2_saveexec_b64 s[72:73], s[72:73]
; %bb.5383:                             ;   in Loop: Header=BB4_4927 Depth=3
	v_cmp_lt_i16_e32 vcc, -1, v14
	v_cndmask_b32_e32 v12, v6, v1, vcc
	v_cmp_eq_u32_e32 vcc, 0, v13
	v_mov_b32_e32 v13, 0x7f800001
	v_cndmask_b32_e32 v12, v13, v12, vcc
; %bb.5384:                             ;   in Loop: Header=BB4_4927 Depth=3
	s_or_b64 exec, exec, s[72:73]
.LBB4_5385:                             ;   in Loop: Header=BB4_4927 Depth=3
	s_or_b64 exec, exec, s[30:31]
.LBB4_5386:                             ;   in Loop: Header=BB4_4927 Depth=3
	s_or_b64 exec, exec, s[34:35]
	v_cmp_ne_u16_e32 vcc, 0, v8
	s_and_saveexec_b64 s[30:31], vcc
	s_cbranch_execz .LBB4_5394
; %bb.5387:                             ;   in Loop: Header=BB4_4927 Depth=3
	v_cmp_ne_u16_e32 vcc, s97, v8
	v_bfrev_b32_e32 v9, 1
	s_and_saveexec_b64 s[34:35], vcc
	s_cbranch_execz .LBB4_5393
; %bb.5388:                             ;   in Loop: Header=BB4_4927 Depth=3
	v_and_b32_e32 v9, 0x7c, v8
	v_and_b32_e32 v13, 3, v8
	v_cmp_ne_u32_e32 vcc, s95, v9
                                        ; implicit-def: $vgpr9
	s_and_saveexec_b64 s[72:73], vcc
	s_xor_b64 s[72:73], exec, s[72:73]
	s_cbranch_execz .LBB4_5390
; %bb.5389:                             ;   in Loop: Header=BB4_4927 Depth=3
	v_ffbh_u32_e32 v23, v13
	v_min_u32_e32 v23, 32, v23
	v_mov_b32_e32 v9, v43
	v_subrev_u32_e32 v27, 29, v23
	v_bfe_u32 v22, v8, 2, 5
	v_lshlrev_b64 v[8:9], v27, v[8:9]
	v_sub_u32_e32 v9, 30, v23
	v_cmp_eq_u32_e32 vcc, 0, v22
	v_and_b32_e32 v8, 3, v8
	v_cndmask_b32_e32 v9, v22, v9, vcc
	v_bfrev_b32_e32 v22, 28
	v_cndmask_b32_e32 v8, v13, v8, vcc
	v_lshlrev_b32_e32 v13, 16, v10
	v_lshl_add_u32 v9, v9, 23, v22
	v_and_or_b32 v9, v13, s96, v9
	v_lshl_or_b32 v9, v8, 21, v9
                                        ; implicit-def: $vgpr13
.LBB4_5390:                             ;   in Loop: Header=BB4_4927 Depth=3
	s_andn2_saveexec_b64 s[72:73], s[72:73]
; %bb.5391:                             ;   in Loop: Header=BB4_4927 Depth=3
	v_cmp_lt_i16_e32 vcc, -1, v10
	v_cndmask_b32_e32 v8, v6, v1, vcc
	v_cmp_eq_u32_e32 vcc, 0, v13
	v_mov_b32_e32 v9, 0x7f800001
	v_cndmask_b32_e32 v9, v9, v8, vcc
; %bb.5392:                             ;   in Loop: Header=BB4_4927 Depth=3
	s_or_b64 exec, exec, s[72:73]
.LBB4_5393:                             ;   in Loop: Header=BB4_4927 Depth=3
	s_or_b64 exec, exec, s[34:35]
.LBB4_5394:                             ;   in Loop: Header=BB4_4927 Depth=3
	s_or_b64 exec, exec, s[30:31]
	v_max_f32_e32 v8, v9, v9
	v_max_f32_e32 v9, v12, v12
	v_min_f32_e32 v9, v9, v8
.LBB4_5395:                             ;   in Loop: Header=BB4_4927 Depth=3
	v_and_b32_sdwa v12, v9, s97 dst_sel:DWORD dst_unused:UNUSED_PAD src0_sel:BYTE_3 src1_sel:DWORD
	v_and_b32_e32 v22, 0x7f800000, v9
	v_mov_b32_e32 v23, v43
	v_and_b32_e32 v42, 0x7fffff, v9
	v_or_b32_e32 v27, 0x7b, v12
	v_cmp_ne_u64_e32 vcc, s[52:53], v[22:23]
	s_and_saveexec_b64 s[30:31], vcc
	s_xor_b64 s[34:35], exec, s[30:31]
	s_cbranch_execz .LBB4_5405
; %bb.5396:                             ;   in Loop: Header=BB4_4927 Depth=3
	v_and_b32_e32 v22, 0x7fffffff, v9
	v_mov_b32_e32 v23, v43
	v_cmp_gt_u64_e32 vcc, s[54:55], v[22:23]
	s_and_saveexec_b64 s[72:73], vcc
	s_cbranch_execz .LBB4_5404
; %bb.5397:                             ;   in Loop: Header=BB4_4927 Depth=3
	v_cmp_ne_u32_e32 vcc, 0, v9
	v_mov_b32_e32 v27, 0
	s_and_saveexec_b64 s[74:75], vcc
	s_cbranch_execz .LBB4_5403
; %bb.5398:                             ;   in Loop: Header=BB4_4927 Depth=3
	v_bfe_u32 v8, v9, 23, 8
	v_cmp_eq_u32_e32 vcc, 0, v8
	v_add_u32_e32 v9, 0xffffff81, v8
	v_cmp_gt_u32_e64 s[30:31], s38, v8
	v_sub_u32_e32 v8, 0x71, v8
	v_mov_b32_e32 v22, 0xffffff82
	v_cndmask_b32_e64 v8, 0, v8, s[30:31]
	v_cndmask_b32_e32 v27, v9, v22, vcc
	v_mov_b32_e32 v9, 0x70
	v_cndmask_b32_e32 v32, v8, v9, vcc
	v_add_u32_e32 v8, 21, v32
	v_or_b32_e32 v13, 0x800000, v42
	v_lshlrev_b64 v[8:9], v8, -1
	v_cndmask_b32_e32 v42, v13, v42, vcc
	v_not_b32_e32 v9, v9
	v_not_b32_e32 v8, v8
	v_add_u32_e32 v13, 20, v32
	v_and_b32_e32 v9, 0, v9
	v_and_b32_e32 v8, v42, v8
	v_lshlrev_b64 v[22:23], v13, 1
	v_cmp_eq_u64_e32 vcc, v[8:9], v[22:23]
	v_lshrrev_b64 v[8:9], v32, v[42:43]
	v_lshrrev_b32_e32 v13, 23, v8
	v_add3_u32 v23, v32, v27, v13
	v_bfe_u32 v13, v8, 21, 1
	v_add_u32_e32 v13, -1, v13
	v_cndmask_b32_e32 v13, 0, v13, vcc
	v_add_u32_e32 v13, v13, v8
	v_and_b32_e32 v13, 0x1fffff, v13
	v_add_co_u32_e32 v8, vcc, v13, v8
	v_add_u32_e32 v22, 14, v23
	v_addc_co_u32_e32 v9, vcc, 0, v9, vcc
	v_cmp_ne_u32_e32 vcc, 0, v22
                                        ; implicit-def: $vgpr13
	s_and_saveexec_b64 s[30:31], vcc
	s_xor_b64 s[30:31], exec, s[30:31]
; %bb.5399:                             ;   in Loop: Header=BB4_4927 Depth=3
	v_add_u32_e32 v13, 15, v23
	v_cmp_lt_u64_e32 vcc, s[56:57], v[8:9]
	v_cndmask_b32_e32 v13, v22, v13, vcc
	v_cndmask_b32_e64 v22, 0, 1, vcc
	v_lshrrev_b64 v[8:9], v22, v[8:9]
; %bb.5400:                             ;   in Loop: Header=BB4_4927 Depth=3
	s_andn2_saveexec_b64 vcc, s[30:31]
; %bb.5401:                             ;   in Loop: Header=BB4_4927 Depth=3
	v_bfe_u32 v13, v8, 23, 1
; %bb.5402:                             ;   in Loop: Header=BB4_4927 Depth=3
	s_or_b64 exec, exec, vcc
	v_lshrrev_b64 v[8:9], 21, v[8:9]
	v_cmp_gt_i32_e32 vcc, 32, v13
	v_cndmask_b32_e32 v9, 0, v9, vcc
	v_cndmask_b32_e32 v8, 3, v8, vcc
	v_cmp_eq_u64_e64 s[30:31], 0, v[8:9]
	v_min_i32_e32 v9, 31, v13
	v_cmp_eq_u32_e32 vcc, 0, v13
	v_lshlrev_b32_e32 v9, 2, v9
	v_and_or_b32 v8, v8, 3, v9
	s_and_b64 vcc, vcc, s[30:31]
	v_cndmask_b32_e64 v8, v8, 0, vcc
	v_or_b32_e32 v27, v8, v12
.LBB4_5403:                             ;   in Loop: Header=BB4_4927 Depth=3
	s_or_b64 exec, exec, s[74:75]
.LBB4_5404:                             ;   in Loop: Header=BB4_4927 Depth=3
	s_or_b64 exec, exec, s[72:73]
                                        ; implicit-def: $vgpr9
.LBB4_5405:                             ;   in Loop: Header=BB4_4927 Depth=3
	s_andn2_saveexec_b64 s[30:31], s[34:35]
; %bb.5406:                             ;   in Loop: Header=BB4_4927 Depth=3
	v_or_b32_sdwa v8, v9, s39 dst_sel:DWORD dst_unused:UNUSED_PAD src0_sel:BYTE_3 src1_sel:DWORD
	v_cmp_eq_u64_e32 vcc, 0, v[42:43]
	v_cndmask_b32_e32 v27, v8, v27, vcc
; %bb.5407:                             ;   in Loop: Header=BB4_4927 Depth=3
	s_or_b64 exec, exec, s[30:31]
	v_lshrrev_b32_e32 v12, 16, v14
	v_lshrrev_b32_e32 v8, 16, v10
	v_cmp_ne_u16_sdwa s[30:31], v12, v43 src0_sel:BYTE_0 src1_sel:DWORD
	s_and_b64 vcc, exec, s[70:71]
	s_cbranch_vccz .LBB4_5425
; %bb.5408:                             ;   in Loop: Header=BB4_4927 Depth=3
	v_mov_b32_e32 v13, 0
	v_mov_b32_e32 v9, 0
	s_and_saveexec_b64 s[34:35], s[30:31]
	s_cbranch_execz .LBB4_5416
; %bb.5409:                             ;   in Loop: Header=BB4_4927 Depth=3
	v_cmp_ne_u16_sdwa vcc, v12, s97 src0_sel:BYTE_0 src1_sel:DWORD
	v_bfrev_b32_e32 v9, 1
	s_and_saveexec_b64 s[72:73], vcc
	s_cbranch_execz .LBB4_5415
; %bb.5410:                             ;   in Loop: Header=BB4_4927 Depth=3
	v_and_b32_e32 v9, 0x7c0000, v14
	v_bfe_u32 v22, v14, 16, 2
	v_cmp_ne_u32_e32 vcc, s36, v9
                                        ; implicit-def: $vgpr9
	s_and_saveexec_b64 s[74:75], vcc
	s_xor_b64 s[74:75], exec, s[74:75]
	s_cbranch_execz .LBB4_5412
; %bb.5411:                             ;   in Loop: Header=BB4_4927 Depth=3
	v_ffbh_u32_e32 v23, v22
	v_min_u32_e32 v23, 32, v23
	v_subrev_u32_e32 v32, 29, v23
	v_bfe_u32 v9, v14, 18, 5
	v_lshlrev_b64 v[36:37], v32, v[12:13]
	v_sub_u32_e32 v23, 30, v23
	v_and_b32_e32 v32, 3, v36
	v_cmp_eq_u32_e32 vcc, 0, v9
	v_cndmask_b32_e32 v9, v9, v23, vcc
	v_cndmask_b32_e32 v22, v22, v32, vcc
	v_bfrev_b32_e32 v32, 28
	v_lshlrev_b32_e32 v23, 24, v12
	v_lshl_add_u32 v9, v9, 23, v32
	v_and_or_b32 v9, v23, s96, v9
	v_lshl_or_b32 v9, v22, 21, v9
                                        ; implicit-def: $vgpr22
.LBB4_5412:                             ;   in Loop: Header=BB4_4927 Depth=3
	s_andn2_saveexec_b64 s[74:75], s[74:75]
; %bb.5413:                             ;   in Loop: Header=BB4_4927 Depth=3
	v_mov_b32_e32 v9, -1
	v_cmp_gt_i16_sdwa vcc, sext(v12), v9 src0_sel:BYTE_0 src1_sel:DWORD
	v_cndmask_b32_e32 v9, v6, v1, vcc
	v_cmp_eq_u32_e32 vcc, 0, v22
	v_mov_b32_e32 v22, 0x7f800001
	v_cndmask_b32_e32 v9, v22, v9, vcc
; %bb.5414:                             ;   in Loop: Header=BB4_4927 Depth=3
	s_or_b64 exec, exec, s[74:75]
.LBB4_5415:                             ;   in Loop: Header=BB4_4927 Depth=3
	s_or_b64 exec, exec, s[72:73]
.LBB4_5416:                             ;   in Loop: Header=BB4_4927 Depth=3
	s_or_b64 exec, exec, s[34:35]
	v_cmp_ne_u16_sdwa vcc, v8, v43 src0_sel:BYTE_0 src1_sel:DWORD
	s_and_saveexec_b64 s[34:35], vcc
	s_cbranch_execz .LBB4_5424
; %bb.5417:                             ;   in Loop: Header=BB4_4927 Depth=3
	v_cmp_ne_u16_sdwa vcc, v8, s97 src0_sel:BYTE_0 src1_sel:DWORD
	v_bfrev_b32_e32 v13, 1
	s_and_saveexec_b64 s[72:73], vcc
	s_cbranch_execz .LBB4_5423
; %bb.5418:                             ;   in Loop: Header=BB4_4927 Depth=3
	v_and_b32_e32 v13, 0x7c0000, v10
	v_bfe_u32 v22, v10, 16, 2
	v_cmp_ne_u32_e32 vcc, s36, v13
                                        ; implicit-def: $vgpr13
	s_and_saveexec_b64 s[74:75], vcc
	s_xor_b64 s[74:75], exec, s[74:75]
	s_cbranch_execz .LBB4_5420
; %bb.5419:                             ;   in Loop: Header=BB4_4927 Depth=3
	v_ffbh_u32_e32 v23, v22
	v_min_u32_e32 v23, 32, v23
	v_subrev_u32_e32 v32, 29, v23
	v_bfe_u32 v13, v10, 18, 5
	v_lshlrev_b64 v[36:37], v32, v[8:9]
	v_sub_u32_e32 v23, 30, v23
	v_and_b32_e32 v32, 3, v36
	v_cmp_eq_u32_e32 vcc, 0, v13
	v_cndmask_b32_e32 v13, v13, v23, vcc
	v_cndmask_b32_e32 v22, v22, v32, vcc
	v_bfrev_b32_e32 v32, 28
	v_lshlrev_b32_e32 v23, 24, v8
	v_lshl_add_u32 v13, v13, 23, v32
	v_and_or_b32 v13, v23, s96, v13
	v_lshl_or_b32 v13, v22, 21, v13
                                        ; implicit-def: $vgpr22
.LBB4_5420:                             ;   in Loop: Header=BB4_4927 Depth=3
	s_andn2_saveexec_b64 s[74:75], s[74:75]
; %bb.5421:                             ;   in Loop: Header=BB4_4927 Depth=3
	v_mov_b32_e32 v13, -1
	v_cmp_gt_i16_sdwa vcc, sext(v8), v13 src0_sel:BYTE_0 src1_sel:DWORD
	v_cndmask_b32_e32 v13, v6, v1, vcc
	v_cmp_eq_u32_e32 vcc, 0, v22
	v_mov_b32_e32 v22, 0x7f800001
	v_cndmask_b32_e32 v13, v22, v13, vcc
; %bb.5422:                             ;   in Loop: Header=BB4_4927 Depth=3
	s_or_b64 exec, exec, s[74:75]
.LBB4_5423:                             ;   in Loop: Header=BB4_4927 Depth=3
	s_or_b64 exec, exec, s[72:73]
.LBB4_5424:                             ;   in Loop: Header=BB4_4927 Depth=3
	s_or_b64 exec, exec, s[34:35]
	v_max_f32_e32 v13, v13, v13
	v_max_f32_e32 v9, v9, v9
	;; [unrolled: 1-line block ×3, first 2 shown]
	s_branch .LBB4_5443
.LBB4_5425:                             ;   in Loop: Header=BB4_4927 Depth=3
                                        ; implicit-def: $vgpr9
	s_cbranch_execz .LBB4_5443
; %bb.5426:                             ;   in Loop: Header=BB4_4927 Depth=3
	v_mov_b32_e32 v13, 0
	v_mov_b32_e32 v9, 0
	s_and_saveexec_b64 s[34:35], s[30:31]
	s_cbranch_execz .LBB4_5434
; %bb.5427:                             ;   in Loop: Header=BB4_4927 Depth=3
	v_cmp_ne_u16_sdwa vcc, v12, s97 src0_sel:BYTE_0 src1_sel:DWORD
	v_bfrev_b32_e32 v9, 1
	s_and_saveexec_b64 s[30:31], vcc
	s_cbranch_execz .LBB4_5433
; %bb.5428:                             ;   in Loop: Header=BB4_4927 Depth=3
	v_and_b32_e32 v9, 0x7c0000, v14
	v_bfe_u32 v22, v14, 16, 2
	v_cmp_ne_u32_e32 vcc, s36, v9
                                        ; implicit-def: $vgpr9
	s_and_saveexec_b64 s[72:73], vcc
	s_xor_b64 s[72:73], exec, s[72:73]
	s_cbranch_execz .LBB4_5430
; %bb.5429:                             ;   in Loop: Header=BB4_4927 Depth=3
	v_ffbh_u32_e32 v23, v22
	v_bfe_u32 v9, v14, 18, 5
	v_min_u32_e32 v23, 32, v23
	v_subrev_u32_e32 v32, 29, v23
	v_sub_u32_e32 v23, 30, v23
	v_cmp_eq_u32_e32 vcc, 0, v9
	v_lshlrev_b64 v[36:37], v32, v[12:13]
	v_cndmask_b32_e32 v9, v9, v23, vcc
	v_bfrev_b32_e32 v23, 28
	v_and_b32_e32 v32, 3, v36
	v_lshlrev_b32_e32 v12, 24, v12
	v_lshl_add_u32 v9, v9, 23, v23
	v_cndmask_b32_e32 v22, v22, v32, vcc
	v_and_or_b32 v9, v12, s96, v9
	v_lshl_or_b32 v9, v22, 21, v9
                                        ; implicit-def: $vgpr22
                                        ; implicit-def: $vgpr12
.LBB4_5430:                             ;   in Loop: Header=BB4_4927 Depth=3
	s_andn2_saveexec_b64 s[72:73], s[72:73]
; %bb.5431:                             ;   in Loop: Header=BB4_4927 Depth=3
	v_mov_b32_e32 v9, -1
	v_cmp_gt_i16_sdwa vcc, sext(v12), v9 src0_sel:BYTE_0 src1_sel:DWORD
	v_cndmask_b32_e32 v9, v6, v1, vcc
	v_cmp_eq_u32_e32 vcc, 0, v22
	v_mov_b32_e32 v12, 0x7f800001
	v_cndmask_b32_e32 v9, v12, v9, vcc
; %bb.5432:                             ;   in Loop: Header=BB4_4927 Depth=3
	s_or_b64 exec, exec, s[72:73]
.LBB4_5433:                             ;   in Loop: Header=BB4_4927 Depth=3
	s_or_b64 exec, exec, s[30:31]
.LBB4_5434:                             ;   in Loop: Header=BB4_4927 Depth=3
	s_or_b64 exec, exec, s[34:35]
	v_cmp_ne_u16_sdwa vcc, v8, v43 src0_sel:BYTE_0 src1_sel:DWORD
	s_and_saveexec_b64 s[30:31], vcc
	s_cbranch_execz .LBB4_5442
; %bb.5435:                             ;   in Loop: Header=BB4_4927 Depth=3
	v_cmp_ne_u16_sdwa vcc, v8, s97 src0_sel:BYTE_0 src1_sel:DWORD
	v_bfrev_b32_e32 v13, 1
	s_and_saveexec_b64 s[34:35], vcc
	s_cbranch_execz .LBB4_5441
; %bb.5436:                             ;   in Loop: Header=BB4_4927 Depth=3
	v_and_b32_e32 v13, 0x7c0000, v10
	v_bfe_u32 v12, v10, 16, 2
	v_cmp_ne_u32_e32 vcc, s36, v13
                                        ; implicit-def: $vgpr13
	s_and_saveexec_b64 s[72:73], vcc
	s_xor_b64 s[72:73], exec, s[72:73]
	s_cbranch_execz .LBB4_5438
; %bb.5437:                             ;   in Loop: Header=BB4_4927 Depth=3
	v_ffbh_u32_e32 v22, v12
	v_min_u32_e32 v32, 32, v22
	v_subrev_u32_e32 v22, 29, v32
	v_bfe_u32 v13, v10, 18, 5
	v_lshlrev_b64 v[22:23], v22, v[8:9]
	v_sub_u32_e32 v23, 30, v32
	v_and_b32_e32 v22, 3, v22
	v_cmp_eq_u32_e32 vcc, 0, v13
	v_cndmask_b32_e32 v13, v13, v23, vcc
	v_cndmask_b32_e32 v12, v12, v22, vcc
	v_bfrev_b32_e32 v22, 28
	v_lshlrev_b32_e32 v8, 24, v8
	v_lshl_add_u32 v13, v13, 23, v22
	v_and_or_b32 v8, v8, s96, v13
	v_lshl_or_b32 v13, v12, 21, v8
                                        ; implicit-def: $vgpr12
                                        ; implicit-def: $vgpr8
.LBB4_5438:                             ;   in Loop: Header=BB4_4927 Depth=3
	s_andn2_saveexec_b64 s[72:73], s[72:73]
; %bb.5439:                             ;   in Loop: Header=BB4_4927 Depth=3
	v_mov_b32_e32 v13, -1
	v_cmp_gt_i16_sdwa vcc, sext(v8), v13 src0_sel:BYTE_0 src1_sel:DWORD
	v_cndmask_b32_e32 v8, v6, v1, vcc
	v_cmp_eq_u32_e32 vcc, 0, v12
	v_mov_b32_e32 v12, 0x7f800001
	v_cndmask_b32_e32 v13, v12, v8, vcc
; %bb.5440:                             ;   in Loop: Header=BB4_4927 Depth=3
	s_or_b64 exec, exec, s[72:73]
.LBB4_5441:                             ;   in Loop: Header=BB4_4927 Depth=3
	s_or_b64 exec, exec, s[34:35]
.LBB4_5442:                             ;   in Loop: Header=BB4_4927 Depth=3
	s_or_b64 exec, exec, s[30:31]
	v_max_f32_e32 v8, v13, v13
	v_max_f32_e32 v9, v9, v9
	v_min_f32_e32 v9, v9, v8
.LBB4_5443:                             ;   in Loop: Header=BB4_4927 Depth=3
	v_and_b32_sdwa v12, v9, s97 dst_sel:DWORD dst_unused:UNUSED_PAD src0_sel:BYTE_3 src1_sel:DWORD
	v_and_b32_e32 v22, 0x7f800000, v9
	v_mov_b32_e32 v23, v43
	v_and_b32_e32 v42, 0x7fffff, v9
	v_or_b32_e32 v55, 0x7b, v12
	v_cmp_ne_u64_e32 vcc, s[52:53], v[22:23]
	s_and_saveexec_b64 s[30:31], vcc
	s_xor_b64 s[34:35], exec, s[30:31]
	s_cbranch_execz .LBB4_5453
; %bb.5444:                             ;   in Loop: Header=BB4_4927 Depth=3
	v_and_b32_e32 v22, 0x7fffffff, v9
	v_mov_b32_e32 v23, v43
	v_cmp_gt_u64_e32 vcc, s[54:55], v[22:23]
	s_and_saveexec_b64 s[72:73], vcc
	s_cbranch_execz .LBB4_5452
; %bb.5445:                             ;   in Loop: Header=BB4_4927 Depth=3
	v_cmp_ne_u32_e32 vcc, 0, v9
	v_mov_b32_e32 v55, 0
	s_and_saveexec_b64 s[74:75], vcc
	s_cbranch_execz .LBB4_5451
; %bb.5446:                             ;   in Loop: Header=BB4_4927 Depth=3
	v_bfe_u32 v8, v9, 23, 8
	v_cmp_eq_u32_e32 vcc, 0, v8
	v_add_u32_e32 v9, 0xffffff81, v8
	v_cmp_gt_u32_e64 s[30:31], s38, v8
	v_sub_u32_e32 v8, 0x71, v8
	v_mov_b32_e32 v22, 0xffffff82
	v_cndmask_b32_e64 v8, 0, v8, s[30:31]
	v_cndmask_b32_e32 v32, v9, v22, vcc
	v_mov_b32_e32 v9, 0x70
	v_cndmask_b32_e32 v33, v8, v9, vcc
	v_add_u32_e32 v8, 21, v33
	v_or_b32_e32 v13, 0x800000, v42
	v_lshlrev_b64 v[8:9], v8, -1
	v_cndmask_b32_e32 v42, v13, v42, vcc
	v_not_b32_e32 v9, v9
	v_not_b32_e32 v8, v8
	v_add_u32_e32 v13, 20, v33
	v_and_b32_e32 v9, 0, v9
	v_and_b32_e32 v8, v42, v8
	v_lshlrev_b64 v[22:23], v13, 1
	v_cmp_eq_u64_e32 vcc, v[8:9], v[22:23]
	v_lshrrev_b64 v[8:9], v33, v[42:43]
	v_lshrrev_b32_e32 v13, 23, v8
	v_add3_u32 v23, v33, v32, v13
	v_bfe_u32 v13, v8, 21, 1
	v_add_u32_e32 v13, -1, v13
	v_cndmask_b32_e32 v13, 0, v13, vcc
	v_add_u32_e32 v13, v13, v8
	v_and_b32_e32 v13, 0x1fffff, v13
	v_add_co_u32_e32 v8, vcc, v13, v8
	v_add_u32_e32 v22, 14, v23
	v_addc_co_u32_e32 v9, vcc, 0, v9, vcc
	v_cmp_ne_u32_e32 vcc, 0, v22
                                        ; implicit-def: $vgpr13
	s_and_saveexec_b64 s[30:31], vcc
	s_xor_b64 s[30:31], exec, s[30:31]
; %bb.5447:                             ;   in Loop: Header=BB4_4927 Depth=3
	v_add_u32_e32 v13, 15, v23
	v_cmp_lt_u64_e32 vcc, s[56:57], v[8:9]
	v_cndmask_b32_e32 v13, v22, v13, vcc
	v_cndmask_b32_e64 v22, 0, 1, vcc
	v_lshrrev_b64 v[8:9], v22, v[8:9]
; %bb.5448:                             ;   in Loop: Header=BB4_4927 Depth=3
	s_andn2_saveexec_b64 vcc, s[30:31]
; %bb.5449:                             ;   in Loop: Header=BB4_4927 Depth=3
	v_bfe_u32 v13, v8, 23, 1
; %bb.5450:                             ;   in Loop: Header=BB4_4927 Depth=3
	s_or_b64 exec, exec, vcc
	v_lshrrev_b64 v[8:9], 21, v[8:9]
	v_cmp_gt_i32_e32 vcc, 32, v13
	v_cndmask_b32_e32 v9, 0, v9, vcc
	v_cndmask_b32_e32 v8, 3, v8, vcc
	v_cmp_eq_u64_e64 s[30:31], 0, v[8:9]
	v_min_i32_e32 v9, 31, v13
	v_cmp_eq_u32_e32 vcc, 0, v13
	v_lshlrev_b32_e32 v9, 2, v9
	v_and_or_b32 v8, v8, 3, v9
	s_and_b64 vcc, vcc, s[30:31]
	v_cndmask_b32_e64 v8, v8, 0, vcc
	v_or_b32_e32 v55, v8, v12
.LBB4_5451:                             ;   in Loop: Header=BB4_4927 Depth=3
	s_or_b64 exec, exec, s[74:75]
.LBB4_5452:                             ;   in Loop: Header=BB4_4927 Depth=3
	s_or_b64 exec, exec, s[72:73]
                                        ; implicit-def: $vgpr9
.LBB4_5453:                             ;   in Loop: Header=BB4_4927 Depth=3
	s_andn2_saveexec_b64 s[30:31], s[34:35]
; %bb.5454:                             ;   in Loop: Header=BB4_4927 Depth=3
	v_or_b32_sdwa v8, v9, s39 dst_sel:DWORD dst_unused:UNUSED_PAD src0_sel:BYTE_3 src1_sel:DWORD
	v_cmp_eq_u64_e32 vcc, 0, v[42:43]
	v_cndmask_b32_e32 v55, v8, v55, vcc
; %bb.5455:                             ;   in Loop: Header=BB4_4927 Depth=3
	s_or_b64 exec, exec, s[30:31]
	v_lshrrev_b32_e32 v12, 24, v14
	v_lshrrev_b32_e32 v8, 24, v10
	v_cmp_lt_u32_e64 s[30:31], s43, v14
	s_and_b64 vcc, exec, s[70:71]
	s_cbranch_vccz .LBB4_5473
; %bb.5456:                             ;   in Loop: Header=BB4_4927 Depth=3
	v_mov_b32_e32 v13, 0
	v_mov_b32_e32 v9, 0
	s_and_saveexec_b64 s[34:35], s[30:31]
	s_cbranch_execz .LBB4_5464
; %bb.5457:                             ;   in Loop: Header=BB4_4927 Depth=3
	v_cmp_ne_u32_e32 vcc, s97, v12
	v_bfrev_b32_e32 v9, 1
	s_and_saveexec_b64 s[72:73], vcc
	s_cbranch_execz .LBB4_5463
; %bb.5458:                             ;   in Loop: Header=BB4_4927 Depth=3
	v_and_b32_e32 v9, 0x7c000000, v14
	v_bfe_u32 v22, v14, 24, 2
	v_cmp_ne_u32_e32 vcc, s37, v9
                                        ; implicit-def: $vgpr9
	s_and_saveexec_b64 s[74:75], vcc
	s_xor_b64 s[74:75], exec, s[74:75]
	s_cbranch_execz .LBB4_5460
; %bb.5459:                             ;   in Loop: Header=BB4_4927 Depth=3
	v_ffbh_u32_e32 v23, v22
	v_bfe_u32 v9, v14, 26, 5
	v_min_u32_e32 v23, 32, v23
	v_subrev_u32_e32 v32, 29, v23
	v_sub_u32_e32 v23, 30, v23
	v_cmp_eq_u32_e32 vcc, 0, v9
	v_lshlrev_b64 v[36:37], v32, v[12:13]
	v_cndmask_b32_e32 v9, v9, v23, vcc
	v_bfrev_b32_e32 v23, 28
	v_and_b32_e32 v32, 3, v36
	v_lshl_add_u32 v9, v9, 23, v23
	v_cndmask_b32_e32 v22, v22, v32, vcc
	v_and_or_b32 v9, v14, s96, v9
	v_lshl_or_b32 v9, v22, 21, v9
                                        ; implicit-def: $vgpr22
.LBB4_5460:                             ;   in Loop: Header=BB4_4927 Depth=3
	s_andn2_saveexec_b64 s[74:75], s[74:75]
; %bb.5461:                             ;   in Loop: Header=BB4_4927 Depth=3
	v_cmp_lt_i32_e32 vcc, -1, v14
	v_cndmask_b32_e32 v9, v6, v1, vcc
	v_cmp_eq_u32_e32 vcc, 0, v22
	v_mov_b32_e32 v22, 0x7f800001
	v_cndmask_b32_e32 v9, v22, v9, vcc
; %bb.5462:                             ;   in Loop: Header=BB4_4927 Depth=3
	s_or_b64 exec, exec, s[74:75]
.LBB4_5463:                             ;   in Loop: Header=BB4_4927 Depth=3
	s_or_b64 exec, exec, s[72:73]
.LBB4_5464:                             ;   in Loop: Header=BB4_4927 Depth=3
	s_or_b64 exec, exec, s[34:35]
	v_cmp_lt_u32_e32 vcc, s43, v10
	s_and_saveexec_b64 s[34:35], vcc
	s_cbranch_execz .LBB4_5472
; %bb.5465:                             ;   in Loop: Header=BB4_4927 Depth=3
	v_cmp_ne_u32_e32 vcc, s97, v8
	v_bfrev_b32_e32 v13, 1
	s_and_saveexec_b64 s[72:73], vcc
	s_cbranch_execz .LBB4_5471
; %bb.5466:                             ;   in Loop: Header=BB4_4927 Depth=3
	v_and_b32_e32 v13, 0x7c000000, v10
	v_bfe_u32 v22, v10, 24, 2
	v_cmp_ne_u32_e32 vcc, s37, v13
                                        ; implicit-def: $vgpr13
	s_and_saveexec_b64 s[74:75], vcc
	s_xor_b64 s[74:75], exec, s[74:75]
	s_cbranch_execz .LBB4_5468
; %bb.5467:                             ;   in Loop: Header=BB4_4927 Depth=3
	v_ffbh_u32_e32 v23, v22
	v_bfe_u32 v13, v10, 26, 5
	v_min_u32_e32 v23, 32, v23
	v_subrev_u32_e32 v32, 29, v23
	v_sub_u32_e32 v23, 30, v23
	v_cmp_eq_u32_e32 vcc, 0, v13
	v_lshlrev_b64 v[36:37], v32, v[8:9]
	v_cndmask_b32_e32 v13, v13, v23, vcc
	v_bfrev_b32_e32 v23, 28
	v_and_b32_e32 v32, 3, v36
	v_lshl_add_u32 v13, v13, 23, v23
	v_cndmask_b32_e32 v22, v22, v32, vcc
	v_and_or_b32 v13, v10, s96, v13
	v_lshl_or_b32 v13, v22, 21, v13
                                        ; implicit-def: $vgpr22
.LBB4_5468:                             ;   in Loop: Header=BB4_4927 Depth=3
	s_andn2_saveexec_b64 s[74:75], s[74:75]
; %bb.5469:                             ;   in Loop: Header=BB4_4927 Depth=3
	v_cmp_lt_i32_e32 vcc, -1, v10
	v_cndmask_b32_e32 v13, v6, v1, vcc
	v_cmp_eq_u32_e32 vcc, 0, v22
	v_mov_b32_e32 v22, 0x7f800001
	v_cndmask_b32_e32 v13, v22, v13, vcc
; %bb.5470:                             ;   in Loop: Header=BB4_4927 Depth=3
	s_or_b64 exec, exec, s[74:75]
.LBB4_5471:                             ;   in Loop: Header=BB4_4927 Depth=3
	s_or_b64 exec, exec, s[72:73]
.LBB4_5472:                             ;   in Loop: Header=BB4_4927 Depth=3
	s_or_b64 exec, exec, s[34:35]
	v_max_f32_e32 v13, v13, v13
	v_max_f32_e32 v9, v9, v9
	;; [unrolled: 1-line block ×3, first 2 shown]
	s_branch .LBB4_5491
.LBB4_5473:                             ;   in Loop: Header=BB4_4927 Depth=3
                                        ; implicit-def: $vgpr9
	s_cbranch_execz .LBB4_5491
; %bb.5474:                             ;   in Loop: Header=BB4_4927 Depth=3
	v_mov_b32_e32 v13, 0
	v_mov_b32_e32 v9, 0
	s_and_saveexec_b64 s[34:35], s[30:31]
	s_cbranch_execz .LBB4_5482
; %bb.5475:                             ;   in Loop: Header=BB4_4927 Depth=3
	v_cmp_ne_u32_e32 vcc, s97, v12
	v_bfrev_b32_e32 v9, 1
	s_and_saveexec_b64 s[30:31], vcc
	s_cbranch_execz .LBB4_5481
; %bb.5476:                             ;   in Loop: Header=BB4_4927 Depth=3
	v_and_b32_e32 v9, 0x7c000000, v14
	v_bfe_u32 v22, v14, 24, 2
	v_cmp_ne_u32_e32 vcc, s37, v9
                                        ; implicit-def: $vgpr9
	s_and_saveexec_b64 s[72:73], vcc
	s_xor_b64 s[72:73], exec, s[72:73]
	s_cbranch_execz .LBB4_5478
; %bb.5477:                             ;   in Loop: Header=BB4_4927 Depth=3
	v_ffbh_u32_e32 v23, v22
	v_min_u32_e32 v23, 32, v23
	v_subrev_u32_e32 v32, 29, v23
	v_bfe_u32 v9, v14, 26, 5
	v_lshlrev_b64 v[36:37], v32, v[12:13]
	v_sub_u32_e32 v12, 30, v23
	v_and_b32_e32 v23, 3, v36
	v_cmp_eq_u32_e32 vcc, 0, v9
	v_cndmask_b32_e32 v9, v9, v12, vcc
	v_cndmask_b32_e32 v12, v22, v23, vcc
	v_bfrev_b32_e32 v22, 28
	v_lshl_add_u32 v9, v9, 23, v22
	v_and_or_b32 v9, v14, s96, v9
	v_lshl_or_b32 v9, v12, 21, v9
                                        ; implicit-def: $vgpr22
.LBB4_5478:                             ;   in Loop: Header=BB4_4927 Depth=3
	s_andn2_saveexec_b64 s[72:73], s[72:73]
; %bb.5479:                             ;   in Loop: Header=BB4_4927 Depth=3
	v_cmp_lt_i32_e32 vcc, -1, v14
	v_cndmask_b32_e32 v9, v6, v1, vcc
	v_cmp_eq_u32_e32 vcc, 0, v22
	v_mov_b32_e32 v12, 0x7f800001
	v_cndmask_b32_e32 v9, v12, v9, vcc
; %bb.5480:                             ;   in Loop: Header=BB4_4927 Depth=3
	s_or_b64 exec, exec, s[72:73]
.LBB4_5481:                             ;   in Loop: Header=BB4_4927 Depth=3
	s_or_b64 exec, exec, s[30:31]
.LBB4_5482:                             ;   in Loop: Header=BB4_4927 Depth=3
	s_or_b64 exec, exec, s[34:35]
	v_cmp_lt_u32_e32 vcc, s43, v10
	s_and_saveexec_b64 s[30:31], vcc
	s_cbranch_execz .LBB4_5490
; %bb.5483:                             ;   in Loop: Header=BB4_4927 Depth=3
	v_cmp_ne_u32_e32 vcc, s97, v8
	v_bfrev_b32_e32 v13, 1
	s_and_saveexec_b64 s[34:35], vcc
	s_cbranch_execz .LBB4_5489
; %bb.5484:                             ;   in Loop: Header=BB4_4927 Depth=3
	v_and_b32_e32 v13, 0x7c000000, v10
	v_bfe_u32 v12, v10, 24, 2
	v_cmp_ne_u32_e32 vcc, s37, v13
                                        ; implicit-def: $vgpr13
	s_and_saveexec_b64 s[72:73], vcc
	s_xor_b64 s[72:73], exec, s[72:73]
	s_cbranch_execz .LBB4_5486
; %bb.5485:                             ;   in Loop: Header=BB4_4927 Depth=3
	v_ffbh_u32_e32 v22, v12
	v_min_u32_e32 v32, 32, v22
	v_bfe_u32 v13, v10, 26, 5
	v_subrev_u32_e32 v22, 29, v32
	v_lshlrev_b64 v[22:23], v22, v[8:9]
	v_sub_u32_e32 v8, 30, v32
	v_cmp_eq_u32_e32 vcc, 0, v13
	v_cndmask_b32_e32 v8, v13, v8, vcc
	v_bfrev_b32_e32 v13, 28
	v_and_b32_e32 v22, 3, v22
	v_lshl_add_u32 v8, v8, 23, v13
	v_cndmask_b32_e32 v12, v12, v22, vcc
	v_and_or_b32 v8, v10, s96, v8
	v_lshl_or_b32 v13, v12, 21, v8
                                        ; implicit-def: $vgpr12
.LBB4_5486:                             ;   in Loop: Header=BB4_4927 Depth=3
	s_andn2_saveexec_b64 s[72:73], s[72:73]
; %bb.5487:                             ;   in Loop: Header=BB4_4927 Depth=3
	v_cmp_lt_i32_e32 vcc, -1, v10
	v_cndmask_b32_e32 v8, v6, v1, vcc
	v_cmp_eq_u32_e32 vcc, 0, v12
	v_mov_b32_e32 v12, 0x7f800001
	v_cndmask_b32_e32 v13, v12, v8, vcc
; %bb.5488:                             ;   in Loop: Header=BB4_4927 Depth=3
	s_or_b64 exec, exec, s[72:73]
.LBB4_5489:                             ;   in Loop: Header=BB4_4927 Depth=3
	s_or_b64 exec, exec, s[34:35]
.LBB4_5490:                             ;   in Loop: Header=BB4_4927 Depth=3
	s_or_b64 exec, exec, s[30:31]
	v_max_f32_e32 v8, v13, v13
	v_max_f32_e32 v9, v9, v9
	v_min_f32_e32 v9, v9, v8
.LBB4_5491:                             ;   in Loop: Header=BB4_4927 Depth=3
	v_and_b32_sdwa v12, v9, s97 dst_sel:DWORD dst_unused:UNUSED_PAD src0_sel:BYTE_3 src1_sel:DWORD
	v_and_b32_e32 v22, 0x7f800000, v9
	v_mov_b32_e32 v23, v43
	v_and_b32_e32 v42, 0x7fffff, v9
	v_or_b32_e32 v36, 0x7b, v12
	v_cmp_ne_u64_e32 vcc, s[52:53], v[22:23]
	s_and_saveexec_b64 s[30:31], vcc
	s_xor_b64 s[34:35], exec, s[30:31]
	s_cbranch_execz .LBB4_5501
; %bb.5492:                             ;   in Loop: Header=BB4_4927 Depth=3
	v_and_b32_e32 v22, 0x7fffffff, v9
	v_mov_b32_e32 v23, v43
	v_cmp_gt_u64_e32 vcc, s[54:55], v[22:23]
	s_and_saveexec_b64 s[72:73], vcc
	s_cbranch_execz .LBB4_5500
; %bb.5493:                             ;   in Loop: Header=BB4_4927 Depth=3
	v_cmp_ne_u32_e32 vcc, 0, v9
	v_mov_b32_e32 v36, 0
	s_and_saveexec_b64 s[74:75], vcc
	s_cbranch_execz .LBB4_5499
; %bb.5494:                             ;   in Loop: Header=BB4_4927 Depth=3
	v_bfe_u32 v8, v9, 23, 8
	v_cmp_eq_u32_e32 vcc, 0, v8
	v_add_u32_e32 v9, 0xffffff81, v8
	v_cmp_gt_u32_e64 s[30:31], s38, v8
	v_sub_u32_e32 v8, 0x71, v8
	v_mov_b32_e32 v22, 0xffffff82
	v_cndmask_b32_e64 v8, 0, v8, s[30:31]
	v_cndmask_b32_e32 v32, v9, v22, vcc
	v_mov_b32_e32 v9, 0x70
	v_cndmask_b32_e32 v33, v8, v9, vcc
	v_add_u32_e32 v8, 21, v33
	v_or_b32_e32 v13, 0x800000, v42
	v_lshlrev_b64 v[8:9], v8, -1
	v_cndmask_b32_e32 v42, v13, v42, vcc
	v_not_b32_e32 v9, v9
	v_not_b32_e32 v8, v8
	v_add_u32_e32 v13, 20, v33
	v_and_b32_e32 v9, 0, v9
	v_and_b32_e32 v8, v42, v8
	v_lshlrev_b64 v[22:23], v13, 1
	v_cmp_eq_u64_e32 vcc, v[8:9], v[22:23]
	v_lshrrev_b64 v[8:9], v33, v[42:43]
	v_lshrrev_b32_e32 v13, 23, v8
	v_add3_u32 v23, v33, v32, v13
	v_bfe_u32 v13, v8, 21, 1
	v_add_u32_e32 v13, -1, v13
	v_cndmask_b32_e32 v13, 0, v13, vcc
	v_add_u32_e32 v13, v13, v8
	v_and_b32_e32 v13, 0x1fffff, v13
	v_add_co_u32_e32 v8, vcc, v13, v8
	v_add_u32_e32 v22, 14, v23
	v_addc_co_u32_e32 v9, vcc, 0, v9, vcc
	v_cmp_ne_u32_e32 vcc, 0, v22
                                        ; implicit-def: $vgpr13
	s_and_saveexec_b64 s[30:31], vcc
	s_xor_b64 s[30:31], exec, s[30:31]
; %bb.5495:                             ;   in Loop: Header=BB4_4927 Depth=3
	v_add_u32_e32 v13, 15, v23
	v_cmp_lt_u64_e32 vcc, s[56:57], v[8:9]
	v_cndmask_b32_e32 v13, v22, v13, vcc
	v_cndmask_b32_e64 v22, 0, 1, vcc
	v_lshrrev_b64 v[8:9], v22, v[8:9]
; %bb.5496:                             ;   in Loop: Header=BB4_4927 Depth=3
	s_andn2_saveexec_b64 vcc, s[30:31]
; %bb.5497:                             ;   in Loop: Header=BB4_4927 Depth=3
	v_bfe_u32 v13, v8, 23, 1
; %bb.5498:                             ;   in Loop: Header=BB4_4927 Depth=3
	s_or_b64 exec, exec, vcc
	v_lshrrev_b64 v[8:9], 21, v[8:9]
	v_cmp_gt_i32_e32 vcc, 32, v13
	v_cndmask_b32_e32 v9, 0, v9, vcc
	v_cndmask_b32_e32 v8, 3, v8, vcc
	v_cmp_eq_u64_e64 s[30:31], 0, v[8:9]
	v_min_i32_e32 v9, 31, v13
	v_cmp_eq_u32_e32 vcc, 0, v13
	v_lshlrev_b32_e32 v9, 2, v9
	v_and_or_b32 v8, v8, 3, v9
	s_and_b64 vcc, vcc, s[30:31]
	v_cndmask_b32_e64 v8, v8, 0, vcc
	v_or_b32_e32 v36, v8, v12
.LBB4_5499:                             ;   in Loop: Header=BB4_4927 Depth=3
	s_or_b64 exec, exec, s[74:75]
.LBB4_5500:                             ;   in Loop: Header=BB4_4927 Depth=3
	s_or_b64 exec, exec, s[72:73]
                                        ; implicit-def: $vgpr9
.LBB4_5501:                             ;   in Loop: Header=BB4_4927 Depth=3
	s_andn2_saveexec_b64 s[30:31], s[34:35]
; %bb.5502:                             ;   in Loop: Header=BB4_4927 Depth=3
	v_or_b32_sdwa v8, v9, s39 dst_sel:DWORD dst_unused:UNUSED_PAD src0_sel:BYTE_3 src1_sel:DWORD
	v_cmp_eq_u64_e32 vcc, 0, v[42:43]
	v_cndmask_b32_e32 v36, v8, v36, vcc
; %bb.5503:                             ;   in Loop: Header=BB4_4927 Depth=3
	s_or_b64 exec, exec, s[30:31]
	v_mov_b32_e32 v42, v15
	v_mov_b32_e32 v8, v11
	;; [unrolled: 1-line block ×3, first 2 shown]
	v_cmp_ne_u16_sdwa s[30:31], v15, v43 src0_sel:BYTE_0 src1_sel:DWORD
	s_and_b64 vcc, exec, s[70:71]
	s_cbranch_vccz .LBB4_5521
; %bb.5504:                             ;   in Loop: Header=BB4_4927 Depth=3
	v_mov_b32_e32 v13, 0
	v_mov_b32_e32 v12, 0
	s_and_saveexec_b64 s[34:35], s[30:31]
	s_cbranch_execz .LBB4_5512
; %bb.5505:                             ;   in Loop: Header=BB4_4927 Depth=3
	v_cmp_ne_u16_sdwa vcc, v15, s97 src0_sel:BYTE_0 src1_sel:DWORD
	v_bfrev_b32_e32 v12, 1
	s_and_saveexec_b64 s[72:73], vcc
	s_cbranch_execz .LBB4_5511
; %bb.5506:                             ;   in Loop: Header=BB4_4927 Depth=3
	v_and_b32_e32 v12, 0x7c, v15
	v_and_b32_e32 v22, 3, v15
	v_cmp_ne_u32_e32 vcc, s95, v12
                                        ; implicit-def: $vgpr12
	s_and_saveexec_b64 s[74:75], vcc
	s_xor_b64 s[74:75], exec, s[74:75]
	s_cbranch_execz .LBB4_5508
; %bb.5507:                             ;   in Loop: Header=BB4_4927 Depth=3
	v_ffbh_u32_e32 v23, v22
	v_min_u32_e32 v23, 32, v23
	v_subrev_u32_e32 v32, 29, v23
	v_bfe_u32 v12, v15, 2, 5
	v_lshlrev_b64 v[50:51], v32, v[42:43]
	v_sub_u32_e32 v23, 30, v23
	v_and_b32_e32 v32, 3, v50
	v_cmp_eq_u32_e32 vcc, 0, v12
	v_cndmask_b32_e32 v12, v12, v23, vcc
	v_cndmask_b32_e32 v22, v22, v32, vcc
	v_bfrev_b32_e32 v32, 28
	v_lshlrev_b32_e32 v23, 24, v15
	v_lshl_add_u32 v12, v12, 23, v32
	v_and_or_b32 v12, v23, s96, v12
	v_lshl_or_b32 v12, v22, 21, v12
                                        ; implicit-def: $vgpr22
.LBB4_5508:                             ;   in Loop: Header=BB4_4927 Depth=3
	s_andn2_saveexec_b64 s[74:75], s[74:75]
; %bb.5509:                             ;   in Loop: Header=BB4_4927 Depth=3
	v_mov_b32_e32 v12, -1
	v_cmp_gt_i16_sdwa vcc, sext(v15), v12 src0_sel:BYTE_0 src1_sel:DWORD
	v_cndmask_b32_e32 v12, v6, v1, vcc
	v_cmp_eq_u32_e32 vcc, 0, v22
	v_mov_b32_e32 v22, 0x7f800001
	v_cndmask_b32_e32 v12, v22, v12, vcc
; %bb.5510:                             ;   in Loop: Header=BB4_4927 Depth=3
	s_or_b64 exec, exec, s[74:75]
.LBB4_5511:                             ;   in Loop: Header=BB4_4927 Depth=3
	s_or_b64 exec, exec, s[72:73]
.LBB4_5512:                             ;   in Loop: Header=BB4_4927 Depth=3
	s_or_b64 exec, exec, s[34:35]
	v_cmp_ne_u16_sdwa vcc, v11, v43 src0_sel:BYTE_0 src1_sel:DWORD
	s_and_saveexec_b64 s[34:35], vcc
	s_cbranch_execz .LBB4_5520
; %bb.5513:                             ;   in Loop: Header=BB4_4927 Depth=3
	v_cmp_ne_u16_sdwa vcc, v11, s97 src0_sel:BYTE_0 src1_sel:DWORD
	v_bfrev_b32_e32 v13, 1
	s_and_saveexec_b64 s[72:73], vcc
	s_cbranch_execz .LBB4_5519
; %bb.5514:                             ;   in Loop: Header=BB4_4927 Depth=3
	v_and_b32_e32 v13, 0x7c, v11
	v_and_b32_e32 v22, 3, v11
	v_cmp_ne_u32_e32 vcc, s95, v13
                                        ; implicit-def: $vgpr13
	s_and_saveexec_b64 s[74:75], vcc
	s_xor_b64 s[74:75], exec, s[74:75]
	s_cbranch_execz .LBB4_5516
; %bb.5515:                             ;   in Loop: Header=BB4_4927 Depth=3
	v_ffbh_u32_e32 v23, v22
	v_min_u32_e32 v23, 32, v23
	v_subrev_u32_e32 v32, 29, v23
	v_bfe_u32 v13, v11, 2, 5
	v_lshlrev_b64 v[50:51], v32, v[8:9]
	v_sub_u32_e32 v23, 30, v23
	v_and_b32_e32 v32, 3, v50
	v_cmp_eq_u32_e32 vcc, 0, v13
	v_cndmask_b32_e32 v13, v13, v23, vcc
	v_cndmask_b32_e32 v22, v22, v32, vcc
	v_bfrev_b32_e32 v32, 28
	v_lshlrev_b32_e32 v23, 24, v11
	v_lshl_add_u32 v13, v13, 23, v32
	v_and_or_b32 v13, v23, s96, v13
	v_lshl_or_b32 v13, v22, 21, v13
                                        ; implicit-def: $vgpr22
.LBB4_5516:                             ;   in Loop: Header=BB4_4927 Depth=3
	s_andn2_saveexec_b64 s[74:75], s[74:75]
; %bb.5517:                             ;   in Loop: Header=BB4_4927 Depth=3
	v_mov_b32_e32 v13, -1
	v_cmp_gt_i16_sdwa vcc, sext(v11), v13 src0_sel:BYTE_0 src1_sel:DWORD
	v_cndmask_b32_e32 v13, v6, v1, vcc
	v_cmp_eq_u32_e32 vcc, 0, v22
	v_mov_b32_e32 v22, 0x7f800001
	v_cndmask_b32_e32 v13, v22, v13, vcc
; %bb.5518:                             ;   in Loop: Header=BB4_4927 Depth=3
	s_or_b64 exec, exec, s[74:75]
.LBB4_5519:                             ;   in Loop: Header=BB4_4927 Depth=3
	s_or_b64 exec, exec, s[72:73]
.LBB4_5520:                             ;   in Loop: Header=BB4_4927 Depth=3
	s_or_b64 exec, exec, s[34:35]
	v_max_f32_e32 v13, v13, v13
	v_max_f32_e32 v12, v12, v12
	;; [unrolled: 1-line block ×3, first 2 shown]
	s_branch .LBB4_5539
.LBB4_5521:                             ;   in Loop: Header=BB4_4927 Depth=3
                                        ; implicit-def: $vgpr22
	s_cbranch_execz .LBB4_5539
; %bb.5522:                             ;   in Loop: Header=BB4_4927 Depth=3
	v_mov_b32_e32 v13, 0
	v_mov_b32_e32 v12, 0
	s_and_saveexec_b64 s[34:35], s[30:31]
	s_cbranch_execz .LBB4_5530
; %bb.5523:                             ;   in Loop: Header=BB4_4927 Depth=3
	v_cmp_ne_u16_sdwa vcc, v15, s97 src0_sel:BYTE_0 src1_sel:DWORD
	v_bfrev_b32_e32 v12, 1
	s_and_saveexec_b64 s[30:31], vcc
	s_cbranch_execz .LBB4_5529
; %bb.5524:                             ;   in Loop: Header=BB4_4927 Depth=3
	v_and_b32_e32 v12, 0x7c, v15
	v_and_b32_e32 v22, 3, v15
	v_cmp_ne_u32_e32 vcc, s95, v12
                                        ; implicit-def: $vgpr12
	s_and_saveexec_b64 s[72:73], vcc
	s_xor_b64 s[72:73], exec, s[72:73]
	s_cbranch_execz .LBB4_5526
; %bb.5525:                             ;   in Loop: Header=BB4_4927 Depth=3
	v_ffbh_u32_e32 v23, v22
	v_min_u32_e32 v23, 32, v23
	v_subrev_u32_e32 v32, 29, v23
	v_bfe_u32 v12, v15, 2, 5
	v_lshlrev_b64 v[50:51], v32, v[42:43]
	v_sub_u32_e32 v23, 30, v23
	v_and_b32_e32 v32, 3, v50
	v_cmp_eq_u32_e32 vcc, 0, v12
	v_cndmask_b32_e32 v12, v12, v23, vcc
	v_cndmask_b32_e32 v22, v22, v32, vcc
	v_bfrev_b32_e32 v32, 28
	v_lshlrev_b32_e32 v23, 24, v15
	v_lshl_add_u32 v12, v12, 23, v32
	v_and_or_b32 v12, v23, s96, v12
	v_lshl_or_b32 v12, v22, 21, v12
                                        ; implicit-def: $vgpr22
.LBB4_5526:                             ;   in Loop: Header=BB4_4927 Depth=3
	s_andn2_saveexec_b64 s[72:73], s[72:73]
; %bb.5527:                             ;   in Loop: Header=BB4_4927 Depth=3
	v_mov_b32_e32 v12, -1
	v_cmp_gt_i16_sdwa vcc, sext(v15), v12 src0_sel:BYTE_0 src1_sel:DWORD
	v_cndmask_b32_e32 v12, v6, v1, vcc
	v_cmp_eq_u32_e32 vcc, 0, v22
	v_mov_b32_e32 v22, 0x7f800001
	v_cndmask_b32_e32 v12, v22, v12, vcc
; %bb.5528:                             ;   in Loop: Header=BB4_4927 Depth=3
	s_or_b64 exec, exec, s[72:73]
.LBB4_5529:                             ;   in Loop: Header=BB4_4927 Depth=3
	s_or_b64 exec, exec, s[30:31]
.LBB4_5530:                             ;   in Loop: Header=BB4_4927 Depth=3
	s_or_b64 exec, exec, s[34:35]
	v_cmp_ne_u16_sdwa vcc, v11, v43 src0_sel:BYTE_0 src1_sel:DWORD
	s_and_saveexec_b64 s[30:31], vcc
	s_cbranch_execz .LBB4_5538
; %bb.5531:                             ;   in Loop: Header=BB4_4927 Depth=3
	v_cmp_ne_u16_sdwa vcc, v11, s97 src0_sel:BYTE_0 src1_sel:DWORD
	v_bfrev_b32_e32 v13, 1
	s_and_saveexec_b64 s[34:35], vcc
	s_cbranch_execz .LBB4_5537
; %bb.5532:                             ;   in Loop: Header=BB4_4927 Depth=3
	v_and_b32_e32 v13, 0x7c, v11
	v_and_b32_e32 v22, 3, v11
	v_cmp_ne_u32_e32 vcc, s95, v13
                                        ; implicit-def: $vgpr13
	s_and_saveexec_b64 s[72:73], vcc
	s_xor_b64 s[72:73], exec, s[72:73]
	s_cbranch_execz .LBB4_5534
; %bb.5533:                             ;   in Loop: Header=BB4_4927 Depth=3
	v_ffbh_u32_e32 v23, v22
	v_min_u32_e32 v23, 32, v23
	v_subrev_u32_e32 v32, 29, v23
	v_bfe_u32 v13, v11, 2, 5
	v_lshlrev_b64 v[50:51], v32, v[8:9]
	v_sub_u32_e32 v9, 30, v23
	v_and_b32_e32 v23, 3, v50
	v_cmp_eq_u32_e32 vcc, 0, v13
	v_cndmask_b32_e32 v9, v13, v9, vcc
	v_cndmask_b32_e32 v13, v22, v23, vcc
	v_bfrev_b32_e32 v23, 28
	v_lshlrev_b32_e32 v22, 24, v11
	v_lshl_add_u32 v9, v9, 23, v23
	v_and_or_b32 v9, v22, s96, v9
	v_lshl_or_b32 v13, v13, 21, v9
                                        ; implicit-def: $vgpr22
.LBB4_5534:                             ;   in Loop: Header=BB4_4927 Depth=3
	s_andn2_saveexec_b64 s[72:73], s[72:73]
; %bb.5535:                             ;   in Loop: Header=BB4_4927 Depth=3
	v_mov_b32_e32 v9, -1
	v_cmp_gt_i16_sdwa vcc, sext(v11), v9 src0_sel:BYTE_0 src1_sel:DWORD
	v_cndmask_b32_e32 v9, v6, v1, vcc
	v_cmp_eq_u32_e32 vcc, 0, v22
	v_mov_b32_e32 v13, 0x7f800001
	v_cndmask_b32_e32 v13, v13, v9, vcc
; %bb.5536:                             ;   in Loop: Header=BB4_4927 Depth=3
	s_or_b64 exec, exec, s[72:73]
.LBB4_5537:                             ;   in Loop: Header=BB4_4927 Depth=3
	s_or_b64 exec, exec, s[34:35]
.LBB4_5538:                             ;   in Loop: Header=BB4_4927 Depth=3
	s_or_b64 exec, exec, s[30:31]
	v_max_f32_e32 v9, v13, v13
	v_max_f32_e32 v12, v12, v12
	v_min_f32_e32 v22, v12, v9
.LBB4_5539:                             ;   in Loop: Header=BB4_4927 Depth=3
	v_and_b32_sdwa v9, v22, s97 dst_sel:DWORD dst_unused:UNUSED_PAD src0_sel:BYTE_3 src1_sel:DWORD
	v_and_b32_e32 v50, 0x7f800000, v22
	v_mov_b32_e32 v51, v43
	v_and_b32_e32 v12, 0x7fffff, v22
	v_mov_b32_e32 v13, v43
	v_or_b32_e32 v37, 0x7b, v9
	v_cmp_ne_u64_e32 vcc, s[52:53], v[50:51]
	s_and_saveexec_b64 s[30:31], vcc
	s_xor_b64 s[34:35], exec, s[30:31]
	s_cbranch_execz .LBB4_5549
; %bb.5540:                             ;   in Loop: Header=BB4_4927 Depth=3
	v_and_b32_e32 v50, 0x7fffffff, v22
	v_mov_b32_e32 v51, v43
	v_cmp_gt_u64_e32 vcc, s[54:55], v[50:51]
	s_and_saveexec_b64 s[72:73], vcc
	s_cbranch_execz .LBB4_5548
; %bb.5541:                             ;   in Loop: Header=BB4_4927 Depth=3
	v_cmp_ne_u32_e32 vcc, 0, v22
	v_mov_b32_e32 v37, 0
	s_and_saveexec_b64 s[74:75], vcc
	s_cbranch_execz .LBB4_5547
; %bb.5542:                             ;   in Loop: Header=BB4_4927 Depth=3
	v_bfe_u32 v22, v22, 23, 8
	v_cmp_eq_u32_e32 vcc, 0, v22
	v_add_u32_e32 v23, 0xffffff81, v22
	v_cmp_gt_u32_e64 s[30:31], s38, v22
	v_sub_u32_e32 v22, 0x71, v22
	v_mov_b32_e32 v33, 0xffffff82
	v_cndmask_b32_e64 v22, 0, v22, s[30:31]
	v_cndmask_b32_e32 v33, v23, v33, vcc
	v_mov_b32_e32 v23, 0x70
	v_cndmask_b32_e32 v37, v22, v23, vcc
	v_add_u32_e32 v22, 21, v37
	v_or_b32_e32 v32, 0x800000, v12
	v_lshlrev_b64 v[22:23], v22, -1
	v_cndmask_b32_e32 v12, v32, v12, vcc
	v_not_b32_e32 v23, v23
	v_not_b32_e32 v22, v22
	v_add_u32_e32 v32, 20, v37
	v_and_b32_e32 v23, 0, v23
	v_and_b32_e32 v22, v12, v22
	v_lshlrev_b64 v[50:51], v32, 1
	v_lshrrev_b64 v[12:13], v37, v[12:13]
	v_cmp_eq_u64_e32 vcc, v[22:23], v[50:51]
	v_lshrrev_b32_e32 v22, 23, v12
	v_add3_u32 v37, v37, v33, v22
	v_bfe_u32 v22, v12, 21, 1
	v_add_u32_e32 v22, -1, v22
	v_cndmask_b32_e32 v22, 0, v22, vcc
	v_add_u32_e32 v22, v22, v12
	v_and_b32_e32 v22, 0x1fffff, v22
	v_add_co_u32_e32 v12, vcc, v22, v12
	v_add_u32_e32 v23, 14, v37
	v_addc_co_u32_e32 v13, vcc, 0, v13, vcc
	v_cmp_ne_u32_e32 vcc, 0, v23
                                        ; implicit-def: $vgpr22
	s_and_saveexec_b64 s[30:31], vcc
	s_xor_b64 s[30:31], exec, s[30:31]
; %bb.5543:                             ;   in Loop: Header=BB4_4927 Depth=3
	v_add_u32_e32 v22, 15, v37
	v_cmp_lt_u64_e32 vcc, s[56:57], v[12:13]
	v_cndmask_b32_e32 v22, v23, v22, vcc
	v_cndmask_b32_e64 v23, 0, 1, vcc
	v_lshrrev_b64 v[12:13], v23, v[12:13]
; %bb.5544:                             ;   in Loop: Header=BB4_4927 Depth=3
	s_andn2_saveexec_b64 vcc, s[30:31]
; %bb.5545:                             ;   in Loop: Header=BB4_4927 Depth=3
	v_bfe_u32 v22, v12, 23, 1
; %bb.5546:                             ;   in Loop: Header=BB4_4927 Depth=3
	s_or_b64 exec, exec, vcc
	v_lshrrev_b64 v[12:13], 21, v[12:13]
	v_cmp_gt_i32_e32 vcc, 32, v22
	v_cndmask_b32_e32 v13, 0, v13, vcc
	v_cndmask_b32_e32 v12, 3, v12, vcc
	v_cmp_eq_u64_e64 s[30:31], 0, v[12:13]
	v_min_i32_e32 v13, 31, v22
	v_cmp_eq_u32_e32 vcc, 0, v22
	v_lshlrev_b32_e32 v13, 2, v13
	v_and_or_b32 v12, v12, 3, v13
	s_and_b64 vcc, vcc, s[30:31]
	v_cndmask_b32_e64 v12, v12, 0, vcc
	v_or_b32_e32 v37, v12, v9
.LBB4_5547:                             ;   in Loop: Header=BB4_4927 Depth=3
	s_or_b64 exec, exec, s[74:75]
.LBB4_5548:                             ;   in Loop: Header=BB4_4927 Depth=3
	s_or_b64 exec, exec, s[72:73]
                                        ; implicit-def: $vgpr22
                                        ; implicit-def: $vgpr12_vgpr13
.LBB4_5549:                             ;   in Loop: Header=BB4_4927 Depth=3
	s_andn2_saveexec_b64 s[30:31], s[34:35]
; %bb.5550:                             ;   in Loop: Header=BB4_4927 Depth=3
	v_or_b32_sdwa v9, v22, s39 dst_sel:DWORD dst_unused:UNUSED_PAD src0_sel:BYTE_3 src1_sel:DWORD
	v_cmp_eq_u64_e32 vcc, 0, v[12:13]
	v_cndmask_b32_e32 v37, v9, v37, vcc
; %bb.5551:                             ;   in Loop: Header=BB4_4927 Depth=3
	s_or_b64 exec, exec, s[30:31]
	v_lshrrev_b16_e32 v22, 8, v42
	v_lshrrev_b16_e32 v12, 8, v8
	v_cmp_ne_u16_e64 s[30:31], 0, v22
	s_and_b64 vcc, exec, s[70:71]
	s_cbranch_vccz .LBB4_5569
; %bb.5552:                             ;   in Loop: Header=BB4_4927 Depth=3
	v_mov_b32_e32 v13, 0
	v_mov_b32_e32 v9, 0
	s_and_saveexec_b64 s[34:35], s[30:31]
	s_cbranch_execz .LBB4_5560
; %bb.5553:                             ;   in Loop: Header=BB4_4927 Depth=3
	v_cmp_ne_u16_e32 vcc, s97, v22
	v_bfrev_b32_e32 v9, 1
	s_and_saveexec_b64 s[72:73], vcc
	s_cbranch_execz .LBB4_5559
; %bb.5554:                             ;   in Loop: Header=BB4_4927 Depth=3
	v_and_b32_e32 v9, 0x7c, v22
	v_and_b32_e32 v54, 3, v22
	v_cmp_ne_u32_e32 vcc, s95, v9
                                        ; implicit-def: $vgpr9
	s_and_saveexec_b64 s[74:75], vcc
	s_xor_b64 s[74:75], exec, s[74:75]
	s_cbranch_execz .LBB4_5556
; %bb.5555:                             ;   in Loop: Header=BB4_4927 Depth=3
	v_ffbh_u32_e32 v32, v54
	v_min_u32_e32 v32, 32, v32
	v_mov_b32_e32 v23, v43
	v_bfe_u32 v9, v22, 2, 5
	v_subrev_u32_e32 v33, 29, v32
	v_lshlrev_b64 v[50:51], v33, v[22:23]
	v_sub_u32_e32 v23, 30, v32
	v_cmp_eq_u32_e32 vcc, 0, v9
	v_and_b32_e32 v32, 3, v50
	v_cndmask_b32_e32 v9, v9, v23, vcc
	v_bfrev_b32_e32 v33, 28
	v_cndmask_b32_e32 v23, v54, v32, vcc
	v_lshlrev_b32_e32 v32, 16, v42
	v_lshl_add_u32 v9, v9, 23, v33
	v_and_or_b32 v9, v32, s96, v9
	v_lshl_or_b32 v9, v23, 21, v9
                                        ; implicit-def: $vgpr54
.LBB4_5556:                             ;   in Loop: Header=BB4_4927 Depth=3
	s_andn2_saveexec_b64 s[74:75], s[74:75]
; %bb.5557:                             ;   in Loop: Header=BB4_4927 Depth=3
	v_cmp_lt_i16_e32 vcc, -1, v42
	v_cndmask_b32_e32 v9, v6, v1, vcc
	v_cmp_eq_u32_e32 vcc, 0, v54
	v_mov_b32_e32 v23, 0x7f800001
	v_cndmask_b32_e32 v9, v23, v9, vcc
; %bb.5558:                             ;   in Loop: Header=BB4_4927 Depth=3
	s_or_b64 exec, exec, s[74:75]
.LBB4_5559:                             ;   in Loop: Header=BB4_4927 Depth=3
	s_or_b64 exec, exec, s[72:73]
.LBB4_5560:                             ;   in Loop: Header=BB4_4927 Depth=3
	s_or_b64 exec, exec, s[34:35]
	v_cmp_ne_u16_e32 vcc, 0, v12
	s_and_saveexec_b64 s[34:35], vcc
	s_cbranch_execz .LBB4_5568
; %bb.5561:                             ;   in Loop: Header=BB4_4927 Depth=3
	v_cmp_ne_u16_e32 vcc, s97, v12
	v_bfrev_b32_e32 v13, 1
	s_and_saveexec_b64 s[72:73], vcc
	s_cbranch_execz .LBB4_5567
; %bb.5562:                             ;   in Loop: Header=BB4_4927 Depth=3
	v_and_b32_e32 v13, 0x7c, v12
	v_and_b32_e32 v23, 3, v12
	v_cmp_ne_u32_e32 vcc, s95, v13
                                        ; implicit-def: $vgpr13
	s_and_saveexec_b64 s[74:75], vcc
	s_xor_b64 s[74:75], exec, s[74:75]
	s_cbranch_execz .LBB4_5564
; %bb.5563:                             ;   in Loop: Header=BB4_4927 Depth=3
	v_ffbh_u32_e32 v33, v23
	v_min_u32_e32 v33, 32, v33
	v_mov_b32_e32 v13, v43
	v_subrev_u32_e32 v50, 29, v33
	v_bfe_u32 v32, v12, 2, 5
	v_lshlrev_b64 v[50:51], v50, v[12:13]
	v_sub_u32_e32 v13, 30, v33
	v_and_b32_e32 v33, 3, v50
	v_cmp_eq_u32_e32 vcc, 0, v32
	v_cndmask_b32_e32 v13, v32, v13, vcc
	v_cndmask_b32_e32 v23, v23, v33, vcc
	v_bfrev_b32_e32 v33, 28
	v_lshlrev_b32_e32 v32, 16, v8
	v_lshl_add_u32 v13, v13, 23, v33
	v_and_or_b32 v13, v32, s96, v13
	v_lshl_or_b32 v13, v23, 21, v13
                                        ; implicit-def: $vgpr23
.LBB4_5564:                             ;   in Loop: Header=BB4_4927 Depth=3
	s_andn2_saveexec_b64 s[74:75], s[74:75]
; %bb.5565:                             ;   in Loop: Header=BB4_4927 Depth=3
	v_cmp_lt_i16_e32 vcc, -1, v8
	v_cndmask_b32_e32 v13, v6, v1, vcc
	v_cmp_eq_u32_e32 vcc, 0, v23
	v_mov_b32_e32 v23, 0x7f800001
	v_cndmask_b32_e32 v13, v23, v13, vcc
; %bb.5566:                             ;   in Loop: Header=BB4_4927 Depth=3
	s_or_b64 exec, exec, s[74:75]
.LBB4_5567:                             ;   in Loop: Header=BB4_4927 Depth=3
	s_or_b64 exec, exec, s[72:73]
.LBB4_5568:                             ;   in Loop: Header=BB4_4927 Depth=3
	s_or_b64 exec, exec, s[34:35]
	v_max_f32_e32 v13, v13, v13
	v_max_f32_e32 v9, v9, v9
	;; [unrolled: 1-line block ×3, first 2 shown]
	s_branch .LBB4_5587
.LBB4_5569:                             ;   in Loop: Header=BB4_4927 Depth=3
                                        ; implicit-def: $vgpr9
	s_cbranch_execz .LBB4_5587
; %bb.5570:                             ;   in Loop: Header=BB4_4927 Depth=3
	v_mov_b32_e32 v13, 0
	v_mov_b32_e32 v23, 0
	s_and_saveexec_b64 s[34:35], s[30:31]
	s_cbranch_execz .LBB4_5578
; %bb.5571:                             ;   in Loop: Header=BB4_4927 Depth=3
	v_cmp_ne_u16_e32 vcc, s97, v22
	v_bfrev_b32_e32 v23, 1
	s_and_saveexec_b64 s[30:31], vcc
	s_cbranch_execz .LBB4_5577
; %bb.5572:                             ;   in Loop: Header=BB4_4927 Depth=3
	v_and_b32_e32 v23, 0x7c, v22
	v_and_b32_e32 v9, 3, v22
	v_cmp_ne_u32_e32 vcc, s95, v23
                                        ; implicit-def: $vgpr23
	s_and_saveexec_b64 s[72:73], vcc
	s_xor_b64 s[72:73], exec, s[72:73]
	s_cbranch_execz .LBB4_5574
; %bb.5573:                             ;   in Loop: Header=BB4_4927 Depth=3
	v_ffbh_u32_e32 v33, v9
	v_min_u32_e32 v33, 32, v33
	v_mov_b32_e32 v23, v43
	v_subrev_u32_e32 v50, 29, v33
	v_bfe_u32 v32, v22, 2, 5
	v_lshlrev_b64 v[22:23], v50, v[22:23]
	v_sub_u32_e32 v23, 30, v33
	v_cmp_eq_u32_e32 vcc, 0, v32
	v_and_b32_e32 v22, 3, v22
	v_cndmask_b32_e32 v23, v32, v23, vcc
	v_bfrev_b32_e32 v32, 28
	v_cndmask_b32_e32 v9, v9, v22, vcc
	v_lshlrev_b32_e32 v22, 16, v42
	v_lshl_add_u32 v23, v23, 23, v32
	v_and_or_b32 v22, v22, s96, v23
	v_lshl_or_b32 v23, v9, 21, v22
                                        ; implicit-def: $vgpr9
.LBB4_5574:                             ;   in Loop: Header=BB4_4927 Depth=3
	s_andn2_saveexec_b64 s[72:73], s[72:73]
; %bb.5575:                             ;   in Loop: Header=BB4_4927 Depth=3
	v_cmp_lt_i16_e32 vcc, -1, v42
	v_cndmask_b32_e32 v22, v6, v1, vcc
	v_cmp_eq_u32_e32 vcc, 0, v9
	v_mov_b32_e32 v9, 0x7f800001
	v_cndmask_b32_e32 v23, v9, v22, vcc
; %bb.5576:                             ;   in Loop: Header=BB4_4927 Depth=3
	s_or_b64 exec, exec, s[72:73]
.LBB4_5577:                             ;   in Loop: Header=BB4_4927 Depth=3
	s_or_b64 exec, exec, s[30:31]
.LBB4_5578:                             ;   in Loop: Header=BB4_4927 Depth=3
	s_or_b64 exec, exec, s[34:35]
	v_cmp_ne_u16_e32 vcc, 0, v12
	s_and_saveexec_b64 s[30:31], vcc
	s_cbranch_execz .LBB4_5586
; %bb.5579:                             ;   in Loop: Header=BB4_4927 Depth=3
	v_cmp_ne_u16_e32 vcc, s97, v12
	v_bfrev_b32_e32 v13, 1
	s_and_saveexec_b64 s[34:35], vcc
	s_cbranch_execz .LBB4_5585
; %bb.5580:                             ;   in Loop: Header=BB4_4927 Depth=3
	v_and_b32_e32 v9, 0x7c, v12
	v_and_b32_e32 v22, 3, v12
	v_cmp_ne_u32_e32 vcc, s95, v9
                                        ; implicit-def: $vgpr13
	s_and_saveexec_b64 s[72:73], vcc
	s_xor_b64 s[72:73], exec, s[72:73]
	s_cbranch_execz .LBB4_5582
; %bb.5581:                             ;   in Loop: Header=BB4_4927 Depth=3
	v_ffbh_u32_e32 v32, v22
	v_min_u32_e32 v32, 32, v32
	v_mov_b32_e32 v13, v43
	v_subrev_u32_e32 v33, 29, v32
	v_bfe_u32 v9, v12, 2, 5
	v_lshlrev_b64 v[12:13], v33, v[12:13]
	v_sub_u32_e32 v13, 30, v32
	v_cmp_eq_u32_e32 vcc, 0, v9
	v_cndmask_b32_e32 v9, v9, v13, vcc
	v_bfrev_b32_e32 v13, 28
	v_and_b32_e32 v12, 3, v12
	v_lshlrev_b32_e32 v8, 16, v8
	v_lshl_add_u32 v9, v9, 23, v13
	v_cndmask_b32_e32 v12, v22, v12, vcc
	v_and_or_b32 v8, v8, s96, v9
	v_lshl_or_b32 v13, v12, 21, v8
                                        ; implicit-def: $vgpr22
                                        ; implicit-def: $vgpr8_vgpr9
.LBB4_5582:                             ;   in Loop: Header=BB4_4927 Depth=3
	s_andn2_saveexec_b64 s[72:73], s[72:73]
; %bb.5583:                             ;   in Loop: Header=BB4_4927 Depth=3
	v_cmp_lt_i16_e32 vcc, -1, v8
	v_cndmask_b32_e32 v8, v6, v1, vcc
	v_cmp_eq_u32_e32 vcc, 0, v22
	v_mov_b32_e32 v9, 0x7f800001
	v_cndmask_b32_e32 v13, v9, v8, vcc
; %bb.5584:                             ;   in Loop: Header=BB4_4927 Depth=3
	s_or_b64 exec, exec, s[72:73]
.LBB4_5585:                             ;   in Loop: Header=BB4_4927 Depth=3
	s_or_b64 exec, exec, s[34:35]
.LBB4_5586:                             ;   in Loop: Header=BB4_4927 Depth=3
	s_or_b64 exec, exec, s[30:31]
	v_max_f32_e32 v8, v13, v13
	v_max_f32_e32 v9, v23, v23
	v_min_f32_e32 v9, v9, v8
.LBB4_5587:                             ;   in Loop: Header=BB4_4927 Depth=3
	v_and_b32_sdwa v12, v9, s97 dst_sel:DWORD dst_unused:UNUSED_PAD src0_sel:BYTE_3 src1_sel:DWORD
	v_and_b32_e32 v22, 0x7f800000, v9
	v_mov_b32_e32 v23, v43
	v_and_b32_e32 v42, 0x7fffff, v9
	v_or_b32_e32 v13, 0x7b, v12
	v_cmp_ne_u64_e32 vcc, s[52:53], v[22:23]
	s_and_saveexec_b64 s[30:31], vcc
	s_xor_b64 s[34:35], exec, s[30:31]
	s_cbranch_execz .LBB4_5597
; %bb.5588:                             ;   in Loop: Header=BB4_4927 Depth=3
	v_and_b32_e32 v22, 0x7fffffff, v9
	v_mov_b32_e32 v23, v43
	v_cmp_gt_u64_e32 vcc, s[54:55], v[22:23]
	s_and_saveexec_b64 s[72:73], vcc
	s_cbranch_execz .LBB4_5596
; %bb.5589:                             ;   in Loop: Header=BB4_4927 Depth=3
	v_cmp_ne_u32_e32 vcc, 0, v9
	v_mov_b32_e32 v13, 0
	s_and_saveexec_b64 s[74:75], vcc
	s_cbranch_execz .LBB4_5595
; %bb.5590:                             ;   in Loop: Header=BB4_4927 Depth=3
	v_bfe_u32 v8, v9, 23, 8
	v_cmp_eq_u32_e32 vcc, 0, v8
	v_add_u32_e32 v9, 0xffffff81, v8
	v_cmp_gt_u32_e64 s[30:31], s38, v8
	v_sub_u32_e32 v8, 0x71, v8
	v_mov_b32_e32 v22, 0xffffff82
	v_cndmask_b32_e64 v8, 0, v8, s[30:31]
	v_cndmask_b32_e32 v32, v9, v22, vcc
	v_mov_b32_e32 v9, 0x70
	v_cndmask_b32_e32 v33, v8, v9, vcc
	v_add_u32_e32 v8, 21, v33
	v_or_b32_e32 v13, 0x800000, v42
	v_lshlrev_b64 v[8:9], v8, -1
	v_cndmask_b32_e32 v42, v13, v42, vcc
	v_not_b32_e32 v9, v9
	v_not_b32_e32 v8, v8
	v_add_u32_e32 v13, 20, v33
	v_and_b32_e32 v9, 0, v9
	v_and_b32_e32 v8, v42, v8
	v_lshlrev_b64 v[22:23], v13, 1
	v_cmp_eq_u64_e32 vcc, v[8:9], v[22:23]
	v_lshrrev_b64 v[8:9], v33, v[42:43]
	v_lshrrev_b32_e32 v13, 23, v8
	v_add3_u32 v23, v33, v32, v13
	v_bfe_u32 v13, v8, 21, 1
	v_add_u32_e32 v13, -1, v13
	v_cndmask_b32_e32 v13, 0, v13, vcc
	v_add_u32_e32 v13, v13, v8
	v_and_b32_e32 v13, 0x1fffff, v13
	v_add_co_u32_e32 v8, vcc, v13, v8
	v_add_u32_e32 v22, 14, v23
	v_addc_co_u32_e32 v9, vcc, 0, v9, vcc
	v_cmp_ne_u32_e32 vcc, 0, v22
                                        ; implicit-def: $vgpr13
	s_and_saveexec_b64 s[30:31], vcc
	s_xor_b64 s[30:31], exec, s[30:31]
; %bb.5591:                             ;   in Loop: Header=BB4_4927 Depth=3
	v_add_u32_e32 v13, 15, v23
	v_cmp_lt_u64_e32 vcc, s[56:57], v[8:9]
	v_cndmask_b32_e32 v13, v22, v13, vcc
	v_cndmask_b32_e64 v22, 0, 1, vcc
	v_lshrrev_b64 v[8:9], v22, v[8:9]
; %bb.5592:                             ;   in Loop: Header=BB4_4927 Depth=3
	s_andn2_saveexec_b64 vcc, s[30:31]
; %bb.5593:                             ;   in Loop: Header=BB4_4927 Depth=3
	v_bfe_u32 v13, v8, 23, 1
; %bb.5594:                             ;   in Loop: Header=BB4_4927 Depth=3
	s_or_b64 exec, exec, vcc
	v_lshrrev_b64 v[8:9], 21, v[8:9]
	v_cmp_gt_i32_e32 vcc, 32, v13
	v_cndmask_b32_e32 v9, 0, v9, vcc
	v_cndmask_b32_e32 v8, 3, v8, vcc
	v_cmp_eq_u64_e64 s[30:31], 0, v[8:9]
	v_min_i32_e32 v9, 31, v13
	v_cmp_eq_u32_e32 vcc, 0, v13
	v_lshlrev_b32_e32 v9, 2, v9
	v_and_or_b32 v8, v8, 3, v9
	s_and_b64 vcc, vcc, s[30:31]
	v_cndmask_b32_e64 v8, v8, 0, vcc
	v_or_b32_e32 v13, v8, v12
.LBB4_5595:                             ;   in Loop: Header=BB4_4927 Depth=3
	s_or_b64 exec, exec, s[74:75]
.LBB4_5596:                             ;   in Loop: Header=BB4_4927 Depth=3
	s_or_b64 exec, exec, s[72:73]
                                        ; implicit-def: $vgpr9
.LBB4_5597:                             ;   in Loop: Header=BB4_4927 Depth=3
	s_andn2_saveexec_b64 s[30:31], s[34:35]
; %bb.5598:                             ;   in Loop: Header=BB4_4927 Depth=3
	v_or_b32_sdwa v8, v9, s39 dst_sel:DWORD dst_unused:UNUSED_PAD src0_sel:BYTE_3 src1_sel:DWORD
	v_cmp_eq_u64_e32 vcc, 0, v[42:43]
	v_cndmask_b32_e32 v13, v8, v13, vcc
; %bb.5599:                             ;   in Loop: Header=BB4_4927 Depth=3
	s_or_b64 exec, exec, s[30:31]
	v_lshrrev_b32_e32 v12, 16, v15
	v_lshrrev_b32_e32 v8, 16, v11
	v_cmp_ne_u16_sdwa s[30:31], v12, v43 src0_sel:BYTE_0 src1_sel:DWORD
	s_and_b64 vcc, exec, s[70:71]
	s_cbranch_vccz .LBB4_5617
; %bb.5600:                             ;   in Loop: Header=BB4_4927 Depth=3
	v_mov_b32_e32 v22, 0
	v_mov_b32_e32 v9, 0
	s_and_saveexec_b64 s[34:35], s[30:31]
	s_cbranch_execz .LBB4_5608
; %bb.5601:                             ;   in Loop: Header=BB4_4927 Depth=3
	v_cmp_ne_u16_sdwa vcc, v12, s97 src0_sel:BYTE_0 src1_sel:DWORD
	v_bfrev_b32_e32 v9, 1
	s_and_saveexec_b64 s[72:73], vcc
	s_cbranch_execz .LBB4_5607
; %bb.5602:                             ;   in Loop: Header=BB4_4927 Depth=3
	v_and_b32_e32 v9, 0x7c0000, v15
	v_bfe_u32 v23, v15, 16, 2
	v_cmp_ne_u32_e32 vcc, s36, v9
                                        ; implicit-def: $vgpr9
	s_and_saveexec_b64 s[74:75], vcc
	s_xor_b64 s[74:75], exec, s[74:75]
	s_cbranch_execz .LBB4_5604
; %bb.5603:                             ;   in Loop: Header=BB4_4927 Depth=3
	v_ffbh_u32_e32 v32, v23
	v_min_u32_e32 v32, 32, v32
	v_subrev_u32_e32 v33, 29, v32
	v_bfe_u32 v9, v15, 18, 5
	v_lshlrev_b64 v[50:51], v33, v[12:13]
	v_sub_u32_e32 v32, 30, v32
	v_and_b32_e32 v33, 3, v50
	v_cmp_eq_u32_e32 vcc, 0, v9
	v_cndmask_b32_e32 v9, v9, v32, vcc
	v_cndmask_b32_e32 v23, v23, v33, vcc
	v_bfrev_b32_e32 v33, 28
	v_lshlrev_b32_e32 v32, 24, v12
	v_lshl_add_u32 v9, v9, 23, v33
	v_and_or_b32 v9, v32, s96, v9
	v_lshl_or_b32 v9, v23, 21, v9
                                        ; implicit-def: $vgpr23
.LBB4_5604:                             ;   in Loop: Header=BB4_4927 Depth=3
	s_andn2_saveexec_b64 s[74:75], s[74:75]
; %bb.5605:                             ;   in Loop: Header=BB4_4927 Depth=3
	v_mov_b32_e32 v9, -1
	v_cmp_gt_i16_sdwa vcc, sext(v12), v9 src0_sel:BYTE_0 src1_sel:DWORD
	v_cndmask_b32_e32 v9, v6, v1, vcc
	v_cmp_eq_u32_e32 vcc, 0, v23
	v_mov_b32_e32 v23, 0x7f800001
	v_cndmask_b32_e32 v9, v23, v9, vcc
; %bb.5606:                             ;   in Loop: Header=BB4_4927 Depth=3
	s_or_b64 exec, exec, s[74:75]
.LBB4_5607:                             ;   in Loop: Header=BB4_4927 Depth=3
	s_or_b64 exec, exec, s[72:73]
.LBB4_5608:                             ;   in Loop: Header=BB4_4927 Depth=3
	s_or_b64 exec, exec, s[34:35]
	v_cmp_ne_u16_sdwa vcc, v8, v43 src0_sel:BYTE_0 src1_sel:DWORD
	s_and_saveexec_b64 s[34:35], vcc
	s_cbranch_execz .LBB4_5616
; %bb.5609:                             ;   in Loop: Header=BB4_4927 Depth=3
	v_cmp_ne_u16_sdwa vcc, v8, s97 src0_sel:BYTE_0 src1_sel:DWORD
	v_bfrev_b32_e32 v22, 1
	s_and_saveexec_b64 s[72:73], vcc
	s_cbranch_execz .LBB4_5615
; %bb.5610:                             ;   in Loop: Header=BB4_4927 Depth=3
	v_and_b32_e32 v22, 0x7c0000, v11
	v_bfe_u32 v23, v11, 16, 2
	v_cmp_ne_u32_e32 vcc, s36, v22
                                        ; implicit-def: $vgpr22
	s_and_saveexec_b64 s[74:75], vcc
	s_xor_b64 s[74:75], exec, s[74:75]
	s_cbranch_execz .LBB4_5612
; %bb.5611:                             ;   in Loop: Header=BB4_4927 Depth=3
	v_ffbh_u32_e32 v32, v23
	v_min_u32_e32 v32, 32, v32
	v_subrev_u32_e32 v33, 29, v32
	v_bfe_u32 v22, v11, 18, 5
	v_lshlrev_b64 v[50:51], v33, v[8:9]
	v_sub_u32_e32 v32, 30, v32
	v_and_b32_e32 v33, 3, v50
	v_cmp_eq_u32_e32 vcc, 0, v22
	v_cndmask_b32_e32 v22, v22, v32, vcc
	v_cndmask_b32_e32 v23, v23, v33, vcc
	v_bfrev_b32_e32 v33, 28
	v_lshlrev_b32_e32 v32, 24, v8
	v_lshl_add_u32 v22, v22, 23, v33
	v_and_or_b32 v22, v32, s96, v22
	v_lshl_or_b32 v22, v23, 21, v22
                                        ; implicit-def: $vgpr23
.LBB4_5612:                             ;   in Loop: Header=BB4_4927 Depth=3
	s_andn2_saveexec_b64 s[74:75], s[74:75]
; %bb.5613:                             ;   in Loop: Header=BB4_4927 Depth=3
	v_mov_b32_e32 v22, -1
	v_cmp_gt_i16_sdwa vcc, sext(v8), v22 src0_sel:BYTE_0 src1_sel:DWORD
	v_cndmask_b32_e32 v22, v6, v1, vcc
	v_cmp_eq_u32_e32 vcc, 0, v23
	v_mov_b32_e32 v23, 0x7f800001
	v_cndmask_b32_e32 v22, v23, v22, vcc
; %bb.5614:                             ;   in Loop: Header=BB4_4927 Depth=3
	s_or_b64 exec, exec, s[74:75]
.LBB4_5615:                             ;   in Loop: Header=BB4_4927 Depth=3
	s_or_b64 exec, exec, s[72:73]
.LBB4_5616:                             ;   in Loop: Header=BB4_4927 Depth=3
	s_or_b64 exec, exec, s[34:35]
	v_max_f32_e32 v22, v22, v22
	v_max_f32_e32 v9, v9, v9
	;; [unrolled: 1-line block ×3, first 2 shown]
	s_branch .LBB4_5635
.LBB4_5617:                             ;   in Loop: Header=BB4_4927 Depth=3
                                        ; implicit-def: $vgpr9
	s_cbranch_execz .LBB4_5635
; %bb.5618:                             ;   in Loop: Header=BB4_4927 Depth=3
	v_mov_b32_e32 v22, 0
	v_mov_b32_e32 v9, 0
	s_and_saveexec_b64 s[34:35], s[30:31]
	s_cbranch_execz .LBB4_5626
; %bb.5619:                             ;   in Loop: Header=BB4_4927 Depth=3
	v_cmp_ne_u16_sdwa vcc, v12, s97 src0_sel:BYTE_0 src1_sel:DWORD
	v_bfrev_b32_e32 v9, 1
	s_and_saveexec_b64 s[30:31], vcc
	s_cbranch_execz .LBB4_5625
; %bb.5620:                             ;   in Loop: Header=BB4_4927 Depth=3
	v_and_b32_e32 v9, 0x7c0000, v15
	v_bfe_u32 v23, v15, 16, 2
	v_cmp_ne_u32_e32 vcc, s36, v9
                                        ; implicit-def: $vgpr9
	s_and_saveexec_b64 s[72:73], vcc
	s_xor_b64 s[72:73], exec, s[72:73]
	s_cbranch_execz .LBB4_5622
; %bb.5621:                             ;   in Loop: Header=BB4_4927 Depth=3
	v_ffbh_u32_e32 v32, v23
	v_bfe_u32 v9, v15, 18, 5
	v_min_u32_e32 v32, 32, v32
	v_subrev_u32_e32 v33, 29, v32
	v_sub_u32_e32 v32, 30, v32
	v_cmp_eq_u32_e32 vcc, 0, v9
	v_lshlrev_b64 v[50:51], v33, v[12:13]
	v_cndmask_b32_e32 v9, v9, v32, vcc
	v_bfrev_b32_e32 v32, 28
	v_and_b32_e32 v33, 3, v50
	v_lshlrev_b32_e32 v12, 24, v12
	v_lshl_add_u32 v9, v9, 23, v32
	v_cndmask_b32_e32 v23, v23, v33, vcc
	v_and_or_b32 v9, v12, s96, v9
	v_lshl_or_b32 v9, v23, 21, v9
                                        ; implicit-def: $vgpr23
                                        ; implicit-def: $vgpr12
.LBB4_5622:                             ;   in Loop: Header=BB4_4927 Depth=3
	s_andn2_saveexec_b64 s[72:73], s[72:73]
; %bb.5623:                             ;   in Loop: Header=BB4_4927 Depth=3
	v_mov_b32_e32 v9, -1
	v_cmp_gt_i16_sdwa vcc, sext(v12), v9 src0_sel:BYTE_0 src1_sel:DWORD
	v_cndmask_b32_e32 v9, v6, v1, vcc
	v_cmp_eq_u32_e32 vcc, 0, v23
	v_mov_b32_e32 v12, 0x7f800001
	v_cndmask_b32_e32 v9, v12, v9, vcc
; %bb.5624:                             ;   in Loop: Header=BB4_4927 Depth=3
	s_or_b64 exec, exec, s[72:73]
.LBB4_5625:                             ;   in Loop: Header=BB4_4927 Depth=3
	s_or_b64 exec, exec, s[30:31]
.LBB4_5626:                             ;   in Loop: Header=BB4_4927 Depth=3
	s_or_b64 exec, exec, s[34:35]
	v_cmp_ne_u16_sdwa vcc, v8, v43 src0_sel:BYTE_0 src1_sel:DWORD
	s_and_saveexec_b64 s[30:31], vcc
	s_cbranch_execz .LBB4_5634
; %bb.5627:                             ;   in Loop: Header=BB4_4927 Depth=3
	v_cmp_ne_u16_sdwa vcc, v8, s97 src0_sel:BYTE_0 src1_sel:DWORD
	v_bfrev_b32_e32 v22, 1
	s_and_saveexec_b64 s[34:35], vcc
	s_cbranch_execz .LBB4_5633
; %bb.5628:                             ;   in Loop: Header=BB4_4927 Depth=3
	v_and_b32_e32 v22, 0x7c0000, v11
	v_bfe_u32 v12, v11, 16, 2
	v_cmp_ne_u32_e32 vcc, s36, v22
                                        ; implicit-def: $vgpr22
	s_and_saveexec_b64 s[72:73], vcc
	s_xor_b64 s[72:73], exec, s[72:73]
	s_cbranch_execz .LBB4_5630
; %bb.5629:                             ;   in Loop: Header=BB4_4927 Depth=3
	v_ffbh_u32_e32 v22, v12
	v_min_u32_e32 v33, 32, v22
	v_subrev_u32_e32 v22, 29, v33
	v_bfe_u32 v32, v11, 18, 5
	v_lshlrev_b64 v[22:23], v22, v[8:9]
	v_sub_u32_e32 v23, 30, v33
	v_and_b32_e32 v22, 3, v22
	v_cmp_eq_u32_e32 vcc, 0, v32
	v_cndmask_b32_e32 v23, v32, v23, vcc
	v_cndmask_b32_e32 v12, v12, v22, vcc
	v_bfrev_b32_e32 v22, 28
	v_lshlrev_b32_e32 v8, 24, v8
	v_lshl_add_u32 v22, v23, 23, v22
	v_and_or_b32 v8, v8, s96, v22
	v_lshl_or_b32 v22, v12, 21, v8
                                        ; implicit-def: $vgpr12
                                        ; implicit-def: $vgpr8
.LBB4_5630:                             ;   in Loop: Header=BB4_4927 Depth=3
	s_andn2_saveexec_b64 s[72:73], s[72:73]
; %bb.5631:                             ;   in Loop: Header=BB4_4927 Depth=3
	v_mov_b32_e32 v22, -1
	v_cmp_gt_i16_sdwa vcc, sext(v8), v22 src0_sel:BYTE_0 src1_sel:DWORD
	v_cndmask_b32_e32 v8, v6, v1, vcc
	v_cmp_eq_u32_e32 vcc, 0, v12
	v_mov_b32_e32 v12, 0x7f800001
	v_cndmask_b32_e32 v22, v12, v8, vcc
; %bb.5632:                             ;   in Loop: Header=BB4_4927 Depth=3
	s_or_b64 exec, exec, s[72:73]
.LBB4_5633:                             ;   in Loop: Header=BB4_4927 Depth=3
	s_or_b64 exec, exec, s[34:35]
.LBB4_5634:                             ;   in Loop: Header=BB4_4927 Depth=3
	s_or_b64 exec, exec, s[30:31]
	v_max_f32_e32 v8, v22, v22
	v_max_f32_e32 v9, v9, v9
	v_min_f32_e32 v9, v9, v8
.LBB4_5635:                             ;   in Loop: Header=BB4_4927 Depth=3
	v_and_b32_sdwa v12, v9, s97 dst_sel:DWORD dst_unused:UNUSED_PAD src0_sel:BYTE_3 src1_sel:DWORD
	v_and_b32_e32 v50, 0x7f800000, v9
	v_mov_b32_e32 v51, v43
	v_and_b32_e32 v42, 0x7fffff, v9
	v_or_b32_e32 v22, 0x7b, v12
	v_cmp_ne_u64_e32 vcc, s[52:53], v[50:51]
	s_and_saveexec_b64 s[30:31], vcc
	s_xor_b64 s[34:35], exec, s[30:31]
	s_cbranch_execz .LBB4_5645
; %bb.5636:                             ;   in Loop: Header=BB4_4927 Depth=3
	v_and_b32_e32 v50, 0x7fffffff, v9
	v_mov_b32_e32 v51, v43
	v_cmp_gt_u64_e32 vcc, s[54:55], v[50:51]
	s_and_saveexec_b64 s[72:73], vcc
	s_cbranch_execz .LBB4_5644
; %bb.5637:                             ;   in Loop: Header=BB4_4927 Depth=3
	v_cmp_ne_u32_e32 vcc, 0, v9
	v_mov_b32_e32 v22, 0
	s_and_saveexec_b64 s[74:75], vcc
	s_cbranch_execz .LBB4_5643
; %bb.5638:                             ;   in Loop: Header=BB4_4927 Depth=3
	v_bfe_u32 v8, v9, 23, 8
	v_cmp_eq_u32_e32 vcc, 0, v8
	v_add_u32_e32 v9, 0xffffff81, v8
	v_cmp_gt_u32_e64 s[30:31], s38, v8
	v_sub_u32_e32 v8, 0x71, v8
	v_mov_b32_e32 v23, 0xffffff82
	v_cndmask_b32_e64 v8, 0, v8, s[30:31]
	v_cndmask_b32_e32 v32, v9, v23, vcc
	v_mov_b32_e32 v9, 0x70
	v_cndmask_b32_e32 v33, v8, v9, vcc
	v_add_u32_e32 v8, 21, v33
	v_or_b32_e32 v22, 0x800000, v42
	v_lshlrev_b64 v[8:9], v8, -1
	v_cndmask_b32_e32 v42, v22, v42, vcc
	v_not_b32_e32 v9, v9
	v_not_b32_e32 v8, v8
	v_add_u32_e32 v22, 20, v33
	v_and_b32_e32 v9, 0, v9
	v_and_b32_e32 v8, v42, v8
	v_lshlrev_b64 v[22:23], v22, 1
	v_cmp_eq_u64_e32 vcc, v[8:9], v[22:23]
	v_lshrrev_b64 v[8:9], v33, v[42:43]
	v_lshrrev_b32_e32 v22, 23, v8
	v_add3_u32 v50, v33, v32, v22
	v_bfe_u32 v22, v8, 21, 1
	v_add_u32_e32 v22, -1, v22
	v_cndmask_b32_e32 v22, 0, v22, vcc
	v_add_u32_e32 v22, v22, v8
	v_and_b32_e32 v22, 0x1fffff, v22
	v_add_co_u32_e32 v8, vcc, v22, v8
	v_add_u32_e32 v23, 14, v50
	v_addc_co_u32_e32 v9, vcc, 0, v9, vcc
	v_cmp_ne_u32_e32 vcc, 0, v23
                                        ; implicit-def: $vgpr22
	s_and_saveexec_b64 s[30:31], vcc
	s_xor_b64 s[30:31], exec, s[30:31]
; %bb.5639:                             ;   in Loop: Header=BB4_4927 Depth=3
	v_add_u32_e32 v22, 15, v50
	v_cmp_lt_u64_e32 vcc, s[56:57], v[8:9]
	v_cndmask_b32_e32 v22, v23, v22, vcc
	v_cndmask_b32_e64 v23, 0, 1, vcc
	v_lshrrev_b64 v[8:9], v23, v[8:9]
; %bb.5640:                             ;   in Loop: Header=BB4_4927 Depth=3
	s_andn2_saveexec_b64 vcc, s[30:31]
; %bb.5641:                             ;   in Loop: Header=BB4_4927 Depth=3
	v_bfe_u32 v22, v8, 23, 1
; %bb.5642:                             ;   in Loop: Header=BB4_4927 Depth=3
	s_or_b64 exec, exec, vcc
	v_lshrrev_b64 v[8:9], 21, v[8:9]
	v_cmp_gt_i32_e32 vcc, 32, v22
	v_cndmask_b32_e32 v9, 0, v9, vcc
	v_cndmask_b32_e32 v8, 3, v8, vcc
	v_cmp_eq_u64_e64 s[30:31], 0, v[8:9]
	v_min_i32_e32 v9, 31, v22
	v_cmp_eq_u32_e32 vcc, 0, v22
	v_lshlrev_b32_e32 v9, 2, v9
	v_and_or_b32 v8, v8, 3, v9
	s_and_b64 vcc, vcc, s[30:31]
	v_cndmask_b32_e64 v8, v8, 0, vcc
	v_or_b32_e32 v22, v8, v12
.LBB4_5643:                             ;   in Loop: Header=BB4_4927 Depth=3
	s_or_b64 exec, exec, s[74:75]
.LBB4_5644:                             ;   in Loop: Header=BB4_4927 Depth=3
	s_or_b64 exec, exec, s[72:73]
                                        ; implicit-def: $vgpr9
.LBB4_5645:                             ;   in Loop: Header=BB4_4927 Depth=3
	s_andn2_saveexec_b64 s[30:31], s[34:35]
; %bb.5646:                             ;   in Loop: Header=BB4_4927 Depth=3
	v_or_b32_sdwa v8, v9, s39 dst_sel:DWORD dst_unused:UNUSED_PAD src0_sel:BYTE_3 src1_sel:DWORD
	v_cmp_eq_u64_e32 vcc, 0, v[42:43]
	v_cndmask_b32_e32 v22, v8, v22, vcc
; %bb.5647:                             ;   in Loop: Header=BB4_4927 Depth=3
	s_or_b64 exec, exec, s[30:31]
	v_lshrrev_b32_e32 v12, 24, v15
	v_lshrrev_b32_e32 v8, 24, v11
	v_cmp_lt_u64_e64 s[30:31], s[42:43], v[14:15]
	s_and_b64 vcc, exec, s[70:71]
	s_cbranch_vccz .LBB4_5665
; %bb.5648:                             ;   in Loop: Header=BB4_4927 Depth=3
	v_mov_b32_e32 v23, 0
	v_mov_b32_e32 v9, 0
	s_and_saveexec_b64 s[34:35], s[30:31]
	s_cbranch_execz .LBB4_5656
; %bb.5649:                             ;   in Loop: Header=BB4_4927 Depth=3
	v_cmp_ne_u32_e32 vcc, s97, v12
	v_bfrev_b32_e32 v9, 1
	s_and_saveexec_b64 s[72:73], vcc
	s_cbranch_execz .LBB4_5655
; %bb.5650:                             ;   in Loop: Header=BB4_4927 Depth=3
	v_and_b32_e32 v9, 0x7c000000, v15
	v_bfe_u32 v54, v15, 24, 2
	v_cmp_ne_u32_e32 vcc, s37, v9
                                        ; implicit-def: $vgpr9
	s_and_saveexec_b64 s[74:75], vcc
	s_xor_b64 s[74:75], exec, s[74:75]
	s_cbranch_execz .LBB4_5652
; %bb.5651:                             ;   in Loop: Header=BB4_4927 Depth=3
	v_ffbh_u32_e32 v32, v54
	v_min_u32_e32 v32, 32, v32
	v_subrev_u32_e32 v33, 29, v32
	v_bfe_u32 v9, v15, 26, 5
	v_lshlrev_b64 v[50:51], v33, v[12:13]
	v_sub_u32_e32 v32, 30, v32
	v_and_b32_e32 v33, 3, v50
	v_cmp_eq_u32_e32 vcc, 0, v9
	v_cndmask_b32_e32 v9, v9, v32, vcc
	v_cndmask_b32_e32 v32, v54, v33, vcc
	v_bfrev_b32_e32 v33, 28
	v_lshl_add_u32 v9, v9, 23, v33
	v_and_or_b32 v9, v15, s96, v9
	v_lshl_or_b32 v9, v32, 21, v9
                                        ; implicit-def: $vgpr54
.LBB4_5652:                             ;   in Loop: Header=BB4_4927 Depth=3
	s_andn2_saveexec_b64 s[74:75], s[74:75]
; %bb.5653:                             ;   in Loop: Header=BB4_4927 Depth=3
	v_cmp_lt_i64_e32 vcc, -1, v[14:15]
	v_cndmask_b32_e32 v9, v6, v1, vcc
	v_cmp_eq_u32_e32 vcc, 0, v54
	v_mov_b32_e32 v32, 0x7f800001
	v_cndmask_b32_e32 v9, v32, v9, vcc
; %bb.5654:                             ;   in Loop: Header=BB4_4927 Depth=3
	s_or_b64 exec, exec, s[74:75]
.LBB4_5655:                             ;   in Loop: Header=BB4_4927 Depth=3
	s_or_b64 exec, exec, s[72:73]
.LBB4_5656:                             ;   in Loop: Header=BB4_4927 Depth=3
	s_or_b64 exec, exec, s[34:35]
	v_cmp_lt_u64_e32 vcc, s[42:43], v[10:11]
	s_and_saveexec_b64 s[34:35], vcc
	s_cbranch_execz .LBB4_5664
; %bb.5657:                             ;   in Loop: Header=BB4_4927 Depth=3
	v_cmp_ne_u32_e32 vcc, s97, v8
	v_bfrev_b32_e32 v23, 1
	s_and_saveexec_b64 s[72:73], vcc
	s_cbranch_execz .LBB4_5663
; %bb.5658:                             ;   in Loop: Header=BB4_4927 Depth=3
	v_and_b32_e32 v23, 0x7c000000, v11
	v_bfe_u32 v54, v11, 24, 2
	v_cmp_ne_u32_e32 vcc, s37, v23
                                        ; implicit-def: $vgpr23
	s_and_saveexec_b64 s[74:75], vcc
	s_xor_b64 s[74:75], exec, s[74:75]
	s_cbranch_execz .LBB4_5660
; %bb.5659:                             ;   in Loop: Header=BB4_4927 Depth=3
	v_ffbh_u32_e32 v32, v54
	v_min_u32_e32 v32, 32, v32
	v_subrev_u32_e32 v33, 29, v32
	v_bfe_u32 v23, v11, 26, 5
	v_lshlrev_b64 v[50:51], v33, v[8:9]
	v_sub_u32_e32 v32, 30, v32
	v_and_b32_e32 v33, 3, v50
	v_cmp_eq_u32_e32 vcc, 0, v23
	v_cndmask_b32_e32 v23, v23, v32, vcc
	v_cndmask_b32_e32 v32, v54, v33, vcc
	v_bfrev_b32_e32 v33, 28
	v_lshl_add_u32 v23, v23, 23, v33
	v_and_or_b32 v23, v11, s96, v23
	v_lshl_or_b32 v23, v32, 21, v23
                                        ; implicit-def: $vgpr54
.LBB4_5660:                             ;   in Loop: Header=BB4_4927 Depth=3
	s_andn2_saveexec_b64 s[74:75], s[74:75]
; %bb.5661:                             ;   in Loop: Header=BB4_4927 Depth=3
	v_cmp_lt_i64_e32 vcc, -1, v[10:11]
	v_cndmask_b32_e32 v23, v6, v1, vcc
	v_cmp_eq_u32_e32 vcc, 0, v54
	v_mov_b32_e32 v32, 0x7f800001
	v_cndmask_b32_e32 v23, v32, v23, vcc
; %bb.5662:                             ;   in Loop: Header=BB4_4927 Depth=3
	s_or_b64 exec, exec, s[74:75]
.LBB4_5663:                             ;   in Loop: Header=BB4_4927 Depth=3
	s_or_b64 exec, exec, s[72:73]
.LBB4_5664:                             ;   in Loop: Header=BB4_4927 Depth=3
	s_or_b64 exec, exec, s[34:35]
	v_max_f32_e32 v23, v23, v23
	v_max_f32_e32 v9, v9, v9
	;; [unrolled: 1-line block ×3, first 2 shown]
	s_branch .LBB4_5683
.LBB4_5665:                             ;   in Loop: Header=BB4_4927 Depth=3
                                        ; implicit-def: $vgpr9
	s_cbranch_execz .LBB4_5683
; %bb.5666:                             ;   in Loop: Header=BB4_4927 Depth=3
	v_mov_b32_e32 v23, 0
	v_mov_b32_e32 v9, 0
	s_and_saveexec_b64 s[34:35], s[30:31]
	s_cbranch_execz .LBB4_5674
; %bb.5667:                             ;   in Loop: Header=BB4_4927 Depth=3
	v_cmp_ne_u32_e32 vcc, s97, v12
	v_bfrev_b32_e32 v9, 1
	s_and_saveexec_b64 s[30:31], vcc
	s_cbranch_execz .LBB4_5673
; %bb.5668:                             ;   in Loop: Header=BB4_4927 Depth=3
	v_and_b32_e32 v9, 0x7c000000, v15
	v_bfe_u32 v54, v15, 24, 2
	v_cmp_ne_u32_e32 vcc, s37, v9
                                        ; implicit-def: $vgpr9
	s_and_saveexec_b64 s[72:73], vcc
	s_xor_b64 s[72:73], exec, s[72:73]
	s_cbranch_execz .LBB4_5670
; %bb.5669:                             ;   in Loop: Header=BB4_4927 Depth=3
	v_ffbh_u32_e32 v14, v54
	v_min_u32_e32 v14, 32, v14
	v_subrev_u32_e32 v32, 29, v14
	v_bfe_u32 v9, v15, 26, 5
	v_lshlrev_b64 v[50:51], v32, v[12:13]
	v_sub_u32_e32 v12, 30, v14
	v_and_b32_e32 v14, 3, v50
	v_cmp_eq_u32_e32 vcc, 0, v9
	v_cndmask_b32_e32 v9, v9, v12, vcc
	v_cndmask_b32_e32 v12, v54, v14, vcc
	v_bfrev_b32_e32 v14, 28
	v_lshl_add_u32 v9, v9, 23, v14
	v_and_or_b32 v9, v15, s96, v9
	v_lshl_or_b32 v9, v12, 21, v9
                                        ; implicit-def: $vgpr54
                                        ; implicit-def: $vgpr14_vgpr15
.LBB4_5670:                             ;   in Loop: Header=BB4_4927 Depth=3
	s_andn2_saveexec_b64 s[72:73], s[72:73]
; %bb.5671:                             ;   in Loop: Header=BB4_4927 Depth=3
	v_cmp_lt_i64_e32 vcc, -1, v[14:15]
	v_cndmask_b32_e32 v9, v6, v1, vcc
	v_cmp_eq_u32_e32 vcc, 0, v54
	v_mov_b32_e32 v12, 0x7f800001
	v_cndmask_b32_e32 v9, v12, v9, vcc
; %bb.5672:                             ;   in Loop: Header=BB4_4927 Depth=3
	s_or_b64 exec, exec, s[72:73]
.LBB4_5673:                             ;   in Loop: Header=BB4_4927 Depth=3
	s_or_b64 exec, exec, s[30:31]
.LBB4_5674:                             ;   in Loop: Header=BB4_4927 Depth=3
	s_or_b64 exec, exec, s[34:35]
	v_cmp_lt_u64_e32 vcc, s[42:43], v[10:11]
	s_and_saveexec_b64 s[30:31], vcc
	s_cbranch_execz .LBB4_5682
; %bb.5675:                             ;   in Loop: Header=BB4_4927 Depth=3
	v_cmp_ne_u32_e32 vcc, s97, v8
	v_bfrev_b32_e32 v23, 1
	s_and_saveexec_b64 s[34:35], vcc
	s_cbranch_execz .LBB4_5681
; %bb.5676:                             ;   in Loop: Header=BB4_4927 Depth=3
	v_and_b32_e32 v14, 0x7c000000, v11
	v_bfe_u32 v12, v11, 24, 2
	v_cmp_ne_u32_e32 vcc, s37, v14
                                        ; implicit-def: $vgpr23
	s_and_saveexec_b64 s[72:73], vcc
	s_xor_b64 s[72:73], exec, s[72:73]
	s_cbranch_execz .LBB4_5678
; %bb.5677:                             ;   in Loop: Header=BB4_4927 Depth=3
	v_ffbh_u32_e32 v14, v12
	v_min_u32_e32 v23, 32, v14
	v_subrev_u32_e32 v14, 29, v23
	v_bfe_u32 v10, v11, 26, 5
	v_lshlrev_b64 v[14:15], v14, v[8:9]
	v_sub_u32_e32 v8, 30, v23
	v_and_b32_e32 v14, 3, v14
	v_cmp_eq_u32_e32 vcc, 0, v10
	v_cndmask_b32_e32 v8, v10, v8, vcc
	v_cndmask_b32_e32 v10, v12, v14, vcc
	v_bfrev_b32_e32 v12, 28
	v_lshl_add_u32 v8, v8, 23, v12
	v_and_or_b32 v8, v11, s96, v8
	v_lshl_or_b32 v23, v10, 21, v8
                                        ; implicit-def: $vgpr12
                                        ; implicit-def: $vgpr10_vgpr11
.LBB4_5678:                             ;   in Loop: Header=BB4_4927 Depth=3
	s_andn2_saveexec_b64 s[72:73], s[72:73]
; %bb.5679:                             ;   in Loop: Header=BB4_4927 Depth=3
	v_cmp_lt_i64_e32 vcc, -1, v[10:11]
	v_cndmask_b32_e32 v8, v6, v1, vcc
	v_cmp_eq_u32_e32 vcc, 0, v12
	v_mov_b32_e32 v10, 0x7f800001
	v_cndmask_b32_e32 v23, v10, v8, vcc
; %bb.5680:                             ;   in Loop: Header=BB4_4927 Depth=3
	s_or_b64 exec, exec, s[72:73]
.LBB4_5681:                             ;   in Loop: Header=BB4_4927 Depth=3
	s_or_b64 exec, exec, s[34:35]
.LBB4_5682:                             ;   in Loop: Header=BB4_4927 Depth=3
	s_or_b64 exec, exec, s[30:31]
	v_max_f32_e32 v8, v23, v23
	v_max_f32_e32 v9, v9, v9
	v_min_f32_e32 v9, v9, v8
.LBB4_5683:                             ;   in Loop: Header=BB4_4927 Depth=3
	v_and_b32_sdwa v10, v9, s97 dst_sel:DWORD dst_unused:UNUSED_PAD src0_sel:BYTE_3 src1_sel:DWORD
	v_and_b32_e32 v14, 0x7f800000, v9
	v_mov_b32_e32 v15, v43
	v_and_b32_e32 v42, 0x7fffff, v9
	v_or_b32_e32 v11, 0x7b, v10
	v_cmp_ne_u64_e32 vcc, s[52:53], v[14:15]
	s_and_saveexec_b64 s[30:31], vcc
	s_xor_b64 s[34:35], exec, s[30:31]
	s_cbranch_execz .LBB4_5693
; %bb.5684:                             ;   in Loop: Header=BB4_4927 Depth=3
	v_and_b32_e32 v14, 0x7fffffff, v9
	v_mov_b32_e32 v15, v43
	v_cmp_gt_u64_e32 vcc, s[54:55], v[14:15]
	s_and_saveexec_b64 s[72:73], vcc
	s_cbranch_execz .LBB4_5692
; %bb.5685:                             ;   in Loop: Header=BB4_4927 Depth=3
	v_cmp_ne_u32_e32 vcc, 0, v9
	v_mov_b32_e32 v11, 0
	s_and_saveexec_b64 s[74:75], vcc
	s_cbranch_execz .LBB4_5691
; %bb.5686:                             ;   in Loop: Header=BB4_4927 Depth=3
	v_bfe_u32 v8, v9, 23, 8
	v_cmp_eq_u32_e32 vcc, 0, v8
	v_add_u32_e32 v9, 0xffffff81, v8
	v_cmp_gt_u32_e64 s[30:31], s38, v8
	v_sub_u32_e32 v8, 0x71, v8
	v_mov_b32_e32 v12, 0xffffff82
	v_cndmask_b32_e64 v8, 0, v8, s[30:31]
	v_cndmask_b32_e32 v12, v9, v12, vcc
	v_mov_b32_e32 v9, 0x70
	v_cndmask_b32_e32 v23, v8, v9, vcc
	v_add_u32_e32 v8, 21, v23
	v_or_b32_e32 v11, 0x800000, v42
	v_lshlrev_b64 v[8:9], v8, -1
	v_cndmask_b32_e32 v42, v11, v42, vcc
	v_not_b32_e32 v9, v9
	v_not_b32_e32 v8, v8
	v_add_u32_e32 v11, 20, v23
	v_and_b32_e32 v9, 0, v9
	v_and_b32_e32 v8, v42, v8
	v_lshlrev_b64 v[14:15], v11, 1
	v_cmp_eq_u64_e32 vcc, v[8:9], v[14:15]
	v_lshrrev_b64 v[8:9], v23, v[42:43]
	v_lshrrev_b32_e32 v11, 23, v8
	v_add3_u32 v14, v23, v12, v11
	v_bfe_u32 v11, v8, 21, 1
	v_add_u32_e32 v11, -1, v11
	v_cndmask_b32_e32 v11, 0, v11, vcc
	v_add_u32_e32 v11, v11, v8
	v_and_b32_e32 v11, 0x1fffff, v11
	v_add_co_u32_e32 v8, vcc, v11, v8
	v_add_u32_e32 v12, 14, v14
	v_addc_co_u32_e32 v9, vcc, 0, v9, vcc
	v_cmp_ne_u32_e32 vcc, 0, v12
                                        ; implicit-def: $vgpr11
	s_and_saveexec_b64 s[30:31], vcc
	s_xor_b64 s[30:31], exec, s[30:31]
; %bb.5687:                             ;   in Loop: Header=BB4_4927 Depth=3
	v_add_u32_e32 v11, 15, v14
	v_cmp_lt_u64_e32 vcc, s[56:57], v[8:9]
	v_cndmask_b32_e32 v11, v12, v11, vcc
	v_cndmask_b32_e64 v12, 0, 1, vcc
	v_lshrrev_b64 v[8:9], v12, v[8:9]
; %bb.5688:                             ;   in Loop: Header=BB4_4927 Depth=3
	s_andn2_saveexec_b64 vcc, s[30:31]
; %bb.5689:                             ;   in Loop: Header=BB4_4927 Depth=3
	v_bfe_u32 v11, v8, 23, 1
; %bb.5690:                             ;   in Loop: Header=BB4_4927 Depth=3
	s_or_b64 exec, exec, vcc
	v_lshrrev_b64 v[8:9], 21, v[8:9]
	v_cmp_gt_i32_e32 vcc, 32, v11
	v_cndmask_b32_e32 v9, 0, v9, vcc
	v_cndmask_b32_e32 v8, 3, v8, vcc
	v_cmp_eq_u64_e64 s[30:31], 0, v[8:9]
	v_min_i32_e32 v9, 31, v11
	v_lshlrev_b32_e32 v9, 2, v9
	v_cmp_eq_u32_e32 vcc, 0, v11
	v_and_b32_e32 v9, 0xfc, v9
	v_and_or_b32 v8, v8, 3, v9
	s_and_b64 vcc, vcc, s[30:31]
	v_cndmask_b32_e64 v8, v8, 0, vcc
	v_or_b32_e32 v11, v8, v10
.LBB4_5691:                             ;   in Loop: Header=BB4_4927 Depth=3
	s_or_b64 exec, exec, s[74:75]
.LBB4_5692:                             ;   in Loop: Header=BB4_4927 Depth=3
	s_or_b64 exec, exec, s[72:73]
                                        ; implicit-def: $vgpr9
.LBB4_5693:                             ;   in Loop: Header=BB4_4927 Depth=3
	s_andn2_saveexec_b64 s[30:31], s[34:35]
; %bb.5694:                             ;   in Loop: Header=BB4_4927 Depth=3
	v_or_b32_sdwa v8, v9, s39 dst_sel:DWORD dst_unused:UNUSED_PAD src0_sel:BYTE_3 src1_sel:DWORD
	v_cmp_eq_u64_e32 vcc, 0, v[42:43]
	v_cndmask_b32_e32 v11, v8, v11, vcc
; %bb.5695:                             ;   in Loop: Header=BB4_4927 Depth=3
	s_or_b64 exec, exec, s[30:31]
	v_lshlrev_b32_e32 v8, 16, v25
	v_lshlrev_b32_e32 v0, 8, v0
	v_perm_b32 v8, v24, v8, s82
	v_perm_b32 v0, v0, v40, s9
	v_or_b32_e32 v9, v8, v0
	v_and_b32_e32 v0, 0xff, v7
	v_lshlrev_b32_e32 v8, 8, v53
	v_lshlrev_b32_e32 v7, 24, v30
	v_lshlrev_b32_e32 v0, 16, v0
	v_perm_b32 v8, v8, v52, s9
	v_or3_b32 v8, v7, v0, v8
	v_and_b32_e32 v0, 0xff, v55
	v_lshlrev_b32_e32 v10, 8, v27
	v_lshlrev_b32_e32 v7, 24, v36
	;; [unrolled: 1-line block ×3, first 2 shown]
	v_perm_b32 v10, v10, v26, s9
	v_or3_b32 v10, v7, v0, v10
	v_lshlrev_b32_e32 v0, 8, v13
	v_lshlrev_b32_e32 v7, 16, v22
	v_perm_b32 v0, v0, v37, s9
	v_perm_b32 v7, v11, v7, s82
	v_or_b32_e32 v11, v7, v0
	s_mov_b64 s[34:35], 0
	s_mov_b64 s[72:73], -1
.LBB4_5696:                             ;   Parent Loop BB4_47 Depth=1
                                        ;     Parent Loop BB4_3264 Depth=2
                                        ;       Parent Loop BB4_4927 Depth=3
                                        ; =>      This Inner Loop Header: Depth=4
	s_cmp_eq_u32 s34, 0
	s_cselect_b64 s[30:31], -1, 0
	s_cmp_eq_u32 s34, 1
	s_cselect_b64 s[34:35], -1, 0
	v_cndmask_b32_e64 v12, v4, v16, s[34:35]
	v_cndmask_b32_e64 v13, v5, v17, s[34:35]
	v_add_co_u32_e32 v0, vcc, 0x400, v12
	v_addc_co_u32_e32 v7, vcc, 0, v13, vcc
	v_cndmask_b32_e64 v17, v17, v7, s[34:35]
	v_cndmask_b32_e64 v16, v16, v0, s[34:35]
	;; [unrolled: 1-line block ×4, first 2 shown]
	s_mov_b64 s[34:35], 1
	s_andn2_b64 vcc, exec, s[72:73]
	s_mov_b64 s[72:73], 0
	global_store_dwordx4 v[12:13], v[8:11], off glc slc
	s_cbranch_vccz .LBB4_5696
; %bb.5697:                             ;   in Loop: Header=BB4_4927 Depth=3
	v_accvgpr_read_b32 v0, a41
	v_add_co_u32_e32 v18, vcc, v18, v0
	v_accvgpr_read_b32 v7, a42
	v_addc_co_u32_e32 v19, vcc, v19, v7, vcc
	v_add_co_u32_e32 v20, vcc, v20, v0
	v_addc_co_u32_e32 v21, vcc, v21, v7, vcc
	v_accvgpr_read_b32 v0, a32
	v_add_co_u32_e32 v4, vcc, v4, v0
	v_accvgpr_read_b32 v7, a35
	v_addc_co_u32_e32 v5, vcc, v5, v7, vcc
	v_add_co_u32_e32 v16, vcc, v16, v0
	v_accvgpr_read_b32 v0, a28
	v_addc_co_u32_e32 v17, vcc, v17, v7, vcc
	v_sub_u32_e32 v39, v39, v0
	v_cmp_gt_i32_e32 vcc, 16, v39
	s_or_b64 s[68:69], vcc, s[68:69]
	v_sub_u32_e32 v29, v29, v46
	s_andn2_b64 exec, exec, s[68:69]
	s_cbranch_execnz .LBB4_4927
; %bb.5698:                             ;   in Loop: Header=BB4_3264 Depth=2
	s_or_b64 exec, exec, s[68:69]
.LBB4_5699:                             ;   in Loop: Header=BB4_3264 Depth=2
	s_or_b64 exec, exec, s[66:67]
	v_mov_b32_e32 v0, v31
	v_and_b32_e32 v5, 15, v0
	v_cndmask_b32_e64 v7, v38, v5, s[28:29]
	v_cmp_ne_u32_e32 vcc, 0, v7
	s_mov_b64 s[30:31], 0
	v_mov_b32_e32 v0, 0
                                        ; implicit-def: $vgpr30
                                        ; implicit-def: $vgpr4
	s_and_saveexec_b64 s[34:35], vcc
	s_cbranch_execz .LBB4_5701
; %bb.5700:                             ;   in Loop: Header=BB4_3264 Depth=2
	v_sub_u32_e32 v0, v38, v5
	v_cndmask_b32_e64 v0, 0, v0, s[28:29]
	v_cmp_lt_i32_e32 vcc, 0, v29
	v_add3_u32 v0, v28, v2, v0
	v_cndmask_b32_e32 v2, 0, v46, vcc
	v_sub_u32_e32 v2, v2, v29
	v_lshl_add_u32 v30, v2, 6, v3
	v_ashrrev_i32_e32 v2, 31, v30
	v_lshrrev_b32_e32 v2, 26, v2
	v_add_u32_e32 v2, v30, v2
	s_mov_b64 s[30:31], exec
	v_ashrrev_i32_e32 v4, 6, v2
.LBB4_5701:                             ;   in Loop: Header=BB4_3264 Depth=2
	s_or_b64 exec, exec, s[34:35]
	v_accvgpr_read_b32 v29, a9
	s_and_b64 s[28:29], s[30:31], exec
	v_accvgpr_read_b32 v28, a8
.LBB4_5702:                             ;   in Loop: Header=BB4_3264 Depth=2
	s_or_b64 exec, exec, s[64:65]
	v_accvgpr_read_b32 v55, a34
	s_and_saveexec_b64 s[64:65], s[28:29]
	s_cbranch_execz .LBB4_3336
.LBB4_5703:                             ;   in Loop: Header=BB4_3264 Depth=2
	v_ashrrev_i32_e32 v2, 31, v7
	v_lshrrev_b32_e32 v2, 23, v2
	v_add_u32_e32 v2, v7, v2
	v_ashrrev_i32_e32 v60, 9, v2
	v_sub_u32_e32 v2, v60, v4
	v_ashrrev_i32_e32 v3, 31, v30
	v_cmp_lt_i32_e32 vcc, 0, v2
	v_lshrrev_b32_e32 v32, 26, v3
	s_and_saveexec_b64 s[34:35], vcc
	s_cbranch_execz .LBB4_6123
; %bb.5704:                             ;   in Loop: Header=BB4_3264 Depth=2
	s_trap 2
	ds_read_b128 v[8:11], v0
	v_add_u32_e32 v3, v30, v32
	v_and_b32_e32 v3, 0xffffffc0, v3
	v_sub_u32_e32 v3, v30, v3
	v_lshlrev_b32_e32 v4, 9, v4
	v_add3_u32 v3, v0, v3, v4
	v_ashrrev_i32_e32 v12, 31, v3
	s_waitcnt lgkmcnt(0)
	v_add_co_u32_e32 v4, vcc, v8, v3
	v_addc_co_u32_e32 v5, vcc, v9, v12, vcc
	v_add_co_u32_e32 v8, vcc, v10, v3
	v_addc_co_u32_e32 v9, vcc, v11, v12, vcc
	s_bitcmp1_b32 s85, 0
	s_mov_b64 s[66:67], 0
	s_cselect_b64 s[68:69], -1, 0
	v_pk_mov_b32 v[10:11], v[4:5], v[4:5] op_sel:[0,1]
	v_pk_mov_b32 v[12:13], v[8:9], v[8:9] op_sel:[0,1]
	s_branch .LBB4_5706
.LBB4_5705:                             ;   in Loop: Header=BB4_5706 Depth=3
	s_or_b64 exec, exec, s[28:29]
	flat_store_byte v[10:11], v3 glc slc
	flat_store_byte v[10:11], v45 offset:64 glc slc
	flat_store_byte v[10:11], v38 offset:128 glc slc
	;; [unrolled: 1-line block ×7, first 2 shown]
	flat_store_byte v[12:13], v3 glc slc
	flat_store_byte v[12:13], v45 offset:64 glc slc
	flat_store_byte v[12:13], v38 offset:128 glc slc
	flat_store_byte v[12:13], v36 offset:192 glc slc
	flat_store_byte v[12:13], v27 offset:256 glc slc
	flat_store_byte v[12:13], v23 offset:320 glc slc
	flat_store_byte v[12:13], v19 offset:384 glc slc
	flat_store_byte v[12:13], v15 offset:448 glc slc
	v_accvgpr_read_b32 v3, a38
	v_add_co_u32_e32 v4, vcc, v4, v3
	v_accvgpr_read_b32 v14, a39
	v_addc_co_u32_e32 v5, vcc, v5, v14, vcc
	v_add_co_u32_e32 v8, vcc, v8, v3
	v_addc_co_u32_e32 v9, vcc, v9, v14, vcc
	v_add_co_u32_e32 v10, vcc, v10, v3
	v_addc_co_u32_e32 v11, vcc, v11, v14, vcc
	v_sub_u32_e32 v2, v2, v46
	v_cmp_gt_i32_e32 vcc, 1, v2
	s_or_b64 s[66:67], vcc, s[66:67]
	v_add_co_u32_e32 v12, vcc, v12, v3
	v_addc_co_u32_e32 v13, vcc, v13, v14, vcc
	s_andn2_b64 exec, exec, s[66:67]
	s_cbranch_execz .LBB4_6122
.LBB4_5706:                             ;   Parent Loop BB4_47 Depth=1
                                        ;     Parent Loop BB4_3264 Depth=2
                                        ; =>    This Inner Loop Header: Depth=3
	flat_load_ubyte v15, v[4:5] glc slc
	flat_load_sbyte v58, v[4:5] offset:64 glc slc
	flat_load_sbyte v38, v[4:5] offset:128 glc slc
	;; [unrolled: 1-line block ×7, first 2 shown]
	flat_load_sbyte v44, v[8:9] glc slc
	flat_load_sbyte v46, v[8:9] offset:64 glc slc
	flat_load_sbyte v26, v[8:9] offset:128 glc slc
	;; [unrolled: 1-line block ×7, first 2 shown]
	s_and_b64 vcc, exec, s[68:69]
	s_waitcnt vmcnt(0) lgkmcnt(0)
	v_bfe_i32 v42, v15, 0, 8
	v_and_b32_e32 v3, 0xffff, v15
	v_cmp_ne_u16_e64 s[28:29], 0, v15
	s_cbranch_vccz .LBB4_5724
; %bb.5707:                             ;   in Loop: Header=BB4_5706 Depth=3
	v_mov_b32_e32 v17, 0
	v_mov_b32_e32 v15, 0
	s_and_saveexec_b64 s[30:31], s[28:29]
	s_cbranch_execz .LBB4_5715
; %bb.5708:                             ;   in Loop: Header=BB4_5706 Depth=3
	v_cmp_ne_u16_e32 vcc, s94, v42
	v_bfrev_b32_e32 v15, 1
	s_and_saveexec_b64 s[70:71], vcc
	s_cbranch_execz .LBB4_5714
; %bb.5709:                             ;   in Loop: Header=BB4_5706 Depth=3
	v_and_b32_e32 v15, 0x7c, v3
	v_and_b32_e32 v19, 3, v3
	v_cmp_ne_u32_e32 vcc, s95, v15
                                        ; implicit-def: $vgpr15
	s_and_saveexec_b64 s[72:73], vcc
	s_xor_b64 s[72:73], exec, s[72:73]
	s_cbranch_execz .LBB4_5711
; %bb.5710:                             ;   in Loop: Header=BB4_5706 Depth=3
	v_ffbh_u32_e32 v23, v19
	v_bfe_u32 v15, v3, 2, 5
	v_min_u32_e32 v23, 32, v23
	v_subrev_u32_e32 v25, 29, v23
	v_sub_u32_e32 v23, 30, v23
	v_cmp_eq_u32_e32 vcc, 0, v15
	v_lshlrev_b64 v[36:37], v25, v[42:43]
	v_cndmask_b32_e32 v15, v15, v23, vcc
	v_bfrev_b32_e32 v23, 28
	v_bfe_i32 v21, v42, 0, 16
	v_and_b32_e32 v25, 3, v36
	v_lshl_add_u32 v15, v15, 23, v23
	v_cndmask_b32_e32 v19, v19, v25, vcc
	v_and_or_b32 v15, v21, s96, v15
	v_lshl_or_b32 v15, v19, 21, v15
                                        ; implicit-def: $vgpr19
.LBB4_5711:                             ;   in Loop: Header=BB4_5706 Depth=3
	s_andn2_saveexec_b64 s[72:73], s[72:73]
; %bb.5712:                             ;   in Loop: Header=BB4_5706 Depth=3
	v_cmp_lt_i16_e32 vcc, -1, v42
	v_cndmask_b32_e32 v15, v6, v1, vcc
	v_cmp_eq_u32_e32 vcc, 0, v19
	v_mov_b32_e32 v19, 0x7f800001
	v_cndmask_b32_e32 v15, v19, v15, vcc
; %bb.5713:                             ;   in Loop: Header=BB4_5706 Depth=3
	s_or_b64 exec, exec, s[72:73]
.LBB4_5714:                             ;   in Loop: Header=BB4_5706 Depth=3
	s_or_b64 exec, exec, s[70:71]
.LBB4_5715:                             ;   in Loop: Header=BB4_5706 Depth=3
	s_or_b64 exec, exec, s[30:31]
	v_cmp_ne_u16_e32 vcc, 0, v44
	s_and_saveexec_b64 s[30:31], vcc
	s_cbranch_execz .LBB4_5723
; %bb.5716:                             ;   in Loop: Header=BB4_5706 Depth=3
	v_cmp_ne_u16_e32 vcc, s94, v44
	v_bfrev_b32_e32 v17, 1
	s_and_saveexec_b64 s[70:71], vcc
	s_cbranch_execz .LBB4_5722
; %bb.5717:                             ;   in Loop: Header=BB4_5706 Depth=3
	v_and_b32_e32 v17, 0x7c, v44
	v_and_b32_e32 v19, 3, v44
	v_cmp_ne_u32_e32 vcc, s95, v17
                                        ; implicit-def: $vgpr17
	s_and_saveexec_b64 s[72:73], vcc
	s_xor_b64 s[72:73], exec, s[72:73]
	s_cbranch_execz .LBB4_5719
; %bb.5718:                             ;   in Loop: Header=BB4_5706 Depth=3
	v_and_b32_e32 v17, 0xff, v44
	v_ffbh_u32_e32 v23, v19
	v_bfe_u32 v17, v17, 2, 5
	v_min_u32_e32 v23, 32, v23
	v_mov_b32_e32 v45, v43
	v_subrev_u32_e32 v25, 29, v23
	v_sub_u32_e32 v23, 30, v23
	v_cmp_eq_u32_e32 vcc, 0, v17
	v_lshlrev_b64 v[36:37], v25, v[44:45]
	v_cndmask_b32_e32 v17, v17, v23, vcc
	v_bfrev_b32_e32 v23, 28
	v_bfe_i32 v21, v44, 0, 16
	v_and_b32_e32 v25, 3, v36
	v_lshl_add_u32 v17, v17, 23, v23
	v_cndmask_b32_e32 v19, v19, v25, vcc
	v_and_or_b32 v17, v21, s96, v17
	v_lshl_or_b32 v17, v19, 21, v17
                                        ; implicit-def: $vgpr19
.LBB4_5719:                             ;   in Loop: Header=BB4_5706 Depth=3
	s_andn2_saveexec_b64 s[72:73], s[72:73]
; %bb.5720:                             ;   in Loop: Header=BB4_5706 Depth=3
	v_cmp_lt_i16_e32 vcc, -1, v44
	v_cndmask_b32_e32 v17, v6, v1, vcc
	v_cmp_eq_u32_e32 vcc, 0, v19
	v_mov_b32_e32 v19, 0x7f800001
	v_cndmask_b32_e32 v17, v19, v17, vcc
; %bb.5721:                             ;   in Loop: Header=BB4_5706 Depth=3
	s_or_b64 exec, exec, s[72:73]
.LBB4_5722:                             ;   in Loop: Header=BB4_5706 Depth=3
	s_or_b64 exec, exec, s[70:71]
.LBB4_5723:                             ;   in Loop: Header=BB4_5706 Depth=3
	s_or_b64 exec, exec, s[30:31]
	v_max_f32_e32 v17, v17, v17
	v_max_f32_e32 v15, v15, v15
	;; [unrolled: 1-line block ×3, first 2 shown]
	s_branch .LBB4_5742
.LBB4_5724:                             ;   in Loop: Header=BB4_5706 Depth=3
                                        ; implicit-def: $vgpr17
	s_cbranch_execz .LBB4_5742
; %bb.5725:                             ;   in Loop: Header=BB4_5706 Depth=3
	v_mov_b32_e32 v17, 0
	v_mov_b32_e32 v15, 0
	s_and_saveexec_b64 s[30:31], s[28:29]
	s_cbranch_execz .LBB4_5733
; %bb.5726:                             ;   in Loop: Header=BB4_5706 Depth=3
	v_cmp_ne_u16_e32 vcc, s94, v42
	v_bfrev_b32_e32 v15, 1
	s_and_saveexec_b64 s[28:29], vcc
	s_cbranch_execz .LBB4_5732
; %bb.5727:                             ;   in Loop: Header=BB4_5706 Depth=3
	v_and_b32_e32 v15, 0x7c, v3
	v_and_b32_e32 v19, 3, v3
	v_cmp_ne_u32_e32 vcc, s95, v15
                                        ; implicit-def: $vgpr15
	s_and_saveexec_b64 s[70:71], vcc
	s_xor_b64 s[70:71], exec, s[70:71]
	s_cbranch_execz .LBB4_5729
; %bb.5728:                             ;   in Loop: Header=BB4_5706 Depth=3
	v_ffbh_u32_e32 v21, v19
	v_bfe_u32 v3, v3, 2, 5
	v_min_u32_e32 v21, 32, v21
	v_subrev_u32_e32 v23, 29, v21
	v_sub_u32_e32 v21, 30, v21
	v_cmp_eq_u32_e32 vcc, 0, v3
	v_lshlrev_b64 v[36:37], v23, v[42:43]
	v_cndmask_b32_e32 v3, v3, v21, vcc
	v_bfrev_b32_e32 v21, 28
	v_bfe_i32 v15, v42, 0, 16
	v_and_b32_e32 v23, 3, v36
	v_lshl_add_u32 v3, v3, 23, v21
	v_cndmask_b32_e32 v19, v19, v23, vcc
	v_and_or_b32 v3, v15, s96, v3
	v_lshl_or_b32 v15, v19, 21, v3
                                        ; implicit-def: $vgpr19
.LBB4_5729:                             ;   in Loop: Header=BB4_5706 Depth=3
	s_andn2_saveexec_b64 s[70:71], s[70:71]
; %bb.5730:                             ;   in Loop: Header=BB4_5706 Depth=3
	v_cmp_lt_i16_e32 vcc, -1, v42
	v_cndmask_b32_e32 v3, v6, v1, vcc
	v_cmp_eq_u32_e32 vcc, 0, v19
	v_mov_b32_e32 v15, 0x7f800001
	v_cndmask_b32_e32 v15, v15, v3, vcc
; %bb.5731:                             ;   in Loop: Header=BB4_5706 Depth=3
	s_or_b64 exec, exec, s[70:71]
.LBB4_5732:                             ;   in Loop: Header=BB4_5706 Depth=3
	s_or_b64 exec, exec, s[28:29]
.LBB4_5733:                             ;   in Loop: Header=BB4_5706 Depth=3
	s_or_b64 exec, exec, s[30:31]
	v_cmp_ne_u16_e32 vcc, 0, v44
	s_and_saveexec_b64 s[28:29], vcc
	s_cbranch_execz .LBB4_5741
; %bb.5734:                             ;   in Loop: Header=BB4_5706 Depth=3
	v_cmp_ne_u16_e32 vcc, s94, v44
	v_bfrev_b32_e32 v17, 1
	s_and_saveexec_b64 s[30:31], vcc
	s_cbranch_execz .LBB4_5740
; %bb.5735:                             ;   in Loop: Header=BB4_5706 Depth=3
	v_and_b32_e32 v17, 0x7c, v44
	v_and_b32_e32 v3, 3, v44
	v_cmp_ne_u32_e32 vcc, s95, v17
                                        ; implicit-def: $vgpr17
	s_and_saveexec_b64 s[70:71], vcc
	s_xor_b64 s[70:71], exec, s[70:71]
	s_cbranch_execz .LBB4_5737
; %bb.5736:                             ;   in Loop: Header=BB4_5706 Depth=3
	v_and_b32_e32 v17, 0xff, v44
	v_ffbh_u32_e32 v21, v3
	v_bfe_u32 v17, v17, 2, 5
	v_min_u32_e32 v21, 32, v21
	v_mov_b32_e32 v45, v43
	v_subrev_u32_e32 v23, 29, v21
	v_sub_u32_e32 v21, 30, v21
	v_cmp_eq_u32_e32 vcc, 0, v17
	v_lshlrev_b64 v[36:37], v23, v[44:45]
	v_cndmask_b32_e32 v17, v17, v21, vcc
	v_bfrev_b32_e32 v21, 28
	v_bfe_i32 v19, v44, 0, 16
	v_and_b32_e32 v23, 3, v36
	v_lshl_add_u32 v17, v17, 23, v21
	v_cndmask_b32_e32 v3, v3, v23, vcc
	v_and_or_b32 v17, v19, s96, v17
	v_lshl_or_b32 v17, v3, 21, v17
                                        ; implicit-def: $vgpr3
                                        ; implicit-def: $vgpr44
.LBB4_5737:                             ;   in Loop: Header=BB4_5706 Depth=3
	s_andn2_saveexec_b64 s[70:71], s[70:71]
; %bb.5738:                             ;   in Loop: Header=BB4_5706 Depth=3
	v_cmp_lt_i16_e32 vcc, -1, v44
	v_cndmask_b32_e32 v17, v6, v1, vcc
	v_cmp_eq_u32_e32 vcc, 0, v3
	v_mov_b32_e32 v3, 0x7f800001
	v_cndmask_b32_e32 v17, v3, v17, vcc
; %bb.5739:                             ;   in Loop: Header=BB4_5706 Depth=3
	s_or_b64 exec, exec, s[70:71]
.LBB4_5740:                             ;   in Loop: Header=BB4_5706 Depth=3
	s_or_b64 exec, exec, s[30:31]
.LBB4_5741:                             ;   in Loop: Header=BB4_5706 Depth=3
	s_or_b64 exec, exec, s[28:29]
	v_max_f32_e32 v3, v17, v17
	v_max_f32_e32 v15, v15, v15
	v_min_f32_e32 v17, v15, v3
.LBB4_5742:                             ;   in Loop: Header=BB4_5706 Depth=3
	v_and_b32_sdwa v15, v17, s97 dst_sel:DWORD dst_unused:UNUSED_PAD src0_sel:BYTE_3 src1_sel:DWORD
	v_and_b32_e32 v36, 0x7f800000, v17
	v_mov_b32_e32 v37, v43
	v_and_b32_e32 v42, 0x7fffff, v17
	v_or_b32_e32 v3, 0x7b, v15
	v_cmp_ne_u64_e32 vcc, s[52:53], v[36:37]
	s_and_saveexec_b64 s[28:29], vcc
	s_xor_b64 s[30:31], exec, s[28:29]
	s_cbranch_execz .LBB4_5756
; %bb.5743:                             ;   in Loop: Header=BB4_5706 Depth=3
	v_and_b32_e32 v36, 0x7fffffff, v17
	v_mov_b32_e32 v37, v43
	v_cmp_gt_u64_e32 vcc, s[54:55], v[36:37]
	s_and_saveexec_b64 s[28:29], vcc
	s_xor_b64 s[70:71], exec, s[28:29]
	s_cbranch_execz .LBB4_5755
; %bb.5744:                             ;   in Loop: Header=BB4_5706 Depth=3
	v_cmp_ne_u32_e32 vcc, 0, v17
	v_mov_b32_e32 v3, 0
	s_and_saveexec_b64 s[72:73], vcc
	s_cbranch_execz .LBB4_5754
; %bb.5745:                             ;   in Loop: Header=BB4_5706 Depth=3
	v_bfe_u32 v3, v17, 23, 8
	v_cmp_eq_u32_e32 vcc, 0, v3
	v_add_u32_e32 v17, 0xffffff81, v3
	v_cmp_gt_u32_e64 s[28:29], s38, v3
	v_sub_u32_e32 v3, 0x71, v3
	v_mov_b32_e32 v21, 0xffffff82
	v_cndmask_b32_e64 v3, 0, v3, s[28:29]
	v_cndmask_b32_e32 v17, v17, v21, vcc
	v_mov_b32_e32 v21, 0x70
	v_or_b32_e32 v19, 0x800000, v42
	v_cndmask_b32_e32 v3, v3, v21, vcc
	v_cndmask_b32_e32 v42, v19, v42, vcc
	v_add_u32_e32 v19, 21, v3
	v_lshlrev_b64 v[36:37], v19, -1
	v_not_b32_e32 v19, v37
	v_not_b32_e32 v21, v36
	v_and_b32_e32 v37, 0, v19
	v_add_u32_e32 v19, 20, v3
	v_and_b32_e32 v36, v42, v21
	v_lshlrev_b64 v[50:51], v19, 1
	v_cmp_eq_u64_e32 vcc, v[36:37], v[50:51]
	v_lshrrev_b64 v[36:37], v3, v[42:43]
	v_lshrrev_b32_e32 v19, 23, v36
	v_add3_u32 v19, v3, v17, v19
	v_bfe_u32 v17, v36, 21, 1
	v_add_u32_e32 v17, -1, v17
	v_cndmask_b32_e32 v17, 0, v17, vcc
	v_add_u32_e32 v17, v17, v36
	v_and_b32_e32 v17, 0x1fffff, v17
	v_add_co_u32_e32 v44, vcc, v17, v36
	v_add_u32_e32 v3, 14, v19
	v_addc_co_u32_e32 v45, vcc, 0, v37, vcc
	v_cmp_ne_u32_e32 vcc, 0, v3
                                        ; implicit-def: $vgpr17
	s_and_saveexec_b64 s[28:29], vcc
	s_xor_b64 s[28:29], exec, s[28:29]
; %bb.5746:                             ;   in Loop: Header=BB4_5706 Depth=3
	v_add_u32_e32 v17, 15, v19
	v_cmp_lt_u64_e32 vcc, s[56:57], v[44:45]
	v_cndmask_b32_e32 v17, v3, v17, vcc
	v_cndmask_b32_e64 v3, 0, 1, vcc
	v_lshrrev_b64 v[44:45], v3, v[44:45]
; %bb.5747:                             ;   in Loop: Header=BB4_5706 Depth=3
	s_andn2_saveexec_b64 s[28:29], s[28:29]
; %bb.5748:                             ;   in Loop: Header=BB4_5706 Depth=3
	v_bfe_u32 v17, v44, 23, 1
; %bb.5749:                             ;   in Loop: Header=BB4_5706 Depth=3
	s_or_b64 exec, exec, s[28:29]
	v_lshrrev_b64 v[36:37], 21, v[44:45]
	v_cmp_gt_i32_e32 vcc, 32, v17
	v_cndmask_b32_e32 v45, 0, v37, vcc
	v_cndmask_b32_e32 v44, 3, v36, vcc
	v_cmp_ne_u32_e32 vcc, 0, v17
	v_cmp_ne_u64_e64 s[28:29], 0, v[44:45]
	s_or_b64 s[28:29], vcc, s[28:29]
                                        ; implicit-def: $vgpr3
	s_and_saveexec_b64 vcc, s[28:29]
	s_xor_b64 s[28:29], exec, vcc
; %bb.5750:                             ;   in Loop: Header=BB4_5706 Depth=3
	v_min_i32_e32 v3, 31, v17
	v_lshl_or_b32 v3, v3, 2, v15
	v_and_or_b32 v3, v44, 3, v3
                                        ; implicit-def: $vgpr15
; %bb.5751:                             ;   in Loop: Header=BB4_5706 Depth=3
	s_andn2_saveexec_b64 s[28:29], s[28:29]
; %bb.5752:                             ;   in Loop: Header=BB4_5706 Depth=3
	v_mov_b32_e32 v3, v15
; %bb.5753:                             ;   in Loop: Header=BB4_5706 Depth=3
	s_or_b64 exec, exec, s[28:29]
.LBB4_5754:                             ;   in Loop: Header=BB4_5706 Depth=3
	s_or_b64 exec, exec, s[72:73]
.LBB4_5755:                             ;   in Loop: Header=BB4_5706 Depth=3
	s_andn2_saveexec_b64 s[28:29], s[70:71]
	s_or_b64 exec, exec, s[28:29]
                                        ; implicit-def: $vgpr17
.LBB4_5756:                             ;   in Loop: Header=BB4_5706 Depth=3
	s_andn2_saveexec_b64 s[28:29], s[30:31]
; %bb.5757:                             ;   in Loop: Header=BB4_5706 Depth=3
	v_or_b32_sdwa v15, v17, s39 dst_sel:DWORD dst_unused:UNUSED_PAD src0_sel:BYTE_3 src1_sel:DWORD
	v_cmp_eq_u64_e32 vcc, 0, v[42:43]
	v_cndmask_b32_e32 v3, v15, v3, vcc
; %bb.5758:                             ;   in Loop: Header=BB4_5706 Depth=3
	s_or_b64 exec, exec, s[28:29]
	v_cndmask_b32_e64 v17, 0, 1, s[68:69]
	v_and_b32_e32 v15, 0xff, v58
	v_cmp_ne_u32_e64 s[28:29], 1, v17
	s_andn2_b64 vcc, exec, s[68:69]
	v_cmp_ne_u16_e64 s[30:31], 0, v58
	s_cbranch_vccnz .LBB4_5776
; %bb.5759:                             ;   in Loop: Header=BB4_5706 Depth=3
	v_mov_b32_e32 v19, 0
	v_mov_b32_e32 v17, 0
	s_and_saveexec_b64 s[70:71], s[30:31]
	s_cbranch_execz .LBB4_5767
; %bb.5760:                             ;   in Loop: Header=BB4_5706 Depth=3
	v_cmp_ne_u16_e32 vcc, s94, v58
	v_bfrev_b32_e32 v17, 1
	s_and_saveexec_b64 s[72:73], vcc
	s_cbranch_execz .LBB4_5766
; %bb.5761:                             ;   in Loop: Header=BB4_5706 Depth=3
	v_and_b32_e32 v17, 0x7c, v15
	v_and_b32_e32 v21, 3, v15
	v_cmp_ne_u32_e32 vcc, s95, v17
                                        ; implicit-def: $vgpr17
	s_and_saveexec_b64 s[74:75], vcc
	s_xor_b64 s[74:75], exec, s[74:75]
	s_cbranch_execz .LBB4_5763
; %bb.5762:                             ;   in Loop: Header=BB4_5706 Depth=3
	v_ffbh_u32_e32 v25, v21
	v_bfe_u32 v17, v15, 2, 5
	v_min_u32_e32 v25, 32, v25
	v_mov_b32_e32 v59, v43
	v_subrev_u32_e32 v27, 29, v25
	v_sub_u32_e32 v25, 30, v25
	v_cmp_eq_u32_e32 vcc, 0, v17
	v_lshlrev_b64 v[36:37], v27, v[58:59]
	v_cndmask_b32_e32 v17, v17, v25, vcc
	v_bfrev_b32_e32 v25, 28
	v_bfe_i32 v23, v58, 0, 16
	v_and_b32_e32 v27, 3, v36
	v_lshl_add_u32 v17, v17, 23, v25
	v_cndmask_b32_e32 v21, v21, v27, vcc
	v_and_or_b32 v17, v23, s96, v17
	v_lshl_or_b32 v17, v21, 21, v17
                                        ; implicit-def: $vgpr21
.LBB4_5763:                             ;   in Loop: Header=BB4_5706 Depth=3
	s_andn2_saveexec_b64 s[74:75], s[74:75]
; %bb.5764:                             ;   in Loop: Header=BB4_5706 Depth=3
	v_cmp_lt_i16_e32 vcc, -1, v58
	v_cndmask_b32_e32 v17, v6, v1, vcc
	v_cmp_eq_u32_e32 vcc, 0, v21
	v_mov_b32_e32 v21, 0x7f800001
	v_cndmask_b32_e32 v17, v21, v17, vcc
; %bb.5765:                             ;   in Loop: Header=BB4_5706 Depth=3
	s_or_b64 exec, exec, s[74:75]
.LBB4_5766:                             ;   in Loop: Header=BB4_5706 Depth=3
	s_or_b64 exec, exec, s[72:73]
.LBB4_5767:                             ;   in Loop: Header=BB4_5706 Depth=3
	s_or_b64 exec, exec, s[70:71]
	v_cmp_ne_u16_e32 vcc, 0, v46
	s_and_saveexec_b64 s[70:71], vcc
	s_cbranch_execz .LBB4_5775
; %bb.5768:                             ;   in Loop: Header=BB4_5706 Depth=3
	v_cmp_ne_u16_e32 vcc, s94, v46
	v_bfrev_b32_e32 v19, 1
	s_and_saveexec_b64 s[72:73], vcc
	s_cbranch_execz .LBB4_5774
; %bb.5769:                             ;   in Loop: Header=BB4_5706 Depth=3
	v_and_b32_e32 v19, 0x7c, v46
	v_and_b32_e32 v21, 3, v46
	v_cmp_ne_u32_e32 vcc, s95, v19
                                        ; implicit-def: $vgpr19
	s_and_saveexec_b64 s[74:75], vcc
	s_xor_b64 s[74:75], exec, s[74:75]
	s_cbranch_execz .LBB4_5771
; %bb.5770:                             ;   in Loop: Header=BB4_5706 Depth=3
	v_and_b32_e32 v19, 0xff, v46
	v_ffbh_u32_e32 v25, v21
	v_bfe_u32 v19, v19, 2, 5
	v_min_u32_e32 v25, 32, v25
	v_mov_b32_e32 v47, v43
	v_subrev_u32_e32 v27, 29, v25
	v_sub_u32_e32 v25, 30, v25
	v_cmp_eq_u32_e32 vcc, 0, v19
	v_lshlrev_b64 v[36:37], v27, v[46:47]
	v_cndmask_b32_e32 v19, v19, v25, vcc
	v_bfrev_b32_e32 v25, 28
	v_bfe_i32 v23, v46, 0, 16
	v_and_b32_e32 v27, 3, v36
	v_lshl_add_u32 v19, v19, 23, v25
	v_cndmask_b32_e32 v21, v21, v27, vcc
	v_and_or_b32 v19, v23, s96, v19
	v_lshl_or_b32 v19, v21, 21, v19
                                        ; implicit-def: $vgpr21
.LBB4_5771:                             ;   in Loop: Header=BB4_5706 Depth=3
	s_andn2_saveexec_b64 s[74:75], s[74:75]
; %bb.5772:                             ;   in Loop: Header=BB4_5706 Depth=3
	v_cmp_lt_i16_e32 vcc, -1, v46
	v_cndmask_b32_e32 v19, v6, v1, vcc
	v_cmp_eq_u32_e32 vcc, 0, v21
	v_mov_b32_e32 v21, 0x7f800001
	v_cndmask_b32_e32 v19, v21, v19, vcc
; %bb.5773:                             ;   in Loop: Header=BB4_5706 Depth=3
	s_or_b64 exec, exec, s[74:75]
.LBB4_5774:                             ;   in Loop: Header=BB4_5706 Depth=3
	s_or_b64 exec, exec, s[72:73]
.LBB4_5775:                             ;   in Loop: Header=BB4_5706 Depth=3
	s_or_b64 exec, exec, s[70:71]
	v_max_f32_e32 v19, v19, v19
	v_max_f32_e32 v17, v17, v17
	;; [unrolled: 1-line block ×3, first 2 shown]
	s_branch .LBB4_5794
.LBB4_5776:                             ;   in Loop: Header=BB4_5706 Depth=3
                                        ; implicit-def: $vgpr17
	s_cbranch_execz .LBB4_5794
; %bb.5777:                             ;   in Loop: Header=BB4_5706 Depth=3
	v_mov_b32_e32 v19, 0
	v_mov_b32_e32 v17, 0
	s_and_saveexec_b64 s[70:71], s[30:31]
	s_cbranch_execz .LBB4_5785
; %bb.5778:                             ;   in Loop: Header=BB4_5706 Depth=3
	v_cmp_ne_u16_e32 vcc, s94, v58
	v_bfrev_b32_e32 v17, 1
	s_and_saveexec_b64 s[30:31], vcc
	s_cbranch_execz .LBB4_5784
; %bb.5779:                             ;   in Loop: Header=BB4_5706 Depth=3
	v_and_b32_e32 v17, 0x7c, v15
	v_and_b32_e32 v21, 3, v15
	v_cmp_ne_u32_e32 vcc, s95, v17
                                        ; implicit-def: $vgpr17
	s_and_saveexec_b64 s[72:73], vcc
	s_xor_b64 s[72:73], exec, s[72:73]
	s_cbranch_execz .LBB4_5781
; %bb.5780:                             ;   in Loop: Header=BB4_5706 Depth=3
	v_ffbh_u32_e32 v23, v21
	v_bfe_u32 v15, v15, 2, 5
	v_min_u32_e32 v23, 32, v23
	v_mov_b32_e32 v59, v43
	v_subrev_u32_e32 v25, 29, v23
	v_sub_u32_e32 v23, 30, v23
	v_cmp_eq_u32_e32 vcc, 0, v15
	v_lshlrev_b64 v[36:37], v25, v[58:59]
	v_cndmask_b32_e32 v15, v15, v23, vcc
	v_bfrev_b32_e32 v23, 28
	v_bfe_i32 v17, v58, 0, 16
	v_and_b32_e32 v25, 3, v36
	v_lshl_add_u32 v15, v15, 23, v23
	v_cndmask_b32_e32 v21, v21, v25, vcc
	v_and_or_b32 v15, v17, s96, v15
	v_lshl_or_b32 v17, v21, 21, v15
                                        ; implicit-def: $vgpr21
                                        ; implicit-def: $vgpr58
.LBB4_5781:                             ;   in Loop: Header=BB4_5706 Depth=3
	s_andn2_saveexec_b64 s[72:73], s[72:73]
; %bb.5782:                             ;   in Loop: Header=BB4_5706 Depth=3
	v_cmp_lt_i16_e32 vcc, -1, v58
	v_cndmask_b32_e32 v15, v6, v1, vcc
	v_cmp_eq_u32_e32 vcc, 0, v21
	v_mov_b32_e32 v17, 0x7f800001
	v_cndmask_b32_e32 v17, v17, v15, vcc
; %bb.5783:                             ;   in Loop: Header=BB4_5706 Depth=3
	s_or_b64 exec, exec, s[72:73]
.LBB4_5784:                             ;   in Loop: Header=BB4_5706 Depth=3
	s_or_b64 exec, exec, s[30:31]
.LBB4_5785:                             ;   in Loop: Header=BB4_5706 Depth=3
	s_or_b64 exec, exec, s[70:71]
	v_cmp_ne_u16_e32 vcc, 0, v46
	s_and_saveexec_b64 s[30:31], vcc
	s_cbranch_execz .LBB4_5793
; %bb.5786:                             ;   in Loop: Header=BB4_5706 Depth=3
	v_cmp_ne_u16_e32 vcc, s94, v46
	v_bfrev_b32_e32 v19, 1
	s_and_saveexec_b64 s[70:71], vcc
	s_cbranch_execz .LBB4_5792
; %bb.5787:                             ;   in Loop: Header=BB4_5706 Depth=3
	v_and_b32_e32 v19, 0x7c, v46
	v_and_b32_e32 v15, 3, v46
	v_cmp_ne_u32_e32 vcc, s95, v19
                                        ; implicit-def: $vgpr19
	s_and_saveexec_b64 s[72:73], vcc
	s_xor_b64 s[72:73], exec, s[72:73]
	s_cbranch_execz .LBB4_5789
; %bb.5788:                             ;   in Loop: Header=BB4_5706 Depth=3
	v_and_b32_e32 v19, 0xff, v46
	v_ffbh_u32_e32 v23, v15
	v_bfe_u32 v19, v19, 2, 5
	v_min_u32_e32 v23, 32, v23
	v_mov_b32_e32 v47, v43
	v_subrev_u32_e32 v25, 29, v23
	v_sub_u32_e32 v23, 30, v23
	v_cmp_eq_u32_e32 vcc, 0, v19
	v_lshlrev_b64 v[36:37], v25, v[46:47]
	v_cndmask_b32_e32 v19, v19, v23, vcc
	v_bfrev_b32_e32 v23, 28
	v_bfe_i32 v21, v46, 0, 16
	v_and_b32_e32 v25, 3, v36
	v_lshl_add_u32 v19, v19, 23, v23
	v_cndmask_b32_e32 v15, v15, v25, vcc
	v_and_or_b32 v19, v21, s96, v19
	v_lshl_or_b32 v19, v15, 21, v19
                                        ; implicit-def: $vgpr15
                                        ; implicit-def: $vgpr46
.LBB4_5789:                             ;   in Loop: Header=BB4_5706 Depth=3
	s_andn2_saveexec_b64 s[72:73], s[72:73]
; %bb.5790:                             ;   in Loop: Header=BB4_5706 Depth=3
	v_cmp_lt_i16_e32 vcc, -1, v46
	v_cndmask_b32_e32 v19, v6, v1, vcc
	v_cmp_eq_u32_e32 vcc, 0, v15
	v_mov_b32_e32 v15, 0x7f800001
	v_cndmask_b32_e32 v19, v15, v19, vcc
; %bb.5791:                             ;   in Loop: Header=BB4_5706 Depth=3
	s_or_b64 exec, exec, s[72:73]
.LBB4_5792:                             ;   in Loop: Header=BB4_5706 Depth=3
	s_or_b64 exec, exec, s[70:71]
.LBB4_5793:                             ;   in Loop: Header=BB4_5706 Depth=3
	s_or_b64 exec, exec, s[30:31]
	v_max_f32_e32 v15, v19, v19
	v_max_f32_e32 v17, v17, v17
	v_min_f32_e32 v17, v17, v15
.LBB4_5794:                             ;   in Loop: Header=BB4_5706 Depth=3
	v_and_b32_sdwa v15, v17, s97 dst_sel:DWORD dst_unused:UNUSED_PAD src0_sel:BYTE_3 src1_sel:DWORD
	v_and_b32_e32 v42, 0x7fffff, v17
	v_or_b32_e32 v45, 0x7b, v15
	v_and_b32_e32 v36, 0x7f800000, v17
	v_mov_b32_e32 v37, v43
	v_cmp_ne_u64_e32 vcc, s[52:53], v[36:37]
	s_mov_b64 s[30:31], exec
	s_and_b64 vcc, s[30:31], vcc
	s_xor_b64 s[70:71], vcc, s[30:31]
	v_accvgpr_read_b32 v46, a24
	s_mov_b64 exec, vcc
	s_cbranch_execz .LBB4_5808
; %bb.5795:                             ;   in Loop: Header=BB4_5706 Depth=3
	v_and_b32_e32 v36, 0x7fffffff, v17
	v_mov_b32_e32 v37, v43
	v_cmp_gt_u64_e32 vcc, s[54:55], v[36:37]
	s_and_saveexec_b64 s[30:31], vcc
	s_xor_b64 s[72:73], exec, s[30:31]
	s_cbranch_execz .LBB4_5807
; %bb.5796:                             ;   in Loop: Header=BB4_5706 Depth=3
	v_cmp_ne_u32_e32 vcc, 0, v17
	v_mov_b32_e32 v45, 0
	s_and_saveexec_b64 s[74:75], vcc
	s_cbranch_execz .LBB4_5806
; %bb.5797:                             ;   in Loop: Header=BB4_5706 Depth=3
	v_bfe_u32 v17, v17, 23, 8
	v_cmp_eq_u32_e32 vcc, 0, v17
	v_add_u32_e32 v19, 0xffffff81, v17
	v_cmp_gt_u32_e64 s[30:31], s38, v17
	v_sub_u32_e32 v17, 0x71, v17
	v_mov_b32_e32 v23, 0xffffff82
	v_cndmask_b32_e64 v17, 0, v17, s[30:31]
	v_cndmask_b32_e32 v19, v19, v23, vcc
	v_mov_b32_e32 v23, 0x70
	v_or_b32_e32 v21, 0x800000, v42
	v_cndmask_b32_e32 v17, v17, v23, vcc
	v_cndmask_b32_e32 v42, v21, v42, vcc
	v_add_u32_e32 v21, 21, v17
	v_lshlrev_b64 v[36:37], v21, -1
	v_not_b32_e32 v21, v37
	v_not_b32_e32 v23, v36
	v_and_b32_e32 v37, 0, v21
	v_add_u32_e32 v21, 20, v17
	v_and_b32_e32 v36, v42, v23
	v_lshlrev_b64 v[50:51], v21, 1
	v_cmp_eq_u64_e32 vcc, v[36:37], v[50:51]
	v_lshrrev_b64 v[36:37], v17, v[42:43]
	v_lshrrev_b32_e32 v21, 23, v36
	v_add3_u32 v21, v17, v19, v21
	v_bfe_u32 v17, v36, 21, 1
	v_add_u32_e32 v17, -1, v17
	v_cndmask_b32_e32 v17, 0, v17, vcc
	v_add_u32_e32 v17, v17, v36
	v_and_b32_e32 v17, 0x1fffff, v17
	v_add_co_u32_e32 v44, vcc, v17, v36
	v_add_u32_e32 v19, 14, v21
	v_addc_co_u32_e32 v45, vcc, 0, v37, vcc
	v_cmp_ne_u32_e32 vcc, 0, v19
                                        ; implicit-def: $vgpr17
	s_and_saveexec_b64 s[30:31], vcc
	s_xor_b64 s[30:31], exec, s[30:31]
; %bb.5798:                             ;   in Loop: Header=BB4_5706 Depth=3
	v_add_u32_e32 v17, 15, v21
	v_cmp_lt_u64_e32 vcc, s[56:57], v[44:45]
	v_cndmask_b32_e32 v17, v19, v17, vcc
	v_cndmask_b32_e64 v19, 0, 1, vcc
	v_lshrrev_b64 v[44:45], v19, v[44:45]
; %bb.5799:                             ;   in Loop: Header=BB4_5706 Depth=3
	s_andn2_saveexec_b64 vcc, s[30:31]
; %bb.5800:                             ;   in Loop: Header=BB4_5706 Depth=3
	v_bfe_u32 v17, v44, 23, 1
; %bb.5801:                             ;   in Loop: Header=BB4_5706 Depth=3
	s_or_b64 exec, exec, vcc
	v_lshrrev_b64 v[36:37], 21, v[44:45]
	v_cmp_gt_i32_e32 vcc, 32, v17
	v_cndmask_b32_e32 v45, 0, v37, vcc
	v_cndmask_b32_e32 v44, 3, v36, vcc
	v_cmp_ne_u32_e32 vcc, 0, v17
	v_cmp_ne_u64_e64 s[30:31], 0, v[44:45]
	s_or_b64 vcc, vcc, s[30:31]
                                        ; implicit-def: $vgpr45
	s_and_saveexec_b64 s[30:31], vcc
	s_xor_b64 vcc, exec, s[30:31]
; %bb.5802:                             ;   in Loop: Header=BB4_5706 Depth=3
	v_min_i32_e32 v17, 31, v17
	v_lshl_or_b32 v15, v17, 2, v15
	v_and_or_b32 v45, v44, 3, v15
                                        ; implicit-def: $vgpr15
; %bb.5803:                             ;   in Loop: Header=BB4_5706 Depth=3
	s_andn2_saveexec_b64 vcc, vcc
; %bb.5804:                             ;   in Loop: Header=BB4_5706 Depth=3
	v_mov_b32_e32 v45, v15
; %bb.5805:                             ;   in Loop: Header=BB4_5706 Depth=3
	s_or_b64 exec, exec, vcc
.LBB4_5806:                             ;   in Loop: Header=BB4_5706 Depth=3
	s_or_b64 exec, exec, s[74:75]
.LBB4_5807:                             ;   in Loop: Header=BB4_5706 Depth=3
	s_andn2_saveexec_b64 vcc, s[72:73]
	s_or_b64 exec, exec, vcc
                                        ; implicit-def: $vgpr17
.LBB4_5808:                             ;   in Loop: Header=BB4_5706 Depth=3
	s_andn2_saveexec_b64 s[30:31], s[70:71]
; %bb.5809:                             ;   in Loop: Header=BB4_5706 Depth=3
	v_or_b32_sdwa v15, v17, s39 dst_sel:DWORD dst_unused:UNUSED_PAD src0_sel:BYTE_3 src1_sel:DWORD
	v_cmp_eq_u64_e32 vcc, 0, v[42:43]
	v_cndmask_b32_e32 v45, v15, v45, vcc
; %bb.5810:                             ;   in Loop: Header=BB4_5706 Depth=3
	s_or_b64 exec, exec, s[30:31]
	v_and_b32_e32 v15, 0xff, v38
	s_and_b64 vcc, exec, s[28:29]
	v_cmp_ne_u16_e64 s[30:31], 0, v38
	s_cbranch_vccnz .LBB4_5828
; %bb.5811:                             ;   in Loop: Header=BB4_5706 Depth=3
	v_mov_b32_e32 v19, 0
	v_mov_b32_e32 v17, 0
	s_and_saveexec_b64 s[70:71], s[30:31]
	s_cbranch_execz .LBB4_5819
; %bb.5812:                             ;   in Loop: Header=BB4_5706 Depth=3
	v_cmp_ne_u16_e32 vcc, s94, v38
	v_bfrev_b32_e32 v17, 1
	s_and_saveexec_b64 s[72:73], vcc
	s_cbranch_execz .LBB4_5818
; %bb.5813:                             ;   in Loop: Header=BB4_5706 Depth=3
	v_and_b32_e32 v17, 0x7c, v15
	v_and_b32_e32 v21, 3, v15
	v_cmp_ne_u32_e32 vcc, s95, v17
                                        ; implicit-def: $vgpr17
	s_and_saveexec_b64 s[74:75], vcc
	s_xor_b64 s[74:75], exec, s[74:75]
	s_cbranch_execz .LBB4_5815
; %bb.5814:                             ;   in Loop: Header=BB4_5706 Depth=3
	v_ffbh_u32_e32 v25, v21
	v_bfe_u32 v17, v15, 2, 5
	v_min_u32_e32 v25, 32, v25
	v_mov_b32_e32 v39, v43
	v_subrev_u32_e32 v27, 29, v25
	v_sub_u32_e32 v25, 30, v25
	v_cmp_eq_u32_e32 vcc, 0, v17
	v_lshlrev_b64 v[36:37], v27, v[38:39]
	v_cndmask_b32_e32 v17, v17, v25, vcc
	v_bfrev_b32_e32 v25, 28
	v_bfe_i32 v23, v38, 0, 16
	v_and_b32_e32 v27, 3, v36
	v_lshl_add_u32 v17, v17, 23, v25
	v_cndmask_b32_e32 v21, v21, v27, vcc
	v_and_or_b32 v17, v23, s96, v17
	v_lshl_or_b32 v17, v21, 21, v17
                                        ; implicit-def: $vgpr21
.LBB4_5815:                             ;   in Loop: Header=BB4_5706 Depth=3
	s_andn2_saveexec_b64 s[74:75], s[74:75]
; %bb.5816:                             ;   in Loop: Header=BB4_5706 Depth=3
	v_cmp_lt_i16_e32 vcc, -1, v38
	v_cndmask_b32_e32 v17, v6, v1, vcc
	v_cmp_eq_u32_e32 vcc, 0, v21
	v_mov_b32_e32 v21, 0x7f800001
	v_cndmask_b32_e32 v17, v21, v17, vcc
; %bb.5817:                             ;   in Loop: Header=BB4_5706 Depth=3
	s_or_b64 exec, exec, s[74:75]
.LBB4_5818:                             ;   in Loop: Header=BB4_5706 Depth=3
	s_or_b64 exec, exec, s[72:73]
.LBB4_5819:                             ;   in Loop: Header=BB4_5706 Depth=3
	s_or_b64 exec, exec, s[70:71]
	v_cmp_ne_u16_e32 vcc, 0, v26
	s_and_saveexec_b64 s[70:71], vcc
	s_cbranch_execz .LBB4_5827
; %bb.5820:                             ;   in Loop: Header=BB4_5706 Depth=3
	v_cmp_ne_u16_e32 vcc, s94, v26
	v_bfrev_b32_e32 v19, 1
	s_and_saveexec_b64 s[72:73], vcc
	s_cbranch_execz .LBB4_5826
; %bb.5821:                             ;   in Loop: Header=BB4_5706 Depth=3
	v_and_b32_e32 v19, 0x7c, v26
	v_and_b32_e32 v21, 3, v26
	v_cmp_ne_u32_e32 vcc, s95, v19
                                        ; implicit-def: $vgpr19
	s_and_saveexec_b64 s[74:75], vcc
	s_xor_b64 s[74:75], exec, s[74:75]
	s_cbranch_execz .LBB4_5823
; %bb.5822:                             ;   in Loop: Header=BB4_5706 Depth=3
	v_and_b32_e32 v19, 0xff, v26
	v_ffbh_u32_e32 v25, v21
	v_bfe_u32 v19, v19, 2, 5
	v_min_u32_e32 v25, 32, v25
	v_mov_b32_e32 v27, v43
	v_subrev_u32_e32 v29, 29, v25
	v_sub_u32_e32 v25, 30, v25
	v_cmp_eq_u32_e32 vcc, 0, v19
	v_lshlrev_b64 v[36:37], v29, v[26:27]
	v_cndmask_b32_e32 v19, v19, v25, vcc
	v_bfrev_b32_e32 v25, 28
	v_bfe_i32 v23, v26, 0, 16
	v_and_b32_e32 v27, 3, v36
	v_lshl_add_u32 v19, v19, 23, v25
	v_cndmask_b32_e32 v21, v21, v27, vcc
	v_and_or_b32 v19, v23, s96, v19
	v_lshl_or_b32 v19, v21, 21, v19
                                        ; implicit-def: $vgpr21
.LBB4_5823:                             ;   in Loop: Header=BB4_5706 Depth=3
	s_andn2_saveexec_b64 s[74:75], s[74:75]
; %bb.5824:                             ;   in Loop: Header=BB4_5706 Depth=3
	v_cmp_lt_i16_e32 vcc, -1, v26
	v_cndmask_b32_e32 v19, v6, v1, vcc
	v_cmp_eq_u32_e32 vcc, 0, v21
	v_mov_b32_e32 v21, 0x7f800001
	v_cndmask_b32_e32 v19, v21, v19, vcc
; %bb.5825:                             ;   in Loop: Header=BB4_5706 Depth=3
	s_or_b64 exec, exec, s[74:75]
.LBB4_5826:                             ;   in Loop: Header=BB4_5706 Depth=3
	s_or_b64 exec, exec, s[72:73]
.LBB4_5827:                             ;   in Loop: Header=BB4_5706 Depth=3
	s_or_b64 exec, exec, s[70:71]
	v_max_f32_e32 v19, v19, v19
	v_max_f32_e32 v17, v17, v17
	;; [unrolled: 1-line block ×3, first 2 shown]
	s_branch .LBB4_5846
.LBB4_5828:                             ;   in Loop: Header=BB4_5706 Depth=3
                                        ; implicit-def: $vgpr17
	s_cbranch_execz .LBB4_5846
; %bb.5829:                             ;   in Loop: Header=BB4_5706 Depth=3
	v_mov_b32_e32 v19, 0
	v_mov_b32_e32 v17, 0
	s_and_saveexec_b64 s[70:71], s[30:31]
	s_cbranch_execz .LBB4_5837
; %bb.5830:                             ;   in Loop: Header=BB4_5706 Depth=3
	v_cmp_ne_u16_e32 vcc, s94, v38
	v_bfrev_b32_e32 v17, 1
	s_and_saveexec_b64 s[30:31], vcc
	s_cbranch_execz .LBB4_5836
; %bb.5831:                             ;   in Loop: Header=BB4_5706 Depth=3
	v_and_b32_e32 v17, 0x7c, v15
	v_and_b32_e32 v21, 3, v15
	v_cmp_ne_u32_e32 vcc, s95, v17
                                        ; implicit-def: $vgpr17
	s_and_saveexec_b64 s[72:73], vcc
	s_xor_b64 s[72:73], exec, s[72:73]
	s_cbranch_execz .LBB4_5833
; %bb.5832:                             ;   in Loop: Header=BB4_5706 Depth=3
	v_ffbh_u32_e32 v23, v21
	v_bfe_u32 v15, v15, 2, 5
	v_min_u32_e32 v23, 32, v23
	v_mov_b32_e32 v39, v43
	v_subrev_u32_e32 v25, 29, v23
	v_sub_u32_e32 v23, 30, v23
	v_cmp_eq_u32_e32 vcc, 0, v15
	v_lshlrev_b64 v[36:37], v25, v[38:39]
	v_cndmask_b32_e32 v15, v15, v23, vcc
	v_bfrev_b32_e32 v23, 28
	v_bfe_i32 v17, v38, 0, 16
	v_and_b32_e32 v25, 3, v36
	v_lshl_add_u32 v15, v15, 23, v23
	v_cndmask_b32_e32 v21, v21, v25, vcc
	v_and_or_b32 v15, v17, s96, v15
	v_lshl_or_b32 v17, v21, 21, v15
                                        ; implicit-def: $vgpr21
                                        ; implicit-def: $vgpr38
.LBB4_5833:                             ;   in Loop: Header=BB4_5706 Depth=3
	s_andn2_saveexec_b64 s[72:73], s[72:73]
; %bb.5834:                             ;   in Loop: Header=BB4_5706 Depth=3
	v_cmp_lt_i16_e32 vcc, -1, v38
	v_cndmask_b32_e32 v15, v6, v1, vcc
	v_cmp_eq_u32_e32 vcc, 0, v21
	v_mov_b32_e32 v17, 0x7f800001
	v_cndmask_b32_e32 v17, v17, v15, vcc
; %bb.5835:                             ;   in Loop: Header=BB4_5706 Depth=3
	s_or_b64 exec, exec, s[72:73]
.LBB4_5836:                             ;   in Loop: Header=BB4_5706 Depth=3
	s_or_b64 exec, exec, s[30:31]
.LBB4_5837:                             ;   in Loop: Header=BB4_5706 Depth=3
	s_or_b64 exec, exec, s[70:71]
	v_cmp_ne_u16_e32 vcc, 0, v26
	s_and_saveexec_b64 s[30:31], vcc
	s_cbranch_execz .LBB4_5845
; %bb.5838:                             ;   in Loop: Header=BB4_5706 Depth=3
	v_cmp_ne_u16_e32 vcc, s94, v26
	v_bfrev_b32_e32 v19, 1
	s_and_saveexec_b64 s[70:71], vcc
	s_cbranch_execz .LBB4_5844
; %bb.5839:                             ;   in Loop: Header=BB4_5706 Depth=3
	v_and_b32_e32 v19, 0x7c, v26
	v_and_b32_e32 v15, 3, v26
	v_cmp_ne_u32_e32 vcc, s95, v19
                                        ; implicit-def: $vgpr19
	s_and_saveexec_b64 s[72:73], vcc
	s_xor_b64 s[72:73], exec, s[72:73]
	s_cbranch_execz .LBB4_5841
; %bb.5840:                             ;   in Loop: Header=BB4_5706 Depth=3
	v_and_b32_e32 v19, 0xff, v26
	v_ffbh_u32_e32 v23, v15
	v_bfe_u32 v19, v19, 2, 5
	v_min_u32_e32 v23, 32, v23
	v_mov_b32_e32 v27, v43
	v_subrev_u32_e32 v25, 29, v23
	v_sub_u32_e32 v23, 30, v23
	v_cmp_eq_u32_e32 vcc, 0, v19
	v_bfe_i32 v21, v26, 0, 16
	v_lshlrev_b64 v[26:27], v25, v[26:27]
	v_cndmask_b32_e32 v19, v19, v23, vcc
	v_bfrev_b32_e32 v23, 28
	v_and_b32_e32 v25, 3, v26
	v_lshl_add_u32 v19, v19, 23, v23
	v_cndmask_b32_e32 v15, v15, v25, vcc
	v_and_or_b32 v19, v21, s96, v19
	v_lshl_or_b32 v19, v15, 21, v19
                                        ; implicit-def: $vgpr15
                                        ; implicit-def: $vgpr26
.LBB4_5841:                             ;   in Loop: Header=BB4_5706 Depth=3
	s_andn2_saveexec_b64 s[72:73], s[72:73]
; %bb.5842:                             ;   in Loop: Header=BB4_5706 Depth=3
	v_cmp_lt_i16_e32 vcc, -1, v26
	v_cndmask_b32_e32 v19, v6, v1, vcc
	v_cmp_eq_u32_e32 vcc, 0, v15
	v_mov_b32_e32 v15, 0x7f800001
	v_cndmask_b32_e32 v19, v15, v19, vcc
; %bb.5843:                             ;   in Loop: Header=BB4_5706 Depth=3
	s_or_b64 exec, exec, s[72:73]
.LBB4_5844:                             ;   in Loop: Header=BB4_5706 Depth=3
	s_or_b64 exec, exec, s[70:71]
.LBB4_5845:                             ;   in Loop: Header=BB4_5706 Depth=3
	s_or_b64 exec, exec, s[30:31]
	v_max_f32_e32 v15, v19, v19
	v_max_f32_e32 v17, v17, v17
	v_min_f32_e32 v17, v17, v15
.LBB4_5846:                             ;   in Loop: Header=BB4_5706 Depth=3
	v_and_b32_sdwa v15, v17, s97 dst_sel:DWORD dst_unused:UNUSED_PAD src0_sel:BYTE_3 src1_sel:DWORD
	v_and_b32_e32 v26, 0x7f800000, v17
	v_mov_b32_e32 v27, v43
	v_and_b32_e32 v42, 0x7fffff, v17
	v_or_b32_e32 v38, 0x7b, v15
	v_cmp_ne_u64_e32 vcc, s[52:53], v[26:27]
	s_and_saveexec_b64 s[30:31], vcc
	s_xor_b64 s[70:71], exec, s[30:31]
	s_cbranch_execz .LBB4_5860
; %bb.5847:                             ;   in Loop: Header=BB4_5706 Depth=3
	v_and_b32_e32 v26, 0x7fffffff, v17
	v_mov_b32_e32 v27, v43
	v_cmp_gt_u64_e32 vcc, s[54:55], v[26:27]
	s_and_saveexec_b64 s[30:31], vcc
	s_xor_b64 s[72:73], exec, s[30:31]
	s_cbranch_execz .LBB4_5859
; %bb.5848:                             ;   in Loop: Header=BB4_5706 Depth=3
	v_cmp_ne_u32_e32 vcc, 0, v17
	v_mov_b32_e32 v38, 0
	s_and_saveexec_b64 s[74:75], vcc
	s_cbranch_execz .LBB4_5858
; %bb.5849:                             ;   in Loop: Header=BB4_5706 Depth=3
	v_bfe_u32 v17, v17, 23, 8
	v_cmp_eq_u32_e32 vcc, 0, v17
	v_add_u32_e32 v19, 0xffffff81, v17
	v_cmp_gt_u32_e64 s[30:31], s38, v17
	v_sub_u32_e32 v17, 0x71, v17
	v_mov_b32_e32 v23, 0xffffff82
	v_cndmask_b32_e64 v17, 0, v17, s[30:31]
	v_cndmask_b32_e32 v19, v19, v23, vcc
	v_mov_b32_e32 v23, 0x70
	v_or_b32_e32 v21, 0x800000, v42
	v_cndmask_b32_e32 v17, v17, v23, vcc
	v_cndmask_b32_e32 v42, v21, v42, vcc
	v_add_u32_e32 v21, 21, v17
	v_lshlrev_b64 v[26:27], v21, -1
	v_not_b32_e32 v21, v27
	v_not_b32_e32 v23, v26
	v_and_b32_e32 v27, 0, v21
	v_add_u32_e32 v21, 20, v17
	v_and_b32_e32 v26, v42, v23
	v_lshlrev_b64 v[36:37], v21, 1
	v_cmp_eq_u64_e32 vcc, v[26:27], v[36:37]
	v_lshrrev_b64 v[26:27], v17, v[42:43]
	v_lshrrev_b32_e32 v21, 23, v26
	v_add3_u32 v21, v17, v19, v21
	v_bfe_u32 v17, v26, 21, 1
	v_add_u32_e32 v17, -1, v17
	v_cndmask_b32_e32 v17, 0, v17, vcc
	v_add_u32_e32 v17, v17, v26
	v_and_b32_e32 v17, 0x1fffff, v17
	v_add_co_u32_e32 v26, vcc, v17, v26
	v_add_u32_e32 v19, 14, v21
	v_addc_co_u32_e32 v27, vcc, 0, v27, vcc
	v_cmp_ne_u32_e32 vcc, 0, v19
                                        ; implicit-def: $vgpr17
	s_and_saveexec_b64 s[30:31], vcc
	s_xor_b64 s[30:31], exec, s[30:31]
; %bb.5850:                             ;   in Loop: Header=BB4_5706 Depth=3
	v_add_u32_e32 v17, 15, v21
	v_cmp_lt_u64_e32 vcc, s[56:57], v[26:27]
	v_cndmask_b32_e32 v17, v19, v17, vcc
	v_cndmask_b32_e64 v19, 0, 1, vcc
	v_lshrrev_b64 v[26:27], v19, v[26:27]
; %bb.5851:                             ;   in Loop: Header=BB4_5706 Depth=3
	s_andn2_saveexec_b64 vcc, s[30:31]
; %bb.5852:                             ;   in Loop: Header=BB4_5706 Depth=3
	v_bfe_u32 v17, v26, 23, 1
; %bb.5853:                             ;   in Loop: Header=BB4_5706 Depth=3
	s_or_b64 exec, exec, vcc
	v_lshrrev_b64 v[26:27], 21, v[26:27]
	v_cmp_gt_i32_e32 vcc, 32, v17
	v_cndmask_b32_e32 v27, 0, v27, vcc
	v_cndmask_b32_e32 v26, 3, v26, vcc
	v_cmp_ne_u32_e32 vcc, 0, v17
	v_cmp_ne_u64_e64 s[30:31], 0, v[26:27]
	s_or_b64 vcc, vcc, s[30:31]
                                        ; implicit-def: $vgpr38
	s_and_saveexec_b64 s[30:31], vcc
	s_xor_b64 vcc, exec, s[30:31]
; %bb.5854:                             ;   in Loop: Header=BB4_5706 Depth=3
	v_min_i32_e32 v17, 31, v17
	v_lshl_or_b32 v15, v17, 2, v15
	v_and_or_b32 v38, v26, 3, v15
                                        ; implicit-def: $vgpr15
; %bb.5855:                             ;   in Loop: Header=BB4_5706 Depth=3
	s_andn2_saveexec_b64 vcc, vcc
; %bb.5856:                             ;   in Loop: Header=BB4_5706 Depth=3
	v_mov_b32_e32 v38, v15
; %bb.5857:                             ;   in Loop: Header=BB4_5706 Depth=3
	s_or_b64 exec, exec, vcc
.LBB4_5858:                             ;   in Loop: Header=BB4_5706 Depth=3
	s_or_b64 exec, exec, s[74:75]
.LBB4_5859:                             ;   in Loop: Header=BB4_5706 Depth=3
	s_andn2_saveexec_b64 vcc, s[72:73]
	s_or_b64 exec, exec, vcc
                                        ; implicit-def: $vgpr17
.LBB4_5860:                             ;   in Loop: Header=BB4_5706 Depth=3
	s_andn2_saveexec_b64 s[30:31], s[70:71]
; %bb.5861:                             ;   in Loop: Header=BB4_5706 Depth=3
	v_or_b32_sdwa v15, v17, s39 dst_sel:DWORD dst_unused:UNUSED_PAD src0_sel:BYTE_3 src1_sel:DWORD
	v_cmp_eq_u64_e32 vcc, 0, v[42:43]
	v_cndmask_b32_e32 v38, v15, v38, vcc
; %bb.5862:                             ;   in Loop: Header=BB4_5706 Depth=3
	s_or_b64 exec, exec, s[30:31]
	v_and_b32_e32 v15, 0xff, v52
	s_and_b64 vcc, exec, s[28:29]
	v_cmp_ne_u16_e64 s[30:31], 0, v52
	s_cbranch_vccnz .LBB4_5880
; %bb.5863:                             ;   in Loop: Header=BB4_5706 Depth=3
	v_mov_b32_e32 v19, 0
	v_mov_b32_e32 v17, 0
	s_and_saveexec_b64 s[70:71], s[30:31]
	s_cbranch_execz .LBB4_5871
; %bb.5864:                             ;   in Loop: Header=BB4_5706 Depth=3
	v_cmp_ne_u16_e32 vcc, s94, v52
	v_bfrev_b32_e32 v17, 1
	s_and_saveexec_b64 s[72:73], vcc
	s_cbranch_execz .LBB4_5870
; %bb.5865:                             ;   in Loop: Header=BB4_5706 Depth=3
	v_and_b32_e32 v17, 0x7c, v15
	v_and_b32_e32 v21, 3, v15
	v_cmp_ne_u32_e32 vcc, s95, v17
                                        ; implicit-def: $vgpr17
	s_and_saveexec_b64 s[74:75], vcc
	s_xor_b64 s[74:75], exec, s[74:75]
	s_cbranch_execz .LBB4_5867
; %bb.5866:                             ;   in Loop: Header=BB4_5706 Depth=3
	v_ffbh_u32_e32 v25, v21
	v_bfe_u32 v17, v15, 2, 5
	v_min_u32_e32 v25, 32, v25
	v_mov_b32_e32 v53, v43
	v_subrev_u32_e32 v26, 29, v25
	v_sub_u32_e32 v25, 30, v25
	v_cmp_eq_u32_e32 vcc, 0, v17
	v_lshlrev_b64 v[26:27], v26, v[52:53]
	v_cndmask_b32_e32 v17, v17, v25, vcc
	v_bfrev_b32_e32 v25, 28
	v_bfe_i32 v23, v52, 0, 16
	v_and_b32_e32 v26, 3, v26
	v_lshl_add_u32 v17, v17, 23, v25
	v_cndmask_b32_e32 v21, v21, v26, vcc
	v_and_or_b32 v17, v23, s96, v17
	v_lshl_or_b32 v17, v21, 21, v17
                                        ; implicit-def: $vgpr21
.LBB4_5867:                             ;   in Loop: Header=BB4_5706 Depth=3
	s_andn2_saveexec_b64 s[74:75], s[74:75]
; %bb.5868:                             ;   in Loop: Header=BB4_5706 Depth=3
	v_cmp_lt_i16_e32 vcc, -1, v52
	v_cndmask_b32_e32 v17, v6, v1, vcc
	v_cmp_eq_u32_e32 vcc, 0, v21
	v_mov_b32_e32 v21, 0x7f800001
	v_cndmask_b32_e32 v17, v21, v17, vcc
; %bb.5869:                             ;   in Loop: Header=BB4_5706 Depth=3
	s_or_b64 exec, exec, s[74:75]
.LBB4_5870:                             ;   in Loop: Header=BB4_5706 Depth=3
	s_or_b64 exec, exec, s[72:73]
.LBB4_5871:                             ;   in Loop: Header=BB4_5706 Depth=3
	s_or_b64 exec, exec, s[70:71]
	v_cmp_ne_u16_e32 vcc, 0, v56
	s_and_saveexec_b64 s[70:71], vcc
	s_cbranch_execz .LBB4_5879
; %bb.5872:                             ;   in Loop: Header=BB4_5706 Depth=3
	v_cmp_ne_u16_e32 vcc, s94, v56
	v_bfrev_b32_e32 v19, 1
	s_and_saveexec_b64 s[72:73], vcc
	s_cbranch_execz .LBB4_5878
; %bb.5873:                             ;   in Loop: Header=BB4_5706 Depth=3
	v_and_b32_e32 v19, 0x7c, v56
	v_and_b32_e32 v21, 3, v56
	v_cmp_ne_u32_e32 vcc, s95, v19
                                        ; implicit-def: $vgpr19
	s_and_saveexec_b64 s[74:75], vcc
	s_xor_b64 s[74:75], exec, s[74:75]
	s_cbranch_execz .LBB4_5875
; %bb.5874:                             ;   in Loop: Header=BB4_5706 Depth=3
	v_and_b32_e32 v19, 0xff, v56
	v_ffbh_u32_e32 v25, v21
	v_bfe_u32 v19, v19, 2, 5
	v_min_u32_e32 v25, 32, v25
	v_mov_b32_e32 v57, v43
	v_subrev_u32_e32 v26, 29, v25
	v_sub_u32_e32 v25, 30, v25
	v_cmp_eq_u32_e32 vcc, 0, v19
	v_lshlrev_b64 v[26:27], v26, v[56:57]
	v_cndmask_b32_e32 v19, v19, v25, vcc
	v_bfrev_b32_e32 v25, 28
	v_bfe_i32 v23, v56, 0, 16
	v_and_b32_e32 v26, 3, v26
	v_lshl_add_u32 v19, v19, 23, v25
	v_cndmask_b32_e32 v21, v21, v26, vcc
	v_and_or_b32 v19, v23, s96, v19
	v_lshl_or_b32 v19, v21, 21, v19
                                        ; implicit-def: $vgpr21
.LBB4_5875:                             ;   in Loop: Header=BB4_5706 Depth=3
	s_andn2_saveexec_b64 s[74:75], s[74:75]
; %bb.5876:                             ;   in Loop: Header=BB4_5706 Depth=3
	v_cmp_lt_i16_e32 vcc, -1, v56
	v_cndmask_b32_e32 v19, v6, v1, vcc
	v_cmp_eq_u32_e32 vcc, 0, v21
	v_mov_b32_e32 v21, 0x7f800001
	v_cndmask_b32_e32 v19, v21, v19, vcc
; %bb.5877:                             ;   in Loop: Header=BB4_5706 Depth=3
	s_or_b64 exec, exec, s[74:75]
.LBB4_5878:                             ;   in Loop: Header=BB4_5706 Depth=3
	s_or_b64 exec, exec, s[72:73]
.LBB4_5879:                             ;   in Loop: Header=BB4_5706 Depth=3
	s_or_b64 exec, exec, s[70:71]
	v_max_f32_e32 v19, v19, v19
	v_max_f32_e32 v17, v17, v17
	;; [unrolled: 1-line block ×3, first 2 shown]
	s_branch .LBB4_5898
.LBB4_5880:                             ;   in Loop: Header=BB4_5706 Depth=3
                                        ; implicit-def: $vgpr17
	s_cbranch_execz .LBB4_5898
; %bb.5881:                             ;   in Loop: Header=BB4_5706 Depth=3
	v_mov_b32_e32 v19, 0
	v_mov_b32_e32 v17, 0
	s_and_saveexec_b64 s[70:71], s[30:31]
	s_cbranch_execz .LBB4_5889
; %bb.5882:                             ;   in Loop: Header=BB4_5706 Depth=3
	v_cmp_ne_u16_e32 vcc, s94, v52
	v_bfrev_b32_e32 v17, 1
	s_and_saveexec_b64 s[30:31], vcc
	s_cbranch_execz .LBB4_5888
; %bb.5883:                             ;   in Loop: Header=BB4_5706 Depth=3
	v_and_b32_e32 v17, 0x7c, v15
	v_and_b32_e32 v21, 3, v15
	v_cmp_ne_u32_e32 vcc, s95, v17
                                        ; implicit-def: $vgpr17
	s_and_saveexec_b64 s[72:73], vcc
	s_xor_b64 s[72:73], exec, s[72:73]
	s_cbranch_execz .LBB4_5885
; %bb.5884:                             ;   in Loop: Header=BB4_5706 Depth=3
	v_ffbh_u32_e32 v23, v21
	v_bfe_u32 v15, v15, 2, 5
	v_min_u32_e32 v23, 32, v23
	v_mov_b32_e32 v53, v43
	v_subrev_u32_e32 v25, 29, v23
	v_sub_u32_e32 v23, 30, v23
	v_cmp_eq_u32_e32 vcc, 0, v15
	v_lshlrev_b64 v[26:27], v25, v[52:53]
	v_cndmask_b32_e32 v15, v15, v23, vcc
	v_bfrev_b32_e32 v23, 28
	v_bfe_i32 v17, v52, 0, 16
	v_and_b32_e32 v25, 3, v26
	v_lshl_add_u32 v15, v15, 23, v23
	v_cndmask_b32_e32 v21, v21, v25, vcc
	v_and_or_b32 v15, v17, s96, v15
	v_lshl_or_b32 v17, v21, 21, v15
                                        ; implicit-def: $vgpr21
                                        ; implicit-def: $vgpr52
.LBB4_5885:                             ;   in Loop: Header=BB4_5706 Depth=3
	s_andn2_saveexec_b64 s[72:73], s[72:73]
; %bb.5886:                             ;   in Loop: Header=BB4_5706 Depth=3
	v_cmp_lt_i16_e32 vcc, -1, v52
	v_cndmask_b32_e32 v15, v6, v1, vcc
	v_cmp_eq_u32_e32 vcc, 0, v21
	v_mov_b32_e32 v17, 0x7f800001
	v_cndmask_b32_e32 v17, v17, v15, vcc
; %bb.5887:                             ;   in Loop: Header=BB4_5706 Depth=3
	s_or_b64 exec, exec, s[72:73]
.LBB4_5888:                             ;   in Loop: Header=BB4_5706 Depth=3
	s_or_b64 exec, exec, s[30:31]
.LBB4_5889:                             ;   in Loop: Header=BB4_5706 Depth=3
	s_or_b64 exec, exec, s[70:71]
	v_cmp_ne_u16_e32 vcc, 0, v56
	s_and_saveexec_b64 s[30:31], vcc
	s_cbranch_execz .LBB4_5897
; %bb.5890:                             ;   in Loop: Header=BB4_5706 Depth=3
	v_cmp_ne_u16_e32 vcc, s94, v56
	v_bfrev_b32_e32 v19, 1
	s_and_saveexec_b64 s[70:71], vcc
	s_cbranch_execz .LBB4_5896
; %bb.5891:                             ;   in Loop: Header=BB4_5706 Depth=3
	v_and_b32_e32 v19, 0x7c, v56
	v_and_b32_e32 v15, 3, v56
	v_cmp_ne_u32_e32 vcc, s95, v19
                                        ; implicit-def: $vgpr19
	s_and_saveexec_b64 s[72:73], vcc
	s_xor_b64 s[72:73], exec, s[72:73]
	s_cbranch_execz .LBB4_5893
; %bb.5892:                             ;   in Loop: Header=BB4_5706 Depth=3
	v_and_b32_e32 v19, 0xff, v56
	v_ffbh_u32_e32 v23, v15
	v_bfe_u32 v19, v19, 2, 5
	v_min_u32_e32 v23, 32, v23
	v_mov_b32_e32 v57, v43
	v_subrev_u32_e32 v25, 29, v23
	v_sub_u32_e32 v23, 30, v23
	v_cmp_eq_u32_e32 vcc, 0, v19
	v_lshlrev_b64 v[26:27], v25, v[56:57]
	v_cndmask_b32_e32 v19, v19, v23, vcc
	v_bfrev_b32_e32 v23, 28
	v_bfe_i32 v21, v56, 0, 16
	v_and_b32_e32 v25, 3, v26
	v_lshl_add_u32 v19, v19, 23, v23
	v_cndmask_b32_e32 v15, v15, v25, vcc
	v_and_or_b32 v19, v21, s96, v19
	v_lshl_or_b32 v19, v15, 21, v19
                                        ; implicit-def: $vgpr15
                                        ; implicit-def: $vgpr56
.LBB4_5893:                             ;   in Loop: Header=BB4_5706 Depth=3
	s_andn2_saveexec_b64 s[72:73], s[72:73]
; %bb.5894:                             ;   in Loop: Header=BB4_5706 Depth=3
	v_cmp_lt_i16_e32 vcc, -1, v56
	v_cndmask_b32_e32 v19, v6, v1, vcc
	v_cmp_eq_u32_e32 vcc, 0, v15
	v_mov_b32_e32 v15, 0x7f800001
	v_cndmask_b32_e32 v19, v15, v19, vcc
; %bb.5895:                             ;   in Loop: Header=BB4_5706 Depth=3
	s_or_b64 exec, exec, s[72:73]
.LBB4_5896:                             ;   in Loop: Header=BB4_5706 Depth=3
	s_or_b64 exec, exec, s[70:71]
.LBB4_5897:                             ;   in Loop: Header=BB4_5706 Depth=3
	s_or_b64 exec, exec, s[30:31]
	v_max_f32_e32 v15, v19, v19
	v_max_f32_e32 v17, v17, v17
	v_min_f32_e32 v17, v17, v15
.LBB4_5898:                             ;   in Loop: Header=BB4_5706 Depth=3
	v_and_b32_sdwa v15, v17, s97 dst_sel:DWORD dst_unused:UNUSED_PAD src0_sel:BYTE_3 src1_sel:DWORD
	v_and_b32_e32 v26, 0x7f800000, v17
	v_mov_b32_e32 v27, v43
	v_and_b32_e32 v42, 0x7fffff, v17
	v_or_b32_e32 v36, 0x7b, v15
	v_cmp_ne_u64_e32 vcc, s[52:53], v[26:27]
	s_and_saveexec_b64 s[30:31], vcc
	s_xor_b64 s[70:71], exec, s[30:31]
	s_cbranch_execz .LBB4_5912
; %bb.5899:                             ;   in Loop: Header=BB4_5706 Depth=3
	v_and_b32_e32 v26, 0x7fffffff, v17
	v_mov_b32_e32 v27, v43
	v_cmp_gt_u64_e32 vcc, s[54:55], v[26:27]
	s_and_saveexec_b64 s[30:31], vcc
	s_xor_b64 s[72:73], exec, s[30:31]
	s_cbranch_execz .LBB4_5911
; %bb.5900:                             ;   in Loop: Header=BB4_5706 Depth=3
	v_cmp_ne_u32_e32 vcc, 0, v17
	v_mov_b32_e32 v36, 0
	s_and_saveexec_b64 s[74:75], vcc
	s_cbranch_execz .LBB4_5910
; %bb.5901:                             ;   in Loop: Header=BB4_5706 Depth=3
	v_bfe_u32 v17, v17, 23, 8
	v_cmp_eq_u32_e32 vcc, 0, v17
	v_add_u32_e32 v19, 0xffffff81, v17
	v_cmp_gt_u32_e64 s[30:31], s38, v17
	v_sub_u32_e32 v17, 0x71, v17
	v_mov_b32_e32 v23, 0xffffff82
	v_cndmask_b32_e64 v17, 0, v17, s[30:31]
	v_cndmask_b32_e32 v19, v19, v23, vcc
	v_mov_b32_e32 v23, 0x70
	v_or_b32_e32 v21, 0x800000, v42
	v_cndmask_b32_e32 v17, v17, v23, vcc
	v_cndmask_b32_e32 v42, v21, v42, vcc
	v_add_u32_e32 v21, 21, v17
	v_lshlrev_b64 v[26:27], v21, -1
	v_not_b32_e32 v21, v27
	v_not_b32_e32 v23, v26
	v_and_b32_e32 v27, 0, v21
	v_add_u32_e32 v21, 20, v17
	v_and_b32_e32 v26, v42, v23
	v_lshlrev_b64 v[36:37], v21, 1
	v_cmp_eq_u64_e32 vcc, v[26:27], v[36:37]
	v_lshrrev_b64 v[26:27], v17, v[42:43]
	v_lshrrev_b32_e32 v21, 23, v26
	v_add3_u32 v21, v17, v19, v21
	v_bfe_u32 v17, v26, 21, 1
	v_add_u32_e32 v17, -1, v17
	v_cndmask_b32_e32 v17, 0, v17, vcc
	v_add_u32_e32 v17, v17, v26
	v_and_b32_e32 v17, 0x1fffff, v17
	v_add_co_u32_e32 v26, vcc, v17, v26
	v_add_u32_e32 v19, 14, v21
	v_addc_co_u32_e32 v27, vcc, 0, v27, vcc
	v_cmp_ne_u32_e32 vcc, 0, v19
                                        ; implicit-def: $vgpr17
	s_and_saveexec_b64 s[30:31], vcc
	s_xor_b64 s[30:31], exec, s[30:31]
; %bb.5902:                             ;   in Loop: Header=BB4_5706 Depth=3
	v_add_u32_e32 v17, 15, v21
	v_cmp_lt_u64_e32 vcc, s[56:57], v[26:27]
	v_cndmask_b32_e32 v17, v19, v17, vcc
	v_cndmask_b32_e64 v19, 0, 1, vcc
	v_lshrrev_b64 v[26:27], v19, v[26:27]
; %bb.5903:                             ;   in Loop: Header=BB4_5706 Depth=3
	s_andn2_saveexec_b64 vcc, s[30:31]
; %bb.5904:                             ;   in Loop: Header=BB4_5706 Depth=3
	v_bfe_u32 v17, v26, 23, 1
; %bb.5905:                             ;   in Loop: Header=BB4_5706 Depth=3
	s_or_b64 exec, exec, vcc
	v_lshrrev_b64 v[26:27], 21, v[26:27]
	v_cmp_gt_i32_e32 vcc, 32, v17
	v_cndmask_b32_e32 v27, 0, v27, vcc
	v_cndmask_b32_e32 v26, 3, v26, vcc
	v_cmp_ne_u32_e32 vcc, 0, v17
	v_cmp_ne_u64_e64 s[30:31], 0, v[26:27]
	s_or_b64 vcc, vcc, s[30:31]
                                        ; implicit-def: $vgpr36
	s_and_saveexec_b64 s[30:31], vcc
	s_xor_b64 vcc, exec, s[30:31]
; %bb.5906:                             ;   in Loop: Header=BB4_5706 Depth=3
	v_min_i32_e32 v17, 31, v17
	v_lshl_or_b32 v15, v17, 2, v15
	v_and_or_b32 v36, v26, 3, v15
                                        ; implicit-def: $vgpr15
; %bb.5907:                             ;   in Loop: Header=BB4_5706 Depth=3
	s_andn2_saveexec_b64 vcc, vcc
; %bb.5908:                             ;   in Loop: Header=BB4_5706 Depth=3
	v_mov_b32_e32 v36, v15
; %bb.5909:                             ;   in Loop: Header=BB4_5706 Depth=3
	s_or_b64 exec, exec, vcc
.LBB4_5910:                             ;   in Loop: Header=BB4_5706 Depth=3
	s_or_b64 exec, exec, s[74:75]
.LBB4_5911:                             ;   in Loop: Header=BB4_5706 Depth=3
	s_andn2_saveexec_b64 vcc, s[72:73]
	s_or_b64 exec, exec, vcc
                                        ; implicit-def: $vgpr17
.LBB4_5912:                             ;   in Loop: Header=BB4_5706 Depth=3
	s_andn2_saveexec_b64 s[30:31], s[70:71]
; %bb.5913:                             ;   in Loop: Header=BB4_5706 Depth=3
	v_or_b32_sdwa v15, v17, s39 dst_sel:DWORD dst_unused:UNUSED_PAD src0_sel:BYTE_3 src1_sel:DWORD
	v_cmp_eq_u64_e32 vcc, 0, v[42:43]
	v_cndmask_b32_e32 v36, v15, v36, vcc
; %bb.5914:                             ;   in Loop: Header=BB4_5706 Depth=3
	s_or_b64 exec, exec, s[30:31]
	v_and_b32_e32 v15, 0xff, v40
	s_and_b64 vcc, exec, s[28:29]
	v_cmp_ne_u16_e64 s[30:31], 0, v40
	s_cbranch_vccnz .LBB4_5932
; %bb.5915:                             ;   in Loop: Header=BB4_5706 Depth=3
	v_mov_b32_e32 v19, 0
	v_mov_b32_e32 v17, 0
	s_and_saveexec_b64 s[70:71], s[30:31]
	s_cbranch_execz .LBB4_5923
; %bb.5916:                             ;   in Loop: Header=BB4_5706 Depth=3
	v_cmp_ne_u16_e32 vcc, s94, v40
	v_bfrev_b32_e32 v17, 1
	s_and_saveexec_b64 s[72:73], vcc
	s_cbranch_execz .LBB4_5922
; %bb.5917:                             ;   in Loop: Header=BB4_5706 Depth=3
	v_and_b32_e32 v17, 0x7c, v15
	v_and_b32_e32 v21, 3, v15
	v_cmp_ne_u32_e32 vcc, s95, v17
                                        ; implicit-def: $vgpr17
	s_and_saveexec_b64 s[74:75], vcc
	s_xor_b64 s[74:75], exec, s[74:75]
	s_cbranch_execz .LBB4_5919
; %bb.5918:                             ;   in Loop: Header=BB4_5706 Depth=3
	v_ffbh_u32_e32 v25, v21
	v_bfe_u32 v17, v15, 2, 5
	v_min_u32_e32 v25, 32, v25
	v_mov_b32_e32 v41, v43
	v_subrev_u32_e32 v26, 29, v25
	v_sub_u32_e32 v25, 30, v25
	v_cmp_eq_u32_e32 vcc, 0, v17
	v_lshlrev_b64 v[26:27], v26, v[40:41]
	v_cndmask_b32_e32 v17, v17, v25, vcc
	v_bfrev_b32_e32 v25, 28
	v_bfe_i32 v23, v40, 0, 16
	v_and_b32_e32 v26, 3, v26
	v_lshl_add_u32 v17, v17, 23, v25
	v_cndmask_b32_e32 v21, v21, v26, vcc
	v_and_or_b32 v17, v23, s96, v17
	v_accvgpr_read_b32 v41, a25
	v_lshl_or_b32 v17, v21, 21, v17
                                        ; implicit-def: $vgpr21
.LBB4_5919:                             ;   in Loop: Header=BB4_5706 Depth=3
	s_andn2_saveexec_b64 s[74:75], s[74:75]
; %bb.5920:                             ;   in Loop: Header=BB4_5706 Depth=3
	v_cmp_lt_i16_e32 vcc, -1, v40
	v_cndmask_b32_e32 v17, v6, v1, vcc
	v_cmp_eq_u32_e32 vcc, 0, v21
	v_mov_b32_e32 v21, 0x7f800001
	v_cndmask_b32_e32 v17, v21, v17, vcc
; %bb.5921:                             ;   in Loop: Header=BB4_5706 Depth=3
	s_or_b64 exec, exec, s[74:75]
.LBB4_5922:                             ;   in Loop: Header=BB4_5706 Depth=3
	s_or_b64 exec, exec, s[72:73]
.LBB4_5923:                             ;   in Loop: Header=BB4_5706 Depth=3
	s_or_b64 exec, exec, s[70:71]
	v_cmp_ne_u16_e32 vcc, 0, v28
	s_and_saveexec_b64 s[70:71], vcc
	s_cbranch_execz .LBB4_5931
; %bb.5924:                             ;   in Loop: Header=BB4_5706 Depth=3
	v_cmp_ne_u16_e32 vcc, s94, v28
	v_bfrev_b32_e32 v19, 1
	s_and_saveexec_b64 s[72:73], vcc
	s_cbranch_execz .LBB4_5930
; %bb.5925:                             ;   in Loop: Header=BB4_5706 Depth=3
	v_and_b32_e32 v19, 0x7c, v28
	v_and_b32_e32 v21, 3, v28
	v_cmp_ne_u32_e32 vcc, s95, v19
                                        ; implicit-def: $vgpr19
	s_and_saveexec_b64 s[74:75], vcc
	s_xor_b64 s[74:75], exec, s[74:75]
	s_cbranch_execz .LBB4_5927
; %bb.5926:                             ;   in Loop: Header=BB4_5706 Depth=3
	v_and_b32_e32 v19, 0xff, v28
	v_ffbh_u32_e32 v25, v21
	v_bfe_u32 v19, v19, 2, 5
	v_min_u32_e32 v25, 32, v25
	v_mov_b32_e32 v29, v43
	v_subrev_u32_e32 v26, 29, v25
	v_sub_u32_e32 v25, 30, v25
	v_cmp_eq_u32_e32 vcc, 0, v19
	v_lshlrev_b64 v[26:27], v26, v[28:29]
	v_cndmask_b32_e32 v19, v19, v25, vcc
	v_bfrev_b32_e32 v25, 28
	v_bfe_i32 v23, v28, 0, 16
	v_and_b32_e32 v26, 3, v26
	v_lshl_add_u32 v19, v19, 23, v25
	v_cndmask_b32_e32 v21, v21, v26, vcc
	v_and_or_b32 v19, v23, s96, v19
	v_lshl_or_b32 v19, v21, 21, v19
                                        ; implicit-def: $vgpr21
.LBB4_5927:                             ;   in Loop: Header=BB4_5706 Depth=3
	s_andn2_saveexec_b64 s[74:75], s[74:75]
; %bb.5928:                             ;   in Loop: Header=BB4_5706 Depth=3
	v_cmp_lt_i16_e32 vcc, -1, v28
	v_cndmask_b32_e32 v19, v6, v1, vcc
	v_cmp_eq_u32_e32 vcc, 0, v21
	v_mov_b32_e32 v21, 0x7f800001
	v_cndmask_b32_e32 v19, v21, v19, vcc
; %bb.5929:                             ;   in Loop: Header=BB4_5706 Depth=3
	s_or_b64 exec, exec, s[74:75]
.LBB4_5930:                             ;   in Loop: Header=BB4_5706 Depth=3
	s_or_b64 exec, exec, s[72:73]
.LBB4_5931:                             ;   in Loop: Header=BB4_5706 Depth=3
	s_or_b64 exec, exec, s[70:71]
	v_max_f32_e32 v19, v19, v19
	v_max_f32_e32 v17, v17, v17
	;; [unrolled: 1-line block ×3, first 2 shown]
	s_branch .LBB4_5950
.LBB4_5932:                             ;   in Loop: Header=BB4_5706 Depth=3
                                        ; implicit-def: $vgpr17
	s_cbranch_execz .LBB4_5950
; %bb.5933:                             ;   in Loop: Header=BB4_5706 Depth=3
	v_mov_b32_e32 v19, 0
	v_mov_b32_e32 v17, 0
	s_and_saveexec_b64 s[70:71], s[30:31]
	s_cbranch_execz .LBB4_5941
; %bb.5934:                             ;   in Loop: Header=BB4_5706 Depth=3
	v_cmp_ne_u16_e32 vcc, s94, v40
	v_bfrev_b32_e32 v17, 1
	s_and_saveexec_b64 s[30:31], vcc
	s_cbranch_execz .LBB4_5940
; %bb.5935:                             ;   in Loop: Header=BB4_5706 Depth=3
	v_and_b32_e32 v17, 0x7c, v15
	v_and_b32_e32 v21, 3, v15
	v_cmp_ne_u32_e32 vcc, s95, v17
                                        ; implicit-def: $vgpr17
	s_and_saveexec_b64 s[72:73], vcc
	s_xor_b64 s[72:73], exec, s[72:73]
	s_cbranch_execz .LBB4_5937
; %bb.5936:                             ;   in Loop: Header=BB4_5706 Depth=3
	v_ffbh_u32_e32 v23, v21
	v_bfe_u32 v15, v15, 2, 5
	v_min_u32_e32 v23, 32, v23
	v_mov_b32_e32 v41, v43
	v_subrev_u32_e32 v25, 29, v23
	v_sub_u32_e32 v23, 30, v23
	v_cmp_eq_u32_e32 vcc, 0, v15
	v_lshlrev_b64 v[26:27], v25, v[40:41]
	v_cndmask_b32_e32 v15, v15, v23, vcc
	v_bfrev_b32_e32 v23, 28
	v_bfe_i32 v17, v40, 0, 16
	v_and_b32_e32 v25, 3, v26
	v_lshl_add_u32 v15, v15, 23, v23
	v_cndmask_b32_e32 v21, v21, v25, vcc
	v_and_or_b32 v15, v17, s96, v15
	v_accvgpr_read_b32 v41, a25
	v_lshl_or_b32 v17, v21, 21, v15
                                        ; implicit-def: $vgpr21
                                        ; implicit-def: $vgpr40
.LBB4_5937:                             ;   in Loop: Header=BB4_5706 Depth=3
	s_andn2_saveexec_b64 s[72:73], s[72:73]
; %bb.5938:                             ;   in Loop: Header=BB4_5706 Depth=3
	v_cmp_lt_i16_e32 vcc, -1, v40
	v_cndmask_b32_e32 v15, v6, v1, vcc
	v_cmp_eq_u32_e32 vcc, 0, v21
	v_mov_b32_e32 v17, 0x7f800001
	v_cndmask_b32_e32 v17, v17, v15, vcc
; %bb.5939:                             ;   in Loop: Header=BB4_5706 Depth=3
	s_or_b64 exec, exec, s[72:73]
.LBB4_5940:                             ;   in Loop: Header=BB4_5706 Depth=3
	s_or_b64 exec, exec, s[30:31]
.LBB4_5941:                             ;   in Loop: Header=BB4_5706 Depth=3
	s_or_b64 exec, exec, s[70:71]
	v_cmp_ne_u16_e32 vcc, 0, v28
	s_and_saveexec_b64 s[30:31], vcc
	s_cbranch_execz .LBB4_5949
; %bb.5942:                             ;   in Loop: Header=BB4_5706 Depth=3
	v_cmp_ne_u16_e32 vcc, s94, v28
	v_bfrev_b32_e32 v19, 1
	s_and_saveexec_b64 s[70:71], vcc
	s_cbranch_execz .LBB4_5948
; %bb.5943:                             ;   in Loop: Header=BB4_5706 Depth=3
	v_and_b32_e32 v19, 0x7c, v28
	v_and_b32_e32 v15, 3, v28
	v_cmp_ne_u32_e32 vcc, s95, v19
                                        ; implicit-def: $vgpr19
	s_and_saveexec_b64 s[72:73], vcc
	s_xor_b64 s[72:73], exec, s[72:73]
	s_cbranch_execz .LBB4_5945
; %bb.5944:                             ;   in Loop: Header=BB4_5706 Depth=3
	v_and_b32_e32 v19, 0xff, v28
	v_ffbh_u32_e32 v23, v15
	v_bfe_u32 v19, v19, 2, 5
	v_min_u32_e32 v23, 32, v23
	v_mov_b32_e32 v29, v43
	v_subrev_u32_e32 v25, 29, v23
	v_sub_u32_e32 v23, 30, v23
	v_cmp_eq_u32_e32 vcc, 0, v19
	v_lshlrev_b64 v[26:27], v25, v[28:29]
	v_cndmask_b32_e32 v19, v19, v23, vcc
	v_bfrev_b32_e32 v23, 28
	v_bfe_i32 v21, v28, 0, 16
	v_and_b32_e32 v25, 3, v26
	v_lshl_add_u32 v19, v19, 23, v23
	v_cndmask_b32_e32 v15, v15, v25, vcc
	v_and_or_b32 v19, v21, s96, v19
	v_lshl_or_b32 v19, v15, 21, v19
                                        ; implicit-def: $vgpr15
                                        ; implicit-def: $vgpr28
.LBB4_5945:                             ;   in Loop: Header=BB4_5706 Depth=3
	s_andn2_saveexec_b64 s[72:73], s[72:73]
; %bb.5946:                             ;   in Loop: Header=BB4_5706 Depth=3
	v_cmp_lt_i16_e32 vcc, -1, v28
	v_cndmask_b32_e32 v19, v6, v1, vcc
	v_cmp_eq_u32_e32 vcc, 0, v15
	v_mov_b32_e32 v15, 0x7f800001
	v_cndmask_b32_e32 v19, v15, v19, vcc
; %bb.5947:                             ;   in Loop: Header=BB4_5706 Depth=3
	s_or_b64 exec, exec, s[72:73]
.LBB4_5948:                             ;   in Loop: Header=BB4_5706 Depth=3
	s_or_b64 exec, exec, s[70:71]
.LBB4_5949:                             ;   in Loop: Header=BB4_5706 Depth=3
	s_or_b64 exec, exec, s[30:31]
	v_max_f32_e32 v15, v19, v19
	v_max_f32_e32 v17, v17, v17
	v_min_f32_e32 v17, v17, v15
.LBB4_5950:                             ;   in Loop: Header=BB4_5706 Depth=3
	v_and_b32_sdwa v15, v17, s97 dst_sel:DWORD dst_unused:UNUSED_PAD src0_sel:BYTE_3 src1_sel:DWORD
	v_and_b32_e32 v28, 0x7f800000, v17
	v_mov_b32_e32 v29, v43
	v_and_b32_e32 v42, 0x7fffff, v17
	v_or_b32_e32 v27, 0x7b, v15
	v_cmp_ne_u64_e32 vcc, s[52:53], v[28:29]
	s_and_saveexec_b64 s[30:31], vcc
	s_xor_b64 s[70:71], exec, s[30:31]
	s_cbranch_execz .LBB4_5964
; %bb.5951:                             ;   in Loop: Header=BB4_5706 Depth=3
	v_and_b32_e32 v28, 0x7fffffff, v17
	v_mov_b32_e32 v29, v43
	v_cmp_gt_u64_e32 vcc, s[54:55], v[28:29]
	s_and_saveexec_b64 s[30:31], vcc
	s_xor_b64 s[72:73], exec, s[30:31]
	s_cbranch_execz .LBB4_5963
; %bb.5952:                             ;   in Loop: Header=BB4_5706 Depth=3
	v_cmp_ne_u32_e32 vcc, 0, v17
	v_mov_b32_e32 v27, 0
	s_and_saveexec_b64 s[74:75], vcc
	s_cbranch_execz .LBB4_5962
; %bb.5953:                             ;   in Loop: Header=BB4_5706 Depth=3
	v_bfe_u32 v17, v17, 23, 8
	v_cmp_eq_u32_e32 vcc, 0, v17
	v_add_u32_e32 v19, 0xffffff81, v17
	v_cmp_gt_u32_e64 s[30:31], s38, v17
	v_sub_u32_e32 v17, 0x71, v17
	v_mov_b32_e32 v23, 0xffffff82
	v_cndmask_b32_e64 v17, 0, v17, s[30:31]
	v_cndmask_b32_e32 v19, v19, v23, vcc
	v_mov_b32_e32 v23, 0x70
	v_or_b32_e32 v21, 0x800000, v42
	v_cndmask_b32_e32 v17, v17, v23, vcc
	v_cndmask_b32_e32 v42, v21, v42, vcc
	v_add_u32_e32 v21, 21, v17
	v_lshlrev_b64 v[26:27], v21, -1
	v_not_b32_e32 v21, v27
	v_not_b32_e32 v23, v26
	v_and_b32_e32 v27, 0, v21
	v_add_u32_e32 v21, 20, v17
	v_and_b32_e32 v26, v42, v23
	v_lshlrev_b64 v[28:29], v21, 1
	v_cmp_eq_u64_e32 vcc, v[26:27], v[28:29]
	v_lshrrev_b64 v[26:27], v17, v[42:43]
	v_lshrrev_b32_e32 v21, 23, v26
	v_add3_u32 v21, v17, v19, v21
	v_bfe_u32 v17, v26, 21, 1
	v_add_u32_e32 v17, -1, v17
	v_cndmask_b32_e32 v17, 0, v17, vcc
	v_add_u32_e32 v17, v17, v26
	v_and_b32_e32 v17, 0x1fffff, v17
	v_add_co_u32_e32 v26, vcc, v17, v26
	v_add_u32_e32 v19, 14, v21
	v_addc_co_u32_e32 v27, vcc, 0, v27, vcc
	v_cmp_ne_u32_e32 vcc, 0, v19
                                        ; implicit-def: $vgpr17
	s_and_saveexec_b64 s[30:31], vcc
	s_xor_b64 s[30:31], exec, s[30:31]
; %bb.5954:                             ;   in Loop: Header=BB4_5706 Depth=3
	v_add_u32_e32 v17, 15, v21
	v_cmp_lt_u64_e32 vcc, s[56:57], v[26:27]
	v_cndmask_b32_e32 v17, v19, v17, vcc
	v_cndmask_b32_e64 v19, 0, 1, vcc
	v_lshrrev_b64 v[26:27], v19, v[26:27]
; %bb.5955:                             ;   in Loop: Header=BB4_5706 Depth=3
	s_andn2_saveexec_b64 vcc, s[30:31]
; %bb.5956:                             ;   in Loop: Header=BB4_5706 Depth=3
	v_bfe_u32 v17, v26, 23, 1
; %bb.5957:                             ;   in Loop: Header=BB4_5706 Depth=3
	s_or_b64 exec, exec, vcc
	v_lshrrev_b64 v[26:27], 21, v[26:27]
	v_cmp_gt_i32_e32 vcc, 32, v17
	v_cndmask_b32_e32 v27, 0, v27, vcc
	v_cndmask_b32_e32 v26, 3, v26, vcc
	v_cmp_ne_u32_e32 vcc, 0, v17
	v_cmp_ne_u64_e64 s[30:31], 0, v[26:27]
	s_or_b64 vcc, vcc, s[30:31]
                                        ; implicit-def: $vgpr27
	s_and_saveexec_b64 s[30:31], vcc
	s_xor_b64 vcc, exec, s[30:31]
; %bb.5958:                             ;   in Loop: Header=BB4_5706 Depth=3
	v_min_i32_e32 v17, 31, v17
	v_lshl_or_b32 v15, v17, 2, v15
	v_and_or_b32 v27, v26, 3, v15
                                        ; implicit-def: $vgpr15
; %bb.5959:                             ;   in Loop: Header=BB4_5706 Depth=3
	s_andn2_saveexec_b64 vcc, vcc
; %bb.5960:                             ;   in Loop: Header=BB4_5706 Depth=3
	v_mov_b32_e32 v27, v15
; %bb.5961:                             ;   in Loop: Header=BB4_5706 Depth=3
	s_or_b64 exec, exec, vcc
.LBB4_5962:                             ;   in Loop: Header=BB4_5706 Depth=3
	s_or_b64 exec, exec, s[74:75]
.LBB4_5963:                             ;   in Loop: Header=BB4_5706 Depth=3
	s_andn2_saveexec_b64 vcc, s[72:73]
	s_or_b64 exec, exec, vcc
                                        ; implicit-def: $vgpr17
.LBB4_5964:                             ;   in Loop: Header=BB4_5706 Depth=3
	s_andn2_saveexec_b64 s[30:31], s[70:71]
; %bb.5965:                             ;   in Loop: Header=BB4_5706 Depth=3
	v_or_b32_sdwa v15, v17, s39 dst_sel:DWORD dst_unused:UNUSED_PAD src0_sel:BYTE_3 src1_sel:DWORD
	v_cmp_eq_u64_e32 vcc, 0, v[42:43]
	v_cndmask_b32_e32 v27, v15, v27, vcc
; %bb.5966:                             ;   in Loop: Header=BB4_5706 Depth=3
	s_or_b64 exec, exec, s[30:31]
	v_and_b32_e32 v15, 0xff, v24
	s_and_b64 vcc, exec, s[28:29]
	v_cmp_ne_u16_e64 s[30:31], 0, v24
	s_cbranch_vccnz .LBB4_5984
; %bb.5967:                             ;   in Loop: Header=BB4_5706 Depth=3
	v_mov_b32_e32 v19, 0
	v_mov_b32_e32 v17, 0
	s_and_saveexec_b64 s[70:71], s[30:31]
	s_cbranch_execz .LBB4_5975
; %bb.5968:                             ;   in Loop: Header=BB4_5706 Depth=3
	v_cmp_ne_u16_e32 vcc, s94, v24
	v_bfrev_b32_e32 v17, 1
	s_and_saveexec_b64 s[72:73], vcc
	s_cbranch_execz .LBB4_5974
; %bb.5969:                             ;   in Loop: Header=BB4_5706 Depth=3
	v_and_b32_e32 v17, 0x7c, v15
	v_and_b32_e32 v21, 3, v15
	v_cmp_ne_u32_e32 vcc, s95, v17
                                        ; implicit-def: $vgpr17
	s_and_saveexec_b64 s[74:75], vcc
	s_xor_b64 s[74:75], exec, s[74:75]
	s_cbranch_execz .LBB4_5971
; %bb.5970:                             ;   in Loop: Header=BB4_5706 Depth=3
	v_ffbh_u32_e32 v26, v21
	v_min_u32_e32 v26, 32, v26
	v_mov_b32_e32 v25, v43
	v_bfe_u32 v17, v15, 2, 5
	v_subrev_u32_e32 v28, 29, v26
	v_lshlrev_b64 v[28:29], v28, v[24:25]
	v_sub_u32_e32 v25, 30, v26
	v_cmp_eq_u32_e32 vcc, 0, v17
	v_cndmask_b32_e32 v17, v17, v25, vcc
	v_bfrev_b32_e32 v25, 28
	v_bfe_i32 v23, v24, 0, 16
	v_and_b32_e32 v26, 3, v28
	v_lshl_add_u32 v17, v17, 23, v25
	v_cndmask_b32_e32 v21, v21, v26, vcc
	v_and_or_b32 v17, v23, s96, v17
	v_lshl_or_b32 v17, v21, 21, v17
                                        ; implicit-def: $vgpr21
.LBB4_5971:                             ;   in Loop: Header=BB4_5706 Depth=3
	s_andn2_saveexec_b64 s[74:75], s[74:75]
; %bb.5972:                             ;   in Loop: Header=BB4_5706 Depth=3
	v_cmp_lt_i16_e32 vcc, -1, v24
	v_cndmask_b32_e32 v17, v6, v1, vcc
	v_cmp_eq_u32_e32 vcc, 0, v21
	v_mov_b32_e32 v21, 0x7f800001
	v_cndmask_b32_e32 v17, v21, v17, vcc
; %bb.5973:                             ;   in Loop: Header=BB4_5706 Depth=3
	s_or_b64 exec, exec, s[74:75]
.LBB4_5974:                             ;   in Loop: Header=BB4_5706 Depth=3
	s_or_b64 exec, exec, s[72:73]
.LBB4_5975:                             ;   in Loop: Header=BB4_5706 Depth=3
	s_or_b64 exec, exec, s[70:71]
	v_cmp_ne_u16_e32 vcc, 0, v22
	s_and_saveexec_b64 s[70:71], vcc
	s_cbranch_execz .LBB4_5983
; %bb.5976:                             ;   in Loop: Header=BB4_5706 Depth=3
	v_cmp_ne_u16_e32 vcc, s94, v22
	v_bfrev_b32_e32 v19, 1
	s_and_saveexec_b64 s[72:73], vcc
	s_cbranch_execz .LBB4_5982
; %bb.5977:                             ;   in Loop: Header=BB4_5706 Depth=3
	v_and_b32_e32 v19, 0x7c, v22
	v_and_b32_e32 v21, 3, v22
	v_cmp_ne_u32_e32 vcc, s95, v19
                                        ; implicit-def: $vgpr19
	s_and_saveexec_b64 s[74:75], vcc
	s_xor_b64 s[74:75], exec, s[74:75]
	s_cbranch_execz .LBB4_5979
; %bb.5978:                             ;   in Loop: Header=BB4_5706 Depth=3
	v_ffbh_u32_e32 v26, v21
	v_and_b32_e32 v19, 0xff, v22
	v_min_u32_e32 v26, 32, v26
	v_mov_b32_e32 v23, v43
	v_bfe_u32 v19, v19, 2, 5
	v_subrev_u32_e32 v28, 29, v26
	v_lshlrev_b64 v[28:29], v28, v[22:23]
	v_sub_u32_e32 v23, 30, v26
	v_cmp_eq_u32_e32 vcc, 0, v19
	v_cndmask_b32_e32 v19, v19, v23, vcc
	v_bfrev_b32_e32 v23, 28
	v_bfe_i32 v25, v22, 0, 16
	v_and_b32_e32 v26, 3, v28
	v_lshl_add_u32 v19, v19, 23, v23
	v_cndmask_b32_e32 v21, v21, v26, vcc
	v_and_or_b32 v19, v25, s96, v19
	v_lshl_or_b32 v19, v21, 21, v19
                                        ; implicit-def: $vgpr21
.LBB4_5979:                             ;   in Loop: Header=BB4_5706 Depth=3
	s_andn2_saveexec_b64 s[74:75], s[74:75]
; %bb.5980:                             ;   in Loop: Header=BB4_5706 Depth=3
	v_cmp_lt_i16_e32 vcc, -1, v22
	v_cndmask_b32_e32 v19, v6, v1, vcc
	v_cmp_eq_u32_e32 vcc, 0, v21
	v_mov_b32_e32 v21, 0x7f800001
	v_cndmask_b32_e32 v19, v21, v19, vcc
; %bb.5981:                             ;   in Loop: Header=BB4_5706 Depth=3
	s_or_b64 exec, exec, s[74:75]
.LBB4_5982:                             ;   in Loop: Header=BB4_5706 Depth=3
	s_or_b64 exec, exec, s[72:73]
.LBB4_5983:                             ;   in Loop: Header=BB4_5706 Depth=3
	s_or_b64 exec, exec, s[70:71]
	v_max_f32_e32 v19, v19, v19
	v_max_f32_e32 v17, v17, v17
	;; [unrolled: 1-line block ×3, first 2 shown]
	s_branch .LBB4_6002
.LBB4_5984:                             ;   in Loop: Header=BB4_5706 Depth=3
                                        ; implicit-def: $vgpr17
	s_cbranch_execz .LBB4_6002
; %bb.5985:                             ;   in Loop: Header=BB4_5706 Depth=3
	v_mov_b32_e32 v19, 0
	v_mov_b32_e32 v17, 0
	s_and_saveexec_b64 s[70:71], s[30:31]
	s_cbranch_execz .LBB4_5993
; %bb.5986:                             ;   in Loop: Header=BB4_5706 Depth=3
	v_cmp_ne_u16_e32 vcc, s94, v24
	v_bfrev_b32_e32 v17, 1
	s_and_saveexec_b64 s[30:31], vcc
	s_cbranch_execz .LBB4_5992
; %bb.5987:                             ;   in Loop: Header=BB4_5706 Depth=3
	v_and_b32_e32 v17, 0x7c, v15
	v_and_b32_e32 v21, 3, v15
	v_cmp_ne_u32_e32 vcc, s95, v17
                                        ; implicit-def: $vgpr17
	s_and_saveexec_b64 s[72:73], vcc
	s_xor_b64 s[72:73], exec, s[72:73]
	s_cbranch_execz .LBB4_5989
; %bb.5988:                             ;   in Loop: Header=BB4_5706 Depth=3
	v_ffbh_u32_e32 v23, v21
	v_bfe_u32 v15, v15, 2, 5
	v_min_u32_e32 v23, 32, v23
	v_mov_b32_e32 v25, v43
	v_subrev_u32_e32 v26, 29, v23
	v_sub_u32_e32 v23, 30, v23
	v_cmp_eq_u32_e32 vcc, 0, v15
	v_bfe_i32 v17, v24, 0, 16
	v_lshlrev_b64 v[24:25], v26, v[24:25]
	v_cndmask_b32_e32 v15, v15, v23, vcc
	v_bfrev_b32_e32 v23, 28
	v_and_b32_e32 v24, 3, v24
	v_lshl_add_u32 v15, v15, 23, v23
	v_cndmask_b32_e32 v21, v21, v24, vcc
	v_and_or_b32 v15, v17, s96, v15
	v_lshl_or_b32 v17, v21, 21, v15
                                        ; implicit-def: $vgpr21
                                        ; implicit-def: $vgpr24
.LBB4_5989:                             ;   in Loop: Header=BB4_5706 Depth=3
	s_andn2_saveexec_b64 s[72:73], s[72:73]
; %bb.5990:                             ;   in Loop: Header=BB4_5706 Depth=3
	v_cmp_lt_i16_e32 vcc, -1, v24
	v_cndmask_b32_e32 v15, v6, v1, vcc
	v_cmp_eq_u32_e32 vcc, 0, v21
	v_mov_b32_e32 v17, 0x7f800001
	v_cndmask_b32_e32 v17, v17, v15, vcc
; %bb.5991:                             ;   in Loop: Header=BB4_5706 Depth=3
	s_or_b64 exec, exec, s[72:73]
.LBB4_5992:                             ;   in Loop: Header=BB4_5706 Depth=3
	s_or_b64 exec, exec, s[30:31]
.LBB4_5993:                             ;   in Loop: Header=BB4_5706 Depth=3
	s_or_b64 exec, exec, s[70:71]
	v_cmp_ne_u16_e32 vcc, 0, v22
	s_and_saveexec_b64 s[30:31], vcc
	s_cbranch_execz .LBB4_6001
; %bb.5994:                             ;   in Loop: Header=BB4_5706 Depth=3
	v_cmp_ne_u16_e32 vcc, s94, v22
	v_bfrev_b32_e32 v19, 1
	s_and_saveexec_b64 s[70:71], vcc
	s_cbranch_execz .LBB4_6000
; %bb.5995:                             ;   in Loop: Header=BB4_5706 Depth=3
	v_and_b32_e32 v19, 0x7c, v22
	v_and_b32_e32 v15, 3, v22
	v_cmp_ne_u32_e32 vcc, s95, v19
                                        ; implicit-def: $vgpr19
	s_and_saveexec_b64 s[72:73], vcc
	s_xor_b64 s[72:73], exec, s[72:73]
	s_cbranch_execz .LBB4_5997
; %bb.5996:                             ;   in Loop: Header=BB4_5706 Depth=3
	v_ffbh_u32_e32 v24, v15
	v_min_u32_e32 v24, 32, v24
	v_and_b32_e32 v19, 0xff, v22
	v_mov_b32_e32 v23, v43
	v_subrev_u32_e32 v25, 29, v24
	v_bfe_u32 v19, v19, 2, 5
	v_bfe_i32 v21, v22, 0, 16
	v_lshlrev_b64 v[22:23], v25, v[22:23]
	v_sub_u32_e32 v23, 30, v24
	v_and_b32_e32 v22, 3, v22
	v_cmp_eq_u32_e32 vcc, 0, v19
	v_cndmask_b32_e32 v19, v19, v23, vcc
	v_cndmask_b32_e32 v15, v15, v22, vcc
	v_bfrev_b32_e32 v22, 28
	v_lshl_add_u32 v19, v19, 23, v22
	v_and_or_b32 v19, v21, s96, v19
	v_lshl_or_b32 v19, v15, 21, v19
                                        ; implicit-def: $vgpr15
                                        ; implicit-def: $vgpr22
.LBB4_5997:                             ;   in Loop: Header=BB4_5706 Depth=3
	s_andn2_saveexec_b64 s[72:73], s[72:73]
; %bb.5998:                             ;   in Loop: Header=BB4_5706 Depth=3
	v_cmp_lt_i16_e32 vcc, -1, v22
	v_cndmask_b32_e32 v19, v6, v1, vcc
	v_cmp_eq_u32_e32 vcc, 0, v15
	v_mov_b32_e32 v15, 0x7f800001
	v_cndmask_b32_e32 v19, v15, v19, vcc
; %bb.5999:                             ;   in Loop: Header=BB4_5706 Depth=3
	s_or_b64 exec, exec, s[72:73]
.LBB4_6000:                             ;   in Loop: Header=BB4_5706 Depth=3
	s_or_b64 exec, exec, s[70:71]
.LBB4_6001:                             ;   in Loop: Header=BB4_5706 Depth=3
	s_or_b64 exec, exec, s[30:31]
	v_max_f32_e32 v15, v19, v19
	v_max_f32_e32 v17, v17, v17
	v_min_f32_e32 v17, v17, v15
.LBB4_6002:                             ;   in Loop: Header=BB4_5706 Depth=3
	v_and_b32_sdwa v15, v17, s97 dst_sel:DWORD dst_unused:UNUSED_PAD src0_sel:BYTE_3 src1_sel:DWORD
	v_and_b32_e32 v24, 0x7f800000, v17
	v_mov_b32_e32 v25, v43
	v_and_b32_e32 v42, 0x7fffff, v17
	v_or_b32_e32 v23, 0x7b, v15
	v_cmp_ne_u64_e32 vcc, s[52:53], v[24:25]
	s_and_saveexec_b64 s[30:31], vcc
	s_xor_b64 s[70:71], exec, s[30:31]
	s_cbranch_execz .LBB4_6016
; %bb.6003:                             ;   in Loop: Header=BB4_5706 Depth=3
	v_and_b32_e32 v24, 0x7fffffff, v17
	v_mov_b32_e32 v25, v43
	v_cmp_gt_u64_e32 vcc, s[54:55], v[24:25]
	s_and_saveexec_b64 s[30:31], vcc
	s_xor_b64 s[72:73], exec, s[30:31]
	s_cbranch_execz .LBB4_6015
; %bb.6004:                             ;   in Loop: Header=BB4_5706 Depth=3
	v_cmp_ne_u32_e32 vcc, 0, v17
	v_mov_b32_e32 v23, 0
	s_and_saveexec_b64 s[74:75], vcc
	s_cbranch_execz .LBB4_6014
; %bb.6005:                             ;   in Loop: Header=BB4_5706 Depth=3
	v_bfe_u32 v17, v17, 23, 8
	v_cmp_eq_u32_e32 vcc, 0, v17
	v_add_u32_e32 v19, 0xffffff81, v17
	v_cmp_gt_u32_e64 s[30:31], s38, v17
	v_sub_u32_e32 v17, 0x71, v17
	v_mov_b32_e32 v22, 0xffffff82
	v_cndmask_b32_e64 v17, 0, v17, s[30:31]
	v_cndmask_b32_e32 v19, v19, v22, vcc
	v_mov_b32_e32 v22, 0x70
	v_or_b32_e32 v21, 0x800000, v42
	v_cndmask_b32_e32 v17, v17, v22, vcc
	v_cndmask_b32_e32 v42, v21, v42, vcc
	v_add_u32_e32 v21, 21, v17
	v_lshlrev_b64 v[22:23], v21, -1
	v_not_b32_e32 v21, v23
	v_not_b32_e32 v22, v22
	v_and_b32_e32 v23, 0, v21
	v_add_u32_e32 v21, 20, v17
	v_and_b32_e32 v22, v42, v22
	v_lshlrev_b64 v[24:25], v21, 1
	v_cmp_eq_u64_e32 vcc, v[22:23], v[24:25]
	v_lshrrev_b64 v[22:23], v17, v[42:43]
	v_lshrrev_b32_e32 v21, 23, v22
	v_add3_u32 v21, v17, v19, v21
	v_bfe_u32 v17, v22, 21, 1
	v_add_u32_e32 v17, -1, v17
	v_cndmask_b32_e32 v17, 0, v17, vcc
	v_add_u32_e32 v17, v17, v22
	v_and_b32_e32 v17, 0x1fffff, v17
	v_add_co_u32_e32 v22, vcc, v17, v22
	v_add_u32_e32 v19, 14, v21
	v_addc_co_u32_e32 v23, vcc, 0, v23, vcc
	v_cmp_ne_u32_e32 vcc, 0, v19
                                        ; implicit-def: $vgpr17
	s_and_saveexec_b64 s[30:31], vcc
	s_xor_b64 s[30:31], exec, s[30:31]
; %bb.6006:                             ;   in Loop: Header=BB4_5706 Depth=3
	v_add_u32_e32 v17, 15, v21
	v_cmp_lt_u64_e32 vcc, s[56:57], v[22:23]
	v_cndmask_b32_e32 v17, v19, v17, vcc
	v_cndmask_b32_e64 v19, 0, 1, vcc
	v_lshrrev_b64 v[22:23], v19, v[22:23]
; %bb.6007:                             ;   in Loop: Header=BB4_5706 Depth=3
	s_andn2_saveexec_b64 vcc, s[30:31]
; %bb.6008:                             ;   in Loop: Header=BB4_5706 Depth=3
	v_bfe_u32 v17, v22, 23, 1
; %bb.6009:                             ;   in Loop: Header=BB4_5706 Depth=3
	s_or_b64 exec, exec, vcc
	v_lshrrev_b64 v[22:23], 21, v[22:23]
	v_cmp_gt_i32_e32 vcc, 32, v17
	v_cndmask_b32_e32 v23, 0, v23, vcc
	v_cndmask_b32_e32 v22, 3, v22, vcc
	v_cmp_ne_u32_e32 vcc, 0, v17
	v_cmp_ne_u64_e64 s[30:31], 0, v[22:23]
	s_or_b64 vcc, vcc, s[30:31]
                                        ; implicit-def: $vgpr23
	s_and_saveexec_b64 s[30:31], vcc
	s_xor_b64 vcc, exec, s[30:31]
; %bb.6010:                             ;   in Loop: Header=BB4_5706 Depth=3
	v_min_i32_e32 v17, 31, v17
	v_lshl_or_b32 v15, v17, 2, v15
	v_and_or_b32 v23, v22, 3, v15
                                        ; implicit-def: $vgpr15
; %bb.6011:                             ;   in Loop: Header=BB4_5706 Depth=3
	s_andn2_saveexec_b64 vcc, vcc
; %bb.6012:                             ;   in Loop: Header=BB4_5706 Depth=3
	v_mov_b32_e32 v23, v15
; %bb.6013:                             ;   in Loop: Header=BB4_5706 Depth=3
	s_or_b64 exec, exec, vcc
.LBB4_6014:                             ;   in Loop: Header=BB4_5706 Depth=3
	s_or_b64 exec, exec, s[74:75]
.LBB4_6015:                             ;   in Loop: Header=BB4_5706 Depth=3
	s_andn2_saveexec_b64 vcc, s[72:73]
	s_or_b64 exec, exec, vcc
                                        ; implicit-def: $vgpr17
.LBB4_6016:                             ;   in Loop: Header=BB4_5706 Depth=3
	s_andn2_saveexec_b64 s[30:31], s[70:71]
; %bb.6017:                             ;   in Loop: Header=BB4_5706 Depth=3
	v_or_b32_sdwa v15, v17, s39 dst_sel:DWORD dst_unused:UNUSED_PAD src0_sel:BYTE_3 src1_sel:DWORD
	v_cmp_eq_u64_e32 vcc, 0, v[42:43]
	v_cndmask_b32_e32 v23, v15, v23, vcc
; %bb.6018:                             ;   in Loop: Header=BB4_5706 Depth=3
	s_or_b64 exec, exec, s[30:31]
	v_and_b32_e32 v15, 0xff, v20
	s_and_b64 vcc, exec, s[28:29]
	v_cmp_ne_u16_e64 s[30:31], 0, v20
	s_cbranch_vccnz .LBB4_6036
; %bb.6019:                             ;   in Loop: Header=BB4_5706 Depth=3
	v_mov_b32_e32 v19, 0
	v_mov_b32_e32 v17, 0
	s_and_saveexec_b64 s[70:71], s[30:31]
	s_cbranch_execz .LBB4_6027
; %bb.6020:                             ;   in Loop: Header=BB4_5706 Depth=3
	v_cmp_ne_u16_e32 vcc, s94, v20
	v_bfrev_b32_e32 v17, 1
	s_and_saveexec_b64 s[72:73], vcc
	s_cbranch_execz .LBB4_6026
; %bb.6021:                             ;   in Loop: Header=BB4_5706 Depth=3
	v_and_b32_e32 v17, 0x7c, v15
	v_and_b32_e32 v22, 3, v15
	v_cmp_ne_u32_e32 vcc, s95, v17
                                        ; implicit-def: $vgpr17
	s_and_saveexec_b64 s[74:75], vcc
	s_xor_b64 s[74:75], exec, s[74:75]
	s_cbranch_execz .LBB4_6023
; %bb.6022:                             ;   in Loop: Header=BB4_5706 Depth=3
	v_ffbh_u32_e32 v24, v22
	v_min_u32_e32 v28, 32, v24
	v_mov_b32_e32 v21, v43
	v_subrev_u32_e32 v24, 29, v28
	v_bfe_u32 v17, v15, 2, 5
	v_lshlrev_b64 v[24:25], v24, v[20:21]
	v_sub_u32_e32 v21, 30, v28
	v_and_b32_e32 v24, 3, v24
	v_cmp_eq_u32_e32 vcc, 0, v17
	v_cndmask_b32_e32 v17, v17, v21, vcc
	v_cndmask_b32_e32 v21, v22, v24, vcc
	v_bfrev_b32_e32 v22, 28
	v_bfe_i32 v26, v20, 0, 16
	v_lshl_add_u32 v17, v17, 23, v22
	v_and_or_b32 v17, v26, s96, v17
	v_lshl_or_b32 v17, v21, 21, v17
                                        ; implicit-def: $vgpr22
.LBB4_6023:                             ;   in Loop: Header=BB4_5706 Depth=3
	s_andn2_saveexec_b64 s[74:75], s[74:75]
; %bb.6024:                             ;   in Loop: Header=BB4_5706 Depth=3
	v_cmp_lt_i16_e32 vcc, -1, v20
	v_cndmask_b32_e32 v17, v6, v1, vcc
	v_cmp_eq_u32_e32 vcc, 0, v22
	v_mov_b32_e32 v21, 0x7f800001
	v_cndmask_b32_e32 v17, v21, v17, vcc
; %bb.6025:                             ;   in Loop: Header=BB4_5706 Depth=3
	s_or_b64 exec, exec, s[74:75]
.LBB4_6026:                             ;   in Loop: Header=BB4_5706 Depth=3
	s_or_b64 exec, exec, s[72:73]
.LBB4_6027:                             ;   in Loop: Header=BB4_5706 Depth=3
	s_or_b64 exec, exec, s[70:71]
	v_cmp_ne_u16_e32 vcc, 0, v18
	s_and_saveexec_b64 s[70:71], vcc
	s_cbranch_execz .LBB4_6035
; %bb.6028:                             ;   in Loop: Header=BB4_5706 Depth=3
	v_cmp_ne_u16_e32 vcc, s94, v18
	v_bfrev_b32_e32 v19, 1
	s_and_saveexec_b64 s[72:73], vcc
	s_cbranch_execz .LBB4_6034
; %bb.6029:                             ;   in Loop: Header=BB4_5706 Depth=3
	v_and_b32_e32 v19, 0x7c, v18
	v_and_b32_e32 v21, 3, v18
	v_cmp_ne_u32_e32 vcc, s95, v19
                                        ; implicit-def: $vgpr19
	s_and_saveexec_b64 s[74:75], vcc
	s_xor_b64 s[74:75], exec, s[74:75]
	s_cbranch_execz .LBB4_6031
; %bb.6030:                             ;   in Loop: Header=BB4_5706 Depth=3
	v_ffbh_u32_e32 v24, v21
	v_and_b32_e32 v22, 0xff, v18
	v_min_u32_e32 v28, 32, v24
	v_mov_b32_e32 v19, v43
	v_bfe_u32 v22, v22, 2, 5
	v_subrev_u32_e32 v24, 29, v28
	v_lshlrev_b64 v[24:25], v24, v[18:19]
	v_sub_u32_e32 v19, 30, v28
	v_cmp_eq_u32_e32 vcc, 0, v22
	v_cndmask_b32_e32 v19, v22, v19, vcc
	v_bfrev_b32_e32 v22, 28
	v_bfe_i32 v26, v18, 0, 16
	v_and_b32_e32 v24, 3, v24
	v_lshl_add_u32 v19, v19, 23, v22
	v_cndmask_b32_e32 v21, v21, v24, vcc
	v_and_or_b32 v19, v26, s96, v19
	v_lshl_or_b32 v19, v21, 21, v19
                                        ; implicit-def: $vgpr21
.LBB4_6031:                             ;   in Loop: Header=BB4_5706 Depth=3
	s_andn2_saveexec_b64 s[74:75], s[74:75]
; %bb.6032:                             ;   in Loop: Header=BB4_5706 Depth=3
	v_cmp_lt_i16_e32 vcc, -1, v18
	v_cndmask_b32_e32 v19, v6, v1, vcc
	v_cmp_eq_u32_e32 vcc, 0, v21
	v_mov_b32_e32 v21, 0x7f800001
	v_cndmask_b32_e32 v19, v21, v19, vcc
; %bb.6033:                             ;   in Loop: Header=BB4_5706 Depth=3
	s_or_b64 exec, exec, s[74:75]
.LBB4_6034:                             ;   in Loop: Header=BB4_5706 Depth=3
	s_or_b64 exec, exec, s[72:73]
.LBB4_6035:                             ;   in Loop: Header=BB4_5706 Depth=3
	s_or_b64 exec, exec, s[70:71]
	v_max_f32_e32 v19, v19, v19
	v_max_f32_e32 v17, v17, v17
	;; [unrolled: 1-line block ×3, first 2 shown]
	s_branch .LBB4_6054
.LBB4_6036:                             ;   in Loop: Header=BB4_5706 Depth=3
                                        ; implicit-def: $vgpr17
	s_cbranch_execz .LBB4_6054
; %bb.6037:                             ;   in Loop: Header=BB4_5706 Depth=3
	v_mov_b32_e32 v19, 0
	v_mov_b32_e32 v17, 0
	s_and_saveexec_b64 s[70:71], s[30:31]
	s_cbranch_execz .LBB4_6045
; %bb.6038:                             ;   in Loop: Header=BB4_5706 Depth=3
	v_cmp_ne_u16_e32 vcc, s94, v20
	v_bfrev_b32_e32 v17, 1
	s_and_saveexec_b64 s[30:31], vcc
	s_cbranch_execz .LBB4_6044
; %bb.6039:                             ;   in Loop: Header=BB4_5706 Depth=3
	v_and_b32_e32 v17, 0x7c, v15
	v_and_b32_e32 v22, 3, v15
	v_cmp_ne_u32_e32 vcc, s95, v17
                                        ; implicit-def: $vgpr17
	s_and_saveexec_b64 s[72:73], vcc
	s_xor_b64 s[72:73], exec, s[72:73]
	s_cbranch_execz .LBB4_6041
; %bb.6040:                             ;   in Loop: Header=BB4_5706 Depth=3
	v_ffbh_u32_e32 v24, v22
	v_min_u32_e32 v24, 32, v24
	v_mov_b32_e32 v21, v43
	v_subrev_u32_e32 v25, 29, v24
	v_bfe_u32 v15, v15, 2, 5
	v_bfe_i32 v17, v20, 0, 16
	v_lshlrev_b64 v[20:21], v25, v[20:21]
	v_sub_u32_e32 v21, 30, v24
	v_cmp_eq_u32_e32 vcc, 0, v15
	v_cndmask_b32_e32 v15, v15, v21, vcc
	v_bfrev_b32_e32 v21, 28
	v_and_b32_e32 v20, 3, v20
	v_lshl_add_u32 v15, v15, 23, v21
	v_cndmask_b32_e32 v20, v22, v20, vcc
	v_and_or_b32 v15, v17, s96, v15
	v_lshl_or_b32 v17, v20, 21, v15
                                        ; implicit-def: $vgpr22
                                        ; implicit-def: $vgpr20
.LBB4_6041:                             ;   in Loop: Header=BB4_5706 Depth=3
	s_andn2_saveexec_b64 s[72:73], s[72:73]
; %bb.6042:                             ;   in Loop: Header=BB4_5706 Depth=3
	v_cmp_lt_i16_e32 vcc, -1, v20
	v_cndmask_b32_e32 v15, v6, v1, vcc
	v_cmp_eq_u32_e32 vcc, 0, v22
	v_mov_b32_e32 v17, 0x7f800001
	v_cndmask_b32_e32 v17, v17, v15, vcc
; %bb.6043:                             ;   in Loop: Header=BB4_5706 Depth=3
	s_or_b64 exec, exec, s[72:73]
.LBB4_6044:                             ;   in Loop: Header=BB4_5706 Depth=3
	s_or_b64 exec, exec, s[30:31]
.LBB4_6045:                             ;   in Loop: Header=BB4_5706 Depth=3
	s_or_b64 exec, exec, s[70:71]
	v_cmp_ne_u16_e32 vcc, 0, v18
	s_and_saveexec_b64 s[30:31], vcc
	s_cbranch_execz .LBB4_6053
; %bb.6046:                             ;   in Loop: Header=BB4_5706 Depth=3
	v_cmp_ne_u16_e32 vcc, s94, v18
	v_bfrev_b32_e32 v19, 1
	s_and_saveexec_b64 s[70:71], vcc
	s_cbranch_execz .LBB4_6052
; %bb.6047:                             ;   in Loop: Header=BB4_5706 Depth=3
	v_and_b32_e32 v19, 0x7c, v18
	v_and_b32_e32 v15, 3, v18
	v_cmp_ne_u32_e32 vcc, s95, v19
                                        ; implicit-def: $vgpr19
	s_and_saveexec_b64 s[72:73], vcc
	s_xor_b64 s[72:73], exec, s[72:73]
	s_cbranch_execz .LBB4_6049
; %bb.6048:                             ;   in Loop: Header=BB4_5706 Depth=3
	v_ffbh_u32_e32 v22, v15
	v_min_u32_e32 v22, 32, v22
	v_and_b32_e32 v20, 0xff, v18
	v_mov_b32_e32 v19, v43
	v_subrev_u32_e32 v24, 29, v22
	v_bfe_u32 v20, v20, 2, 5
	v_bfe_i32 v21, v18, 0, 16
	v_lshlrev_b64 v[18:19], v24, v[18:19]
	v_sub_u32_e32 v19, 30, v22
	v_and_b32_e32 v18, 3, v18
	v_cmp_eq_u32_e32 vcc, 0, v20
	v_cndmask_b32_e32 v19, v20, v19, vcc
	v_cndmask_b32_e32 v15, v15, v18, vcc
	v_bfrev_b32_e32 v18, 28
	v_lshl_add_u32 v18, v19, 23, v18
	v_and_or_b32 v18, v21, s96, v18
	v_lshl_or_b32 v19, v15, 21, v18
                                        ; implicit-def: $vgpr15
                                        ; implicit-def: $vgpr18
.LBB4_6049:                             ;   in Loop: Header=BB4_5706 Depth=3
	s_andn2_saveexec_b64 s[72:73], s[72:73]
; %bb.6050:                             ;   in Loop: Header=BB4_5706 Depth=3
	v_cmp_lt_i16_e32 vcc, -1, v18
	v_cndmask_b32_e32 v18, v6, v1, vcc
	v_cmp_eq_u32_e32 vcc, 0, v15
	v_mov_b32_e32 v15, 0x7f800001
	v_cndmask_b32_e32 v19, v15, v18, vcc
; %bb.6051:                             ;   in Loop: Header=BB4_5706 Depth=3
	s_or_b64 exec, exec, s[72:73]
.LBB4_6052:                             ;   in Loop: Header=BB4_5706 Depth=3
	s_or_b64 exec, exec, s[70:71]
.LBB4_6053:                             ;   in Loop: Header=BB4_5706 Depth=3
	s_or_b64 exec, exec, s[30:31]
	v_max_f32_e32 v15, v19, v19
	v_max_f32_e32 v17, v17, v17
	v_min_f32_e32 v17, v17, v15
.LBB4_6054:                             ;   in Loop: Header=BB4_5706 Depth=3
	v_and_b32_sdwa v15, v17, s97 dst_sel:DWORD dst_unused:UNUSED_PAD src0_sel:BYTE_3 src1_sel:DWORD
	v_and_b32_e32 v20, 0x7f800000, v17
	v_mov_b32_e32 v21, v43
	v_and_b32_e32 v42, 0x7fffff, v17
	v_or_b32_e32 v19, 0x7b, v15
	v_cmp_ne_u64_e32 vcc, s[52:53], v[20:21]
	s_and_saveexec_b64 s[30:31], vcc
	s_xor_b64 s[70:71], exec, s[30:31]
	s_cbranch_execz .LBB4_6068
; %bb.6055:                             ;   in Loop: Header=BB4_5706 Depth=3
	v_and_b32_e32 v20, 0x7fffffff, v17
	v_mov_b32_e32 v21, v43
	v_cmp_gt_u64_e32 vcc, s[54:55], v[20:21]
	s_and_saveexec_b64 s[30:31], vcc
	s_xor_b64 s[72:73], exec, s[30:31]
	s_cbranch_execz .LBB4_6067
; %bb.6056:                             ;   in Loop: Header=BB4_5706 Depth=3
	v_cmp_ne_u32_e32 vcc, 0, v17
	v_mov_b32_e32 v19, 0
	s_and_saveexec_b64 s[74:75], vcc
	s_cbranch_execz .LBB4_6066
; %bb.6057:                             ;   in Loop: Header=BB4_5706 Depth=3
	v_bfe_u32 v17, v17, 23, 8
	v_cmp_eq_u32_e32 vcc, 0, v17
	v_add_u32_e32 v18, 0xffffff81, v17
	v_cmp_gt_u32_e64 s[30:31], s38, v17
	v_sub_u32_e32 v17, 0x71, v17
	v_mov_b32_e32 v20, 0xffffff82
	v_cndmask_b32_e64 v17, 0, v17, s[30:31]
	v_cndmask_b32_e32 v22, v18, v20, vcc
	v_mov_b32_e32 v18, 0x70
	v_cndmask_b32_e32 v17, v17, v18, vcc
	v_or_b32_e32 v19, 0x800000, v42
	v_add_u32_e32 v18, 21, v17
	v_cndmask_b32_e32 v42, v19, v42, vcc
	v_lshlrev_b64 v[18:19], v18, -1
	v_not_b32_e32 v19, v19
	v_not_b32_e32 v18, v18
	v_add_u32_e32 v20, 20, v17
	v_and_b32_e32 v19, 0, v19
	v_and_b32_e32 v18, v42, v18
	v_lshlrev_b64 v[20:21], v20, 1
	v_cmp_eq_u64_e32 vcc, v[18:19], v[20:21]
	v_lshrrev_b64 v[18:19], v17, v[42:43]
	v_lshrrev_b32_e32 v20, 23, v18
	v_add3_u32 v21, v17, v22, v20
	v_bfe_u32 v17, v18, 21, 1
	v_add_u32_e32 v17, -1, v17
	v_cndmask_b32_e32 v17, 0, v17, vcc
	v_add_u32_e32 v17, v17, v18
	v_and_b32_e32 v17, 0x1fffff, v17
	v_add_co_u32_e32 v18, vcc, v17, v18
	v_add_u32_e32 v20, 14, v21
	v_addc_co_u32_e32 v19, vcc, 0, v19, vcc
	v_cmp_ne_u32_e32 vcc, 0, v20
                                        ; implicit-def: $vgpr17
	s_and_saveexec_b64 s[30:31], vcc
	s_xor_b64 s[30:31], exec, s[30:31]
; %bb.6058:                             ;   in Loop: Header=BB4_5706 Depth=3
	v_add_u32_e32 v17, 15, v21
	v_cmp_lt_u64_e32 vcc, s[56:57], v[18:19]
	v_cndmask_b32_e32 v17, v20, v17, vcc
	v_cndmask_b32_e64 v20, 0, 1, vcc
	v_lshrrev_b64 v[18:19], v20, v[18:19]
; %bb.6059:                             ;   in Loop: Header=BB4_5706 Depth=3
	s_andn2_saveexec_b64 vcc, s[30:31]
; %bb.6060:                             ;   in Loop: Header=BB4_5706 Depth=3
	v_bfe_u32 v17, v18, 23, 1
; %bb.6061:                             ;   in Loop: Header=BB4_5706 Depth=3
	s_or_b64 exec, exec, vcc
	v_lshrrev_b64 v[18:19], 21, v[18:19]
	v_cmp_gt_i32_e32 vcc, 32, v17
	v_cndmask_b32_e32 v19, 0, v19, vcc
	v_cndmask_b32_e32 v18, 3, v18, vcc
	v_cmp_ne_u32_e32 vcc, 0, v17
	v_cmp_ne_u64_e64 s[30:31], 0, v[18:19]
	s_or_b64 vcc, vcc, s[30:31]
                                        ; implicit-def: $vgpr19
	s_and_saveexec_b64 s[30:31], vcc
	s_xor_b64 vcc, exec, s[30:31]
; %bb.6062:                             ;   in Loop: Header=BB4_5706 Depth=3
	v_min_i32_e32 v17, 31, v17
	v_lshl_or_b32 v15, v17, 2, v15
	v_and_or_b32 v19, v18, 3, v15
                                        ; implicit-def: $vgpr15
; %bb.6063:                             ;   in Loop: Header=BB4_5706 Depth=3
	s_andn2_saveexec_b64 vcc, vcc
; %bb.6064:                             ;   in Loop: Header=BB4_5706 Depth=3
	v_mov_b32_e32 v19, v15
; %bb.6065:                             ;   in Loop: Header=BB4_5706 Depth=3
	s_or_b64 exec, exec, vcc
.LBB4_6066:                             ;   in Loop: Header=BB4_5706 Depth=3
	s_or_b64 exec, exec, s[74:75]
.LBB4_6067:                             ;   in Loop: Header=BB4_5706 Depth=3
	s_andn2_saveexec_b64 vcc, s[72:73]
	s_or_b64 exec, exec, vcc
                                        ; implicit-def: $vgpr17
.LBB4_6068:                             ;   in Loop: Header=BB4_5706 Depth=3
	s_andn2_saveexec_b64 s[30:31], s[70:71]
; %bb.6069:                             ;   in Loop: Header=BB4_5706 Depth=3
	v_or_b32_sdwa v15, v17, s39 dst_sel:DWORD dst_unused:UNUSED_PAD src0_sel:BYTE_3 src1_sel:DWORD
	v_cmp_eq_u64_e32 vcc, 0, v[42:43]
	v_cndmask_b32_e32 v19, v15, v19, vcc
; %bb.6070:                             ;   in Loop: Header=BB4_5706 Depth=3
	s_or_b64 exec, exec, s[30:31]
	v_and_b32_e32 v18, 0xff, v16
	s_and_b64 vcc, exec, s[28:29]
	v_cmp_ne_u16_e64 s[28:29], 0, v16
	s_cbranch_vccnz .LBB4_6088
; %bb.6071:                             ;   in Loop: Header=BB4_5706 Depth=3
	v_mov_b32_e32 v15, 0
	v_mov_b32_e32 v17, 0
	s_and_saveexec_b64 s[30:31], s[28:29]
	s_cbranch_execz .LBB4_6079
; %bb.6072:                             ;   in Loop: Header=BB4_5706 Depth=3
	v_cmp_ne_u16_e32 vcc, s94, v16
	v_bfrev_b32_e32 v17, 1
	s_and_saveexec_b64 s[70:71], vcc
	s_cbranch_execz .LBB4_6078
; %bb.6073:                             ;   in Loop: Header=BB4_5706 Depth=3
	v_and_b32_e32 v17, 0x7c, v18
	v_and_b32_e32 v20, 3, v18
	v_cmp_ne_u32_e32 vcc, s95, v17
                                        ; implicit-def: $vgpr17
	s_and_saveexec_b64 s[72:73], vcc
	s_xor_b64 s[72:73], exec, s[72:73]
	s_cbranch_execz .LBB4_6075
; %bb.6074:                             ;   in Loop: Header=BB4_5706 Depth=3
	v_ffbh_u32_e32 v24, v20
	v_min_u32_e32 v26, 32, v24
	v_mov_b32_e32 v17, v43
	v_bfe_u32 v21, v18, 2, 5
	v_subrev_u32_e32 v24, 29, v26
	v_lshlrev_b64 v[24:25], v24, v[16:17]
	v_sub_u32_e32 v17, 30, v26
	v_cmp_eq_u32_e32 vcc, 0, v21
	v_cndmask_b32_e32 v17, v21, v17, vcc
	v_bfrev_b32_e32 v21, 28
	v_bfe_i32 v22, v16, 0, 16
	v_and_b32_e32 v24, 3, v24
	v_lshl_add_u32 v17, v17, 23, v21
	v_cndmask_b32_e32 v20, v20, v24, vcc
	v_and_or_b32 v17, v22, s96, v17
	v_lshl_or_b32 v17, v20, 21, v17
                                        ; implicit-def: $vgpr20
.LBB4_6075:                             ;   in Loop: Header=BB4_5706 Depth=3
	s_andn2_saveexec_b64 s[72:73], s[72:73]
; %bb.6076:                             ;   in Loop: Header=BB4_5706 Depth=3
	v_cmp_lt_i16_e32 vcc, -1, v16
	v_cndmask_b32_e32 v17, v6, v1, vcc
	v_cmp_eq_u32_e32 vcc, 0, v20
	v_mov_b32_e32 v20, 0x7f800001
	v_cndmask_b32_e32 v17, v20, v17, vcc
; %bb.6077:                             ;   in Loop: Header=BB4_5706 Depth=3
	s_or_b64 exec, exec, s[72:73]
.LBB4_6078:                             ;   in Loop: Header=BB4_5706 Depth=3
	s_or_b64 exec, exec, s[70:71]
.LBB4_6079:                             ;   in Loop: Header=BB4_5706 Depth=3
	s_or_b64 exec, exec, s[30:31]
	v_cmp_ne_u16_e32 vcc, 0, v14
	s_and_saveexec_b64 s[30:31], vcc
	s_cbranch_execz .LBB4_6087
; %bb.6080:                             ;   in Loop: Header=BB4_5706 Depth=3
	v_cmp_ne_u16_e32 vcc, s94, v14
	v_bfrev_b32_e32 v15, 1
	s_and_saveexec_b64 s[70:71], vcc
	s_cbranch_execz .LBB4_6086
; %bb.6081:                             ;   in Loop: Header=BB4_5706 Depth=3
	v_and_b32_e32 v15, 0x7c, v14
	v_and_b32_e32 v20, 3, v14
	v_cmp_ne_u32_e32 vcc, s95, v15
                                        ; implicit-def: $vgpr15
	s_and_saveexec_b64 s[72:73], vcc
	s_xor_b64 s[72:73], exec, s[72:73]
	s_cbranch_execz .LBB4_6083
; %bb.6082:                             ;   in Loop: Header=BB4_5706 Depth=3
	v_ffbh_u32_e32 v24, v20
	v_and_b32_e32 v21, 0xff, v14
	v_min_u32_e32 v26, 32, v24
	v_mov_b32_e32 v15, v43
	v_bfe_u32 v21, v21, 2, 5
	v_subrev_u32_e32 v24, 29, v26
	v_lshlrev_b64 v[24:25], v24, v[14:15]
	v_sub_u32_e32 v15, 30, v26
	v_cmp_eq_u32_e32 vcc, 0, v21
	v_cndmask_b32_e32 v15, v21, v15, vcc
	v_bfrev_b32_e32 v21, 28
	v_bfe_i32 v22, v14, 0, 16
	v_and_b32_e32 v24, 3, v24
	v_lshl_add_u32 v15, v15, 23, v21
	v_cndmask_b32_e32 v20, v20, v24, vcc
	v_and_or_b32 v15, v22, s96, v15
	v_lshl_or_b32 v15, v20, 21, v15
                                        ; implicit-def: $vgpr20
.LBB4_6083:                             ;   in Loop: Header=BB4_5706 Depth=3
	s_andn2_saveexec_b64 s[72:73], s[72:73]
; %bb.6084:                             ;   in Loop: Header=BB4_5706 Depth=3
	v_cmp_lt_i16_e32 vcc, -1, v14
	v_cndmask_b32_e32 v15, v6, v1, vcc
	v_cmp_eq_u32_e32 vcc, 0, v20
	v_mov_b32_e32 v20, 0x7f800001
	v_cndmask_b32_e32 v15, v20, v15, vcc
; %bb.6085:                             ;   in Loop: Header=BB4_5706 Depth=3
	s_or_b64 exec, exec, s[72:73]
.LBB4_6086:                             ;   in Loop: Header=BB4_5706 Depth=3
	s_or_b64 exec, exec, s[70:71]
.LBB4_6087:                             ;   in Loop: Header=BB4_5706 Depth=3
	s_or_b64 exec, exec, s[30:31]
	v_max_f32_e32 v15, v15, v15
	v_max_f32_e32 v17, v17, v17
	;; [unrolled: 1-line block ×3, first 2 shown]
	s_branch .LBB4_6106
.LBB4_6088:                             ;   in Loop: Header=BB4_5706 Depth=3
                                        ; implicit-def: $vgpr17
	s_cbranch_execz .LBB4_6106
; %bb.6089:                             ;   in Loop: Header=BB4_5706 Depth=3
	v_mov_b32_e32 v15, 0
	v_mov_b32_e32 v17, 0
	s_and_saveexec_b64 s[30:31], s[28:29]
	s_cbranch_execz .LBB4_6097
; %bb.6090:                             ;   in Loop: Header=BB4_5706 Depth=3
	v_cmp_ne_u16_e32 vcc, s94, v16
	v_bfrev_b32_e32 v17, 1
	s_and_saveexec_b64 s[28:29], vcc
	s_cbranch_execz .LBB4_6096
; %bb.6091:                             ;   in Loop: Header=BB4_5706 Depth=3
	v_and_b32_e32 v17, 0x7c, v18
	v_and_b32_e32 v20, 3, v18
	v_cmp_ne_u32_e32 vcc, s95, v17
                                        ; implicit-def: $vgpr17
	s_and_saveexec_b64 s[70:71], vcc
	s_xor_b64 s[70:71], exec, s[70:71]
	s_cbranch_execz .LBB4_6093
; %bb.6092:                             ;   in Loop: Header=BB4_5706 Depth=3
	v_ffbh_u32_e32 v22, v20
	v_min_u32_e32 v22, 32, v22
	v_mov_b32_e32 v17, v43
	v_subrev_u32_e32 v24, 29, v22
	v_bfe_u32 v18, v18, 2, 5
	v_bfe_i32 v21, v16, 0, 16
	v_lshlrev_b64 v[16:17], v24, v[16:17]
	v_sub_u32_e32 v17, 30, v22
	v_cmp_eq_u32_e32 vcc, 0, v18
	v_cndmask_b32_e32 v17, v18, v17, vcc
	v_bfrev_b32_e32 v18, 28
	v_and_b32_e32 v16, 3, v16
	v_lshl_add_u32 v17, v17, 23, v18
	v_cndmask_b32_e32 v16, v20, v16, vcc
	v_and_or_b32 v17, v21, s96, v17
	v_lshl_or_b32 v17, v16, 21, v17
                                        ; implicit-def: $vgpr20
                                        ; implicit-def: $vgpr16
.LBB4_6093:                             ;   in Loop: Header=BB4_5706 Depth=3
	s_andn2_saveexec_b64 s[70:71], s[70:71]
; %bb.6094:                             ;   in Loop: Header=BB4_5706 Depth=3
	v_cmp_lt_i16_e32 vcc, -1, v16
	v_cndmask_b32_e32 v16, v6, v1, vcc
	v_cmp_eq_u32_e32 vcc, 0, v20
	v_mov_b32_e32 v17, 0x7f800001
	v_cndmask_b32_e32 v17, v17, v16, vcc
; %bb.6095:                             ;   in Loop: Header=BB4_5706 Depth=3
	s_or_b64 exec, exec, s[70:71]
.LBB4_6096:                             ;   in Loop: Header=BB4_5706 Depth=3
	s_or_b64 exec, exec, s[28:29]
.LBB4_6097:                             ;   in Loop: Header=BB4_5706 Depth=3
	s_or_b64 exec, exec, s[30:31]
	v_cmp_ne_u16_e32 vcc, 0, v14
	s_and_saveexec_b64 s[28:29], vcc
	s_cbranch_execz .LBB4_6105
; %bb.6098:                             ;   in Loop: Header=BB4_5706 Depth=3
	v_cmp_ne_u16_e32 vcc, s94, v14
	v_bfrev_b32_e32 v15, 1
	s_and_saveexec_b64 s[30:31], vcc
	s_cbranch_execz .LBB4_6104
; %bb.6099:                             ;   in Loop: Header=BB4_5706 Depth=3
	v_and_b32_e32 v15, 0x7c, v14
	v_and_b32_e32 v16, 3, v14
	v_cmp_ne_u32_e32 vcc, s95, v15
                                        ; implicit-def: $vgpr15
	s_and_saveexec_b64 s[70:71], vcc
	s_xor_b64 s[70:71], exec, s[70:71]
	s_cbranch_execz .LBB4_6101
; %bb.6100:                             ;   in Loop: Header=BB4_5706 Depth=3
	v_ffbh_u32_e32 v21, v16
	v_min_u32_e32 v21, 32, v21
	v_and_b32_e32 v18, 0xff, v14
	v_mov_b32_e32 v15, v43
	v_subrev_u32_e32 v22, 29, v21
	v_bfe_u32 v18, v18, 2, 5
	v_bfe_i32 v20, v14, 0, 16
	v_lshlrev_b64 v[14:15], v22, v[14:15]
	v_sub_u32_e32 v15, 30, v21
	v_and_b32_e32 v14, 3, v14
	v_cmp_eq_u32_e32 vcc, 0, v18
	v_cndmask_b32_e32 v15, v18, v15, vcc
	v_cndmask_b32_e32 v14, v16, v14, vcc
	v_bfrev_b32_e32 v16, 28
	v_lshl_add_u32 v15, v15, 23, v16
	v_and_or_b32 v15, v20, s96, v15
	v_lshl_or_b32 v15, v14, 21, v15
                                        ; implicit-def: $vgpr16
                                        ; implicit-def: $vgpr14
.LBB4_6101:                             ;   in Loop: Header=BB4_5706 Depth=3
	s_andn2_saveexec_b64 s[70:71], s[70:71]
; %bb.6102:                             ;   in Loop: Header=BB4_5706 Depth=3
	v_cmp_lt_i16_e32 vcc, -1, v14
	v_cndmask_b32_e32 v14, v6, v1, vcc
	v_cmp_eq_u32_e32 vcc, 0, v16
	v_mov_b32_e32 v15, 0x7f800001
	v_cndmask_b32_e32 v15, v15, v14, vcc
; %bb.6103:                             ;   in Loop: Header=BB4_5706 Depth=3
	s_or_b64 exec, exec, s[70:71]
.LBB4_6104:                             ;   in Loop: Header=BB4_5706 Depth=3
	s_or_b64 exec, exec, s[30:31]
.LBB4_6105:                             ;   in Loop: Header=BB4_5706 Depth=3
	s_or_b64 exec, exec, s[28:29]
	v_max_f32_e32 v14, v15, v15
	v_max_f32_e32 v15, v17, v17
	v_min_f32_e32 v17, v15, v14
.LBB4_6106:                             ;   in Loop: Header=BB4_5706 Depth=3
	v_and_b32_sdwa v16, v17, s97 dst_sel:DWORD dst_unused:UNUSED_PAD src0_sel:BYTE_3 src1_sel:DWORD
	v_and_b32_e32 v20, 0x7f800000, v17
	v_mov_b32_e32 v21, v43
	v_and_b32_e32 v42, 0x7fffff, v17
	v_or_b32_e32 v15, 0x7b, v16
	v_cmp_ne_u64_e32 vcc, s[52:53], v[20:21]
	s_and_saveexec_b64 s[28:29], vcc
	s_xor_b64 s[30:31], exec, s[28:29]
	s_cbranch_execz .LBB4_6120
; %bb.6107:                             ;   in Loop: Header=BB4_5706 Depth=3
	v_and_b32_e32 v20, 0x7fffffff, v17
	v_mov_b32_e32 v21, v43
	v_cmp_gt_u64_e32 vcc, s[54:55], v[20:21]
	s_and_saveexec_b64 s[28:29], vcc
	s_xor_b64 s[70:71], exec, s[28:29]
	s_cbranch_execz .LBB4_6119
; %bb.6108:                             ;   in Loop: Header=BB4_5706 Depth=3
	v_cmp_ne_u32_e32 vcc, 0, v17
	v_mov_b32_e32 v15, 0
	s_and_saveexec_b64 s[72:73], vcc
	s_cbranch_execz .LBB4_6118
; %bb.6109:                             ;   in Loop: Header=BB4_5706 Depth=3
	v_bfe_u32 v14, v17, 23, 8
	v_cmp_eq_u32_e32 vcc, 0, v14
	v_add_u32_e32 v15, 0xffffff81, v14
	v_cmp_gt_u32_e64 s[28:29], s38, v14
	v_sub_u32_e32 v14, 0x71, v14
	v_mov_b32_e32 v18, 0xffffff82
	v_cndmask_b32_e64 v14, 0, v14, s[28:29]
	v_cndmask_b32_e32 v18, v15, v18, vcc
	v_mov_b32_e32 v15, 0x70
	v_cndmask_b32_e32 v22, v14, v15, vcc
	v_add_u32_e32 v14, 21, v22
	v_or_b32_e32 v17, 0x800000, v42
	v_lshlrev_b64 v[14:15], v14, -1
	v_cndmask_b32_e32 v42, v17, v42, vcc
	v_not_b32_e32 v15, v15
	v_not_b32_e32 v14, v14
	v_add_u32_e32 v17, 20, v22
	v_and_b32_e32 v15, 0, v15
	v_and_b32_e32 v14, v42, v14
	v_lshlrev_b64 v[20:21], v17, 1
	v_cmp_eq_u64_e32 vcc, v[14:15], v[20:21]
	v_lshrrev_b64 v[14:15], v22, v[42:43]
	v_lshrrev_b32_e32 v17, 23, v14
	v_add3_u32 v20, v22, v18, v17
	v_bfe_u32 v17, v14, 21, 1
	v_add_u32_e32 v17, -1, v17
	v_cndmask_b32_e32 v17, 0, v17, vcc
	v_add_u32_e32 v17, v17, v14
	v_and_b32_e32 v17, 0x1fffff, v17
	v_add_co_u32_e32 v14, vcc, v17, v14
	v_add_u32_e32 v18, 14, v20
	v_addc_co_u32_e32 v15, vcc, 0, v15, vcc
	v_cmp_ne_u32_e32 vcc, 0, v18
                                        ; implicit-def: $vgpr17
	s_and_saveexec_b64 s[28:29], vcc
	s_xor_b64 s[28:29], exec, s[28:29]
; %bb.6110:                             ;   in Loop: Header=BB4_5706 Depth=3
	v_add_u32_e32 v17, 15, v20
	v_cmp_lt_u64_e32 vcc, s[56:57], v[14:15]
	v_cndmask_b32_e32 v17, v18, v17, vcc
	v_cndmask_b32_e64 v18, 0, 1, vcc
	v_lshrrev_b64 v[14:15], v18, v[14:15]
; %bb.6111:                             ;   in Loop: Header=BB4_5706 Depth=3
	s_andn2_saveexec_b64 s[28:29], s[28:29]
; %bb.6112:                             ;   in Loop: Header=BB4_5706 Depth=3
	v_bfe_u32 v17, v14, 23, 1
; %bb.6113:                             ;   in Loop: Header=BB4_5706 Depth=3
	s_or_b64 exec, exec, s[28:29]
	v_lshrrev_b64 v[14:15], 21, v[14:15]
	v_cmp_gt_i32_e32 vcc, 32, v17
	v_cndmask_b32_e32 v15, 0, v15, vcc
	v_cndmask_b32_e32 v14, 3, v14, vcc
	v_cmp_ne_u32_e32 vcc, 0, v17
	v_cmp_ne_u64_e64 s[28:29], 0, v[14:15]
	s_or_b64 s[28:29], vcc, s[28:29]
                                        ; implicit-def: $vgpr15
	s_and_saveexec_b64 vcc, s[28:29]
	s_xor_b64 s[28:29], exec, vcc
; %bb.6114:                             ;   in Loop: Header=BB4_5706 Depth=3
	v_min_i32_e32 v15, 31, v17
	v_lshl_or_b32 v15, v15, 2, v16
	v_and_or_b32 v15, v14, 3, v15
                                        ; implicit-def: $vgpr16
; %bb.6115:                             ;   in Loop: Header=BB4_5706 Depth=3
	s_andn2_saveexec_b64 s[28:29], s[28:29]
; %bb.6116:                             ;   in Loop: Header=BB4_5706 Depth=3
	v_mov_b32_e32 v15, v16
; %bb.6117:                             ;   in Loop: Header=BB4_5706 Depth=3
	s_or_b64 exec, exec, s[28:29]
.LBB4_6118:                             ;   in Loop: Header=BB4_5706 Depth=3
	s_or_b64 exec, exec, s[72:73]
.LBB4_6119:                             ;   in Loop: Header=BB4_5706 Depth=3
	s_andn2_saveexec_b64 s[28:29], s[70:71]
	s_or_b64 exec, exec, s[28:29]
                                        ; implicit-def: $vgpr17
.LBB4_6120:                             ;   in Loop: Header=BB4_5706 Depth=3
	s_andn2_saveexec_b64 s[28:29], s[30:31]
	s_cbranch_execz .LBB4_5705
; %bb.6121:                             ;   in Loop: Header=BB4_5706 Depth=3
	v_or_b32_sdwa v14, v17, s39 dst_sel:DWORD dst_unused:UNUSED_PAD src0_sel:BYTE_3 src1_sel:DWORD
	v_cmp_eq_u64_e32 vcc, 0, v[42:43]
	v_cndmask_b32_e32 v15, v14, v15, vcc
	s_branch .LBB4_5705
.LBB4_6122:                             ;   in Loop: Header=BB4_3264 Depth=2
	s_or_b64 exec, exec, s[66:67]
	v_accvgpr_read_b32 v29, a9
	v_accvgpr_read_b32 v28, a8
	;; [unrolled: 1-line block ×4, first 2 shown]
.LBB4_6123:                             ;   in Loop: Header=BB4_3264 Depth=2
	s_or_b64 exec, exec, s[34:35]
	v_lshlrev_b32_e32 v3, 9, v60
	v_cmp_ne_u32_e32 vcc, v7, v3
	s_and_saveexec_b64 s[66:67], vcc
	s_cbranch_execz .LBB4_6181
; %bb.6124:                             ;   in Loop: Header=BB4_3264 Depth=2
	v_add_u32_e32 v4, v30, v32
	v_and_b32_e32 v4, 0xffffffc0, v4
	v_sub_u32_e32 v4, v30, v4
	v_lshlrev_b32_e32 v2, 6, v2
	v_sub_u32_e32 v2, v4, v2
	v_add_u32_e32 v3, v3, v2
	v_sub_u32_e32 v2, v7, v3
	v_cmp_lt_i32_e32 vcc, 0, v2
	s_and_b64 exec, exec, vcc
	s_cbranch_execz .LBB4_6181
; %bb.6125:                             ;   in Loop: Header=BB4_3264 Depth=2
	s_trap 2
	ds_read_b128 v[8:11], v0
	v_add_u32_e32 v0, v3, v0
	v_ashrrev_i32_e32 v3, 31, v0
	s_bitcmp1_b32 s85, 0
	s_mov_b64 s[68:69], 0
	s_waitcnt lgkmcnt(0)
	v_add_co_u32_e32 v4, vcc, v8, v0
	v_addc_co_u32_e32 v5, vcc, v9, v3, vcc
	v_add_co_u32_e32 v8, vcc, v10, v0
	v_addc_co_u32_e32 v9, vcc, v11, v3, vcc
	s_cselect_b64 s[70:71], -1, 0
	v_pk_mov_b32 v[10:11], v[4:5], v[4:5] op_sel:[0,1]
	v_pk_mov_b32 v[12:13], v[8:9], v[8:9] op_sel:[0,1]
.LBB4_6126:                             ;   Parent Loop BB4_47 Depth=1
                                        ;     Parent Loop BB4_3264 Depth=2
                                        ; =>    This Loop Header: Depth=3
                                        ;         Child Loop BB4_6179 Depth 4
	flat_load_ubyte v7, v[10:11] glc slc
	flat_load_ubyte v0, v[12:13] glc slc
	v_mov_b32_e32 v3, -1
	s_and_b64 vcc, exec, s[70:71]
	s_waitcnt vmcnt(0) lgkmcnt(0)
	v_bfe_i32 v14, v7, 0, 8
	v_lshlrev_b32_e32 v15, 24, v0
	v_cmp_gt_i16_sdwa s[34:35], sext(v0), v3 src0_sel:BYTE_0 src1_sel:DWORD
	v_cmp_ne_u16_e64 s[30:31], 0, v0
	v_and_b32_e32 v42, 0xffff, v0
	v_cmp_ne_u16_e64 s[28:29], s97, v0
	v_cndmask_b32_e64 v3, v6, v1, s[34:35]
	v_and_b32_e32 v16, 0xffff, v7
	v_cmp_ne_u16_e64 s[34:35], 0, v7
	v_and_b32_e32 v7, 0x80000000, v15
	s_cbranch_vccz .LBB4_6144
; %bb.6127:                             ;   in Loop: Header=BB4_6126 Depth=3
	v_mov_b32_e32 v17, 0
	v_mov_b32_e32 v15, 0
	s_and_saveexec_b64 s[72:73], s[34:35]
	s_cbranch_execz .LBB4_6135
; %bb.6128:                             ;   in Loop: Header=BB4_6126 Depth=3
	v_cmp_ne_u16_e32 vcc, s94, v14
	v_bfrev_b32_e32 v15, 1
	s_and_saveexec_b64 s[74:75], vcc
	s_cbranch_execz .LBB4_6134
; %bb.6129:                             ;   in Loop: Header=BB4_6126 Depth=3
	v_and_b32_e32 v15, 0x7c, v16
	v_and_b32_e32 v18, 3, v16
	v_cmp_ne_u32_e32 vcc, s95, v15
                                        ; implicit-def: $vgpr15
	s_and_saveexec_b64 s[76:77], vcc
	s_xor_b64 s[76:77], exec, s[76:77]
	s_cbranch_execz .LBB4_6131
; %bb.6130:                             ;   in Loop: Header=BB4_6126 Depth=3
	v_ffbh_u32_e32 v20, v18
	v_min_u32_e32 v23, 32, v20
	v_mov_b32_e32 v15, v43
	v_bfe_u32 v19, v16, 2, 5
	v_subrev_u32_e32 v20, 29, v23
	v_lshlrev_b64 v[20:21], v20, v[14:15]
	v_sub_u32_e32 v15, 30, v23
	v_cmp_eq_u32_e32 vcc, 0, v19
	v_cndmask_b32_e32 v15, v19, v15, vcc
	v_bfrev_b32_e32 v19, 28
	v_bfe_i32 v22, v14, 0, 16
	v_and_b32_e32 v20, 3, v20
	v_lshl_add_u32 v15, v15, 23, v19
	v_cndmask_b32_e32 v18, v18, v20, vcc
	v_and_or_b32 v15, v22, s96, v15
	v_lshl_or_b32 v15, v18, 21, v15
                                        ; implicit-def: $vgpr18
.LBB4_6131:                             ;   in Loop: Header=BB4_6126 Depth=3
	s_andn2_saveexec_b64 s[76:77], s[76:77]
; %bb.6132:                             ;   in Loop: Header=BB4_6126 Depth=3
	v_cmp_lt_i16_e32 vcc, -1, v14
	v_cndmask_b32_e32 v15, v6, v1, vcc
	v_cmp_eq_u32_e32 vcc, 0, v18
	v_mov_b32_e32 v18, 0x7f800001
	v_cndmask_b32_e32 v15, v18, v15, vcc
; %bb.6133:                             ;   in Loop: Header=BB4_6126 Depth=3
	s_or_b64 exec, exec, s[76:77]
.LBB4_6134:                             ;   in Loop: Header=BB4_6126 Depth=3
	s_or_b64 exec, exec, s[74:75]
.LBB4_6135:                             ;   in Loop: Header=BB4_6126 Depth=3
	s_or_b64 exec, exec, s[72:73]
	s_and_saveexec_b64 s[72:73], s[30:31]
	s_cbranch_execz .LBB4_6143
; %bb.6136:                             ;   in Loop: Header=BB4_6126 Depth=3
	v_bfrev_b32_e32 v17, 1
	s_and_saveexec_b64 s[74:75], s[28:29]
	s_cbranch_execz .LBB4_6142
; %bb.6137:                             ;   in Loop: Header=BB4_6126 Depth=3
	v_mov_b32_e32 v17, 3
	v_and_b32_sdwa v18, sext(v0), v17 dst_sel:DWORD dst_unused:UNUSED_PAD src0_sel:BYTE_0 src1_sel:DWORD
	v_and_b32_sdwa v17, sext(v0), s95 dst_sel:DWORD dst_unused:UNUSED_PAD src0_sel:BYTE_0 src1_sel:DWORD
	v_cmp_ne_u32_e32 vcc, s95, v17
                                        ; implicit-def: $vgpr17
	s_and_saveexec_b64 s[76:77], vcc
	s_xor_b64 s[76:77], exec, s[76:77]
	s_cbranch_execz .LBB4_6139
; %bb.6138:                             ;   in Loop: Header=BB4_6126 Depth=3
	v_ffbh_u32_e32 v19, v18
	v_min_u32_e32 v19, 32, v19
	v_and_b32_sdwa v17, sext(v0), s93 dst_sel:DWORD dst_unused:UNUSED_PAD src0_sel:BYTE_0 src1_sel:DWORD
	v_subrev_u32_e32 v20, 29, v19
	v_bfe_u32 v17, v17, 2, 5
	v_lshlrev_b64 v[20:21], v20, v[42:43]
	v_and_b32_e32 v20, 3, v20
	v_cmp_eq_u32_e32 vcc, 0, v17
	v_sub_u32_e32 v19, 30, v19
	v_cndmask_b32_e32 v18, v18, v20, vcc
	v_cndmask_b32_e32 v17, v17, v19, vcc
	v_lshlrev_b32_e32 v18, 21, v18
	v_lshl_or_b32 v17, v17, 23, v18
	v_add_u32_e32 v17, 0x38000000, v17
	v_or_b32_e32 v17, v17, v7
                                        ; implicit-def: $vgpr18
.LBB4_6139:                             ;   in Loop: Header=BB4_6126 Depth=3
	s_andn2_saveexec_b64 s[76:77], s[76:77]
; %bb.6140:                             ;   in Loop: Header=BB4_6126 Depth=3
	v_cmp_eq_u32_e32 vcc, 0, v18
	v_mov_b32_e32 v17, 0x7f800001
	v_cndmask_b32_e32 v17, v17, v3, vcc
; %bb.6141:                             ;   in Loop: Header=BB4_6126 Depth=3
	s_or_b64 exec, exec, s[76:77]
.LBB4_6142:                             ;   in Loop: Header=BB4_6126 Depth=3
	s_or_b64 exec, exec, s[74:75]
.LBB4_6143:                             ;   in Loop: Header=BB4_6126 Depth=3
	s_or_b64 exec, exec, s[72:73]
	v_max_f32_e32 v17, v17, v17
	v_max_f32_e32 v15, v15, v15
	;; [unrolled: 1-line block ×3, first 2 shown]
	s_branch .LBB4_6162
.LBB4_6144:                             ;   in Loop: Header=BB4_6126 Depth=3
                                        ; implicit-def: $vgpr15
	s_cbranch_execz .LBB4_6162
; %bb.6145:                             ;   in Loop: Header=BB4_6126 Depth=3
	v_mov_b32_e32 v17, 0
	v_mov_b32_e32 v15, 0
	s_and_saveexec_b64 s[72:73], s[34:35]
	s_cbranch_execz .LBB4_6153
; %bb.6146:                             ;   in Loop: Header=BB4_6126 Depth=3
	v_cmp_ne_u16_e32 vcc, s94, v14
	v_bfrev_b32_e32 v15, 1
	s_and_saveexec_b64 s[34:35], vcc
	s_cbranch_execz .LBB4_6152
; %bb.6147:                             ;   in Loop: Header=BB4_6126 Depth=3
	v_and_b32_e32 v15, 0x7c, v16
	v_and_b32_e32 v18, 3, v16
	v_cmp_ne_u32_e32 vcc, s95, v15
                                        ; implicit-def: $vgpr15
	s_and_saveexec_b64 s[74:75], vcc
	s_xor_b64 s[74:75], exec, s[74:75]
	s_cbranch_execz .LBB4_6149
; %bb.6148:                             ;   in Loop: Header=BB4_6126 Depth=3
	v_ffbh_u32_e32 v20, v18
	v_min_u32_e32 v20, 32, v20
	v_mov_b32_e32 v15, v43
	v_subrev_u32_e32 v21, 29, v20
	v_bfe_u32 v16, v16, 2, 5
	v_bfe_i32 v19, v14, 0, 16
	v_lshlrev_b64 v[14:15], v21, v[14:15]
	v_sub_u32_e32 v15, 30, v20
	v_cmp_eq_u32_e32 vcc, 0, v16
	v_cndmask_b32_e32 v15, v16, v15, vcc
	v_bfrev_b32_e32 v16, 28
	v_and_b32_e32 v14, 3, v14
	v_lshl_add_u32 v15, v15, 23, v16
	v_cndmask_b32_e32 v14, v18, v14, vcc
	v_and_or_b32 v15, v19, s96, v15
	v_lshl_or_b32 v15, v14, 21, v15
                                        ; implicit-def: $vgpr18
                                        ; implicit-def: $vgpr14
.LBB4_6149:                             ;   in Loop: Header=BB4_6126 Depth=3
	s_andn2_saveexec_b64 s[74:75], s[74:75]
; %bb.6150:                             ;   in Loop: Header=BB4_6126 Depth=3
	v_cmp_lt_i16_e32 vcc, -1, v14
	v_cndmask_b32_e32 v14, v6, v1, vcc
	v_cmp_eq_u32_e32 vcc, 0, v18
	v_mov_b32_e32 v15, 0x7f800001
	v_cndmask_b32_e32 v15, v15, v14, vcc
; %bb.6151:                             ;   in Loop: Header=BB4_6126 Depth=3
	s_or_b64 exec, exec, s[74:75]
.LBB4_6152:                             ;   in Loop: Header=BB4_6126 Depth=3
	s_or_b64 exec, exec, s[34:35]
.LBB4_6153:                             ;   in Loop: Header=BB4_6126 Depth=3
	s_or_b64 exec, exec, s[72:73]
	s_and_saveexec_b64 s[34:35], s[30:31]
	s_cbranch_execz .LBB4_6161
; %bb.6154:                             ;   in Loop: Header=BB4_6126 Depth=3
	v_bfrev_b32_e32 v17, 1
	s_and_saveexec_b64 s[30:31], s[28:29]
	s_cbranch_execz .LBB4_6160
; %bb.6155:                             ;   in Loop: Header=BB4_6126 Depth=3
	v_mov_b32_e32 v14, 3
	v_and_b32_sdwa v16, sext(v0), s95 dst_sel:DWORD dst_unused:UNUSED_PAD src0_sel:BYTE_0 src1_sel:DWORD
	v_and_b32_sdwa v14, sext(v0), v14 dst_sel:DWORD dst_unused:UNUSED_PAD src0_sel:BYTE_0 src1_sel:DWORD
	v_cmp_ne_u32_e32 vcc, s95, v16
                                        ; implicit-def: $vgpr17
	s_and_saveexec_b64 s[28:29], vcc
	s_xor_b64 s[28:29], exec, s[28:29]
	s_cbranch_execz .LBB4_6157
; %bb.6156:                             ;   in Loop: Header=BB4_6126 Depth=3
	v_ffbh_u32_e32 v3, v14
	v_min_u32_e32 v3, 32, v3
	v_and_b32_sdwa v0, sext(v0), s93 dst_sel:DWORD dst_unused:UNUSED_PAD src0_sel:BYTE_0 src1_sel:DWORD
	v_subrev_u32_e32 v16, 29, v3
	v_bfe_u32 v0, v0, 2, 5
	v_lshlrev_b64 v[16:17], v16, v[42:43]
	v_sub_u32_e32 v3, 30, v3
	v_and_b32_e32 v16, 3, v16
	v_cmp_eq_u32_e32 vcc, 0, v0
	v_cndmask_b32_e32 v0, v0, v3, vcc
	v_cndmask_b32_e32 v3, v14, v16, vcc
	v_lshlrev_b32_e32 v3, 21, v3
	v_lshl_or_b32 v0, v0, 23, v3
	v_add_u32_e32 v0, 0x38000000, v0
	v_or_b32_e32 v17, v0, v7
                                        ; implicit-def: $vgpr14
                                        ; implicit-def: $vgpr3
.LBB4_6157:                             ;   in Loop: Header=BB4_6126 Depth=3
	s_andn2_saveexec_b64 s[28:29], s[28:29]
; %bb.6158:                             ;   in Loop: Header=BB4_6126 Depth=3
	v_cmp_eq_u32_e32 vcc, 0, v14
	v_mov_b32_e32 v0, 0x7f800001
	v_cndmask_b32_e32 v17, v0, v3, vcc
; %bb.6159:                             ;   in Loop: Header=BB4_6126 Depth=3
	s_or_b64 exec, exec, s[28:29]
.LBB4_6160:                             ;   in Loop: Header=BB4_6126 Depth=3
	s_or_b64 exec, exec, s[30:31]
.LBB4_6161:                             ;   in Loop: Header=BB4_6126 Depth=3
	s_or_b64 exec, exec, s[34:35]
	v_max_f32_e32 v0, v17, v17
	v_max_f32_e32 v3, v15, v15
	v_min_f32_e32 v15, v3, v0
.LBB4_6162:                             ;   in Loop: Header=BB4_6126 Depth=3
	v_and_b32_sdwa v0, v15, s97 dst_sel:DWORD dst_unused:UNUSED_PAD src0_sel:BYTE_3 src1_sel:DWORD
	v_and_b32_e32 v16, 0x7f800000, v15
	v_mov_b32_e32 v17, v43
	v_and_b32_e32 v42, 0x7fffff, v15
	v_or_b32_e32 v3, 0x7b, v0
	v_cmp_ne_u64_e32 vcc, s[52:53], v[16:17]
	s_and_saveexec_b64 s[28:29], vcc
	s_xor_b64 s[30:31], exec, s[28:29]
	s_cbranch_execz .LBB4_6176
; %bb.6163:                             ;   in Loop: Header=BB4_6126 Depth=3
	v_and_b32_e32 v16, 0x7fffffff, v15
	v_mov_b32_e32 v17, v43
	v_cmp_gt_u64_e32 vcc, s[54:55], v[16:17]
	s_and_saveexec_b64 s[28:29], vcc
	s_xor_b64 s[34:35], exec, s[28:29]
	s_cbranch_execz .LBB4_6175
; %bb.6164:                             ;   in Loop: Header=BB4_6126 Depth=3
	v_cmp_ne_u32_e32 vcc, 0, v15
	v_mov_b32_e32 v3, 0
	s_and_saveexec_b64 s[72:73], vcc
	s_cbranch_execz .LBB4_6174
; %bb.6165:                             ;   in Loop: Header=BB4_6126 Depth=3
	v_bfe_u32 v3, v15, 23, 8
	v_cmp_eq_u32_e32 vcc, 0, v3
	v_add_u32_e32 v7, 0xffffff81, v3
	v_cmp_gt_u32_e64 s[28:29], s38, v3
	v_sub_u32_e32 v3, 0x71, v3
	v_mov_b32_e32 v15, 0xffffff82
	v_cndmask_b32_e64 v3, 0, v3, s[28:29]
	v_cndmask_b32_e32 v7, v7, v15, vcc
	v_mov_b32_e32 v15, 0x70
	v_or_b32_e32 v14, 0x800000, v42
	v_cndmask_b32_e32 v3, v3, v15, vcc
	v_cndmask_b32_e32 v42, v14, v42, vcc
	v_add_u32_e32 v14, 21, v3
	v_lshlrev_b64 v[14:15], v14, -1
	v_not_b32_e32 v15, v15
	v_not_b32_e32 v14, v14
	v_add_u32_e32 v16, 20, v3
	v_and_b32_e32 v15, 0, v15
	v_and_b32_e32 v14, v42, v14
	v_lshlrev_b64 v[16:17], v16, 1
	v_cmp_eq_u64_e32 vcc, v[14:15], v[16:17]
	v_lshrrev_b64 v[14:15], v3, v[42:43]
	v_lshrrev_b32_e32 v16, 23, v14
	v_add3_u32 v16, v3, v7, v16
	v_bfe_u32 v7, v14, 21, 1
	v_add_u32_e32 v7, -1, v7
	v_cndmask_b32_e32 v7, 0, v7, vcc
	v_add_u32_e32 v7, v7, v14
	v_and_b32_e32 v7, 0x1fffff, v7
	v_add_co_u32_e32 v14, vcc, v7, v14
	v_add_u32_e32 v3, 14, v16
	v_addc_co_u32_e32 v15, vcc, 0, v15, vcc
	v_cmp_ne_u32_e32 vcc, 0, v3
                                        ; implicit-def: $vgpr7
	s_and_saveexec_b64 s[28:29], vcc
	s_xor_b64 s[28:29], exec, s[28:29]
; %bb.6166:                             ;   in Loop: Header=BB4_6126 Depth=3
	v_add_u32_e32 v7, 15, v16
	v_cmp_lt_u64_e32 vcc, s[56:57], v[14:15]
	v_cndmask_b32_e32 v7, v3, v7, vcc
	v_cndmask_b32_e64 v3, 0, 1, vcc
	v_lshrrev_b64 v[14:15], v3, v[14:15]
; %bb.6167:                             ;   in Loop: Header=BB4_6126 Depth=3
	s_andn2_saveexec_b64 s[28:29], s[28:29]
; %bb.6168:                             ;   in Loop: Header=BB4_6126 Depth=3
	v_bfe_u32 v7, v14, 23, 1
; %bb.6169:                             ;   in Loop: Header=BB4_6126 Depth=3
	s_or_b64 exec, exec, s[28:29]
	v_lshrrev_b64 v[14:15], 21, v[14:15]
	v_cmp_gt_i32_e32 vcc, 32, v7
	v_cndmask_b32_e32 v15, 0, v15, vcc
	v_cndmask_b32_e32 v14, 3, v14, vcc
	v_cmp_ne_u32_e32 vcc, 0, v7
	v_cmp_ne_u64_e64 s[28:29], 0, v[14:15]
	s_or_b64 s[28:29], vcc, s[28:29]
                                        ; implicit-def: $vgpr3
	s_and_saveexec_b64 vcc, s[28:29]
	s_xor_b64 s[28:29], exec, vcc
; %bb.6170:                             ;   in Loop: Header=BB4_6126 Depth=3
	v_min_i32_e32 v3, 31, v7
	v_lshl_or_b32 v0, v3, 2, v0
	v_and_or_b32 v3, v14, 3, v0
                                        ; implicit-def: $vgpr0
; %bb.6171:                             ;   in Loop: Header=BB4_6126 Depth=3
	s_andn2_saveexec_b64 s[28:29], s[28:29]
; %bb.6172:                             ;   in Loop: Header=BB4_6126 Depth=3
	v_mov_b32_e32 v3, v0
; %bb.6173:                             ;   in Loop: Header=BB4_6126 Depth=3
	s_or_b64 exec, exec, s[28:29]
.LBB4_6174:                             ;   in Loop: Header=BB4_6126 Depth=3
	s_or_b64 exec, exec, s[72:73]
.LBB4_6175:                             ;   in Loop: Header=BB4_6126 Depth=3
	s_andn2_saveexec_b64 s[28:29], s[34:35]
	s_or_b64 exec, exec, s[28:29]
                                        ; implicit-def: $vgpr15
.LBB4_6176:                             ;   in Loop: Header=BB4_6126 Depth=3
	s_andn2_saveexec_b64 s[28:29], s[30:31]
; %bb.6177:                             ;   in Loop: Header=BB4_6126 Depth=3
	v_or_b32_sdwa v0, v15, s39 dst_sel:DWORD dst_unused:UNUSED_PAD src0_sel:BYTE_3 src1_sel:DWORD
	v_cmp_eq_u64_e32 vcc, 0, v[42:43]
	v_cndmask_b32_e32 v3, v0, v3, vcc
; %bb.6178:                             ;   in Loop: Header=BB4_6126 Depth=3
	s_or_b64 exec, exec, s[28:29]
	s_mov_b64 s[72:73], 0
	s_mov_b64 s[34:35], -1
.LBB4_6179:                             ;   Parent Loop BB4_47 Depth=1
                                        ;     Parent Loop BB4_3264 Depth=2
                                        ;       Parent Loop BB4_6126 Depth=3
                                        ; =>      This Inner Loop Header: Depth=4
	s_cmp_eq_u32 s72, 1
	s_cselect_b64 vcc, -1, 0
	v_cndmask_b32_e32 v14, v4, v8, vcc
	v_cndmask_b32_e32 v15, v5, v9, vcc
	v_add_co_u32_e64 v0, s[28:29], 64, v14
	s_cmp_eq_u32 s72, 0
	v_addc_co_u32_e64 v7, s[28:29], 0, v15, s[28:29]
	s_cselect_b64 s[28:29], -1, 0
	s_and_b64 s[30:31], exec, s[34:35]
	s_mov_b64 s[72:73], 1
	s_mov_b64 s[34:35], 0
	v_cndmask_b32_e32 v9, v9, v7, vcc
	v_cndmask_b32_e32 v8, v8, v0, vcc
	v_cndmask_b32_e64 v5, v5, v7, s[28:29]
	v_cndmask_b32_e64 v4, v4, v0, s[28:29]
	s_mov_b64 vcc, s[30:31]
	flat_store_byte v[14:15], v3 glc slc
	s_cbranch_vccnz .LBB4_6179
; %bb.6180:                             ;   in Loop: Header=BB4_6126 Depth=3
	v_accvgpr_read_b32 v0, a36
	v_add_co_u32_e32 v10, vcc, v10, v0
	v_accvgpr_read_b32 v3, a37
	v_addc_co_u32_e32 v11, vcc, v11, v3, vcc
	v_add_co_u32_e32 v12, vcc, v12, v0
	v_addc_co_u32_e32 v13, vcc, v13, v3, vcc
	v_accvgpr_read_b32 v0, a30
	v_add_co_u32_e32 v4, vcc, v4, v0
	v_accvgpr_read_b32 v3, a29
	v_addc_co_u32_e32 v5, vcc, v5, v3, vcc
	v_sub_u32_e32 v2, v2, v41
	v_cmp_gt_i32_e32 vcc, 1, v2
	s_or_b64 s[68:69], vcc, s[68:69]
	v_add_co_u32_e32 v8, vcc, v8, v0
	v_addc_co_u32_e32 v9, vcc, v9, v3, vcc
	s_andn2_b64 exec, exec, s[68:69]
	s_cbranch_execnz .LBB4_6126
.LBB4_6181:                             ;   in Loop: Header=BB4_3264 Depth=2
	s_or_b64 exec, exec, s[66:67]
	s_or_b64 exec, exec, s[64:65]
	s_branch .LBB4_3337
.LBB4_6182:                             ;   in Loop: Header=BB4_3264 Depth=2
	s_mov_b64 s[30:31], -1
	s_and_saveexec_b64 s[28:29], s[22:23]
	s_cbranch_execz .LBB4_6184
; %bb.6183:                             ;   in Loop: Header=BB4_3264 Depth=2
	ds_read_b32 v0, v0 offset:720
	s_waitcnt lgkmcnt(0)
	v_and_b32_e32 v0, 15, v0
	v_cmp_eq_u32_e32 vcc, 0, v0
	s_orn2_b64 s[30:31], vcc, exec
.LBB4_6184:                             ;   in Loop: Header=BB4_3264 Depth=2
	s_or_b64 exec, exec, s[28:29]
	s_and_saveexec_b64 s[28:29], s[18:19]
	s_cbranch_execz .LBB4_6186
; %bb.6185:                             ;   in Loop: Header=BB4_3264 Depth=2
	ds_read_b32 v0, v0 offset:784
	s_waitcnt lgkmcnt(0)
	v_and_b32_e32 v0, 15, v0
	v_cmp_eq_u32_e32 vcc, 0, v0
	s_and_b64 vcc, s[30:31], vcc
	s_andn2_b64 s[30:31], s[30:31], exec
	s_and_b64 vcc, vcc, exec
	s_or_b64 s[30:31], s[30:31], vcc
.LBB4_6186:                             ;   in Loop: Header=BB4_3264 Depth=2
	s_or_b64 exec, exec, s[28:29]
	s_xor_b64 vcc, s[30:31], -1
	v_cndmask_b32_e64 v0, 0, 1, vcc
	;;#ASMSTART
	;;#ASMEND
	s_mov_b64 s[28:29], -1
	v_cmp_ne_u32_e32 vcc, 0, v0
	v_mov_b32_e32 v0, 0
	v_mov_b32_e32 v7, v31
	v_accvgpr_read_b32 v30, a1
	v_accvgpr_read_b32 v4, a31
	s_cbranch_vccz .LBB4_6189
; %bb.6187:                             ;   in Loop: Header=BB4_3264 Depth=2
	s_and_saveexec_b64 s[64:65], s[28:29]
	s_cbranch_execnz .LBB4_8506
.LBB4_6188:                             ;   in Loop: Header=BB4_3264 Depth=2
	s_or_b64 exec, exec, s[64:65]
	s_and_saveexec_b64 s[28:29], s[10:11]
	s_cbranch_execnz .LBB4_3338
	s_branch .LBB4_4896
.LBB4_6189:                             ;   in Loop: Header=BB4_3264 Depth=2
	v_mov_b32_e32 v2, v31
	v_ashrrev_i32_e32 v0, 31, v2
	v_lshrrev_b32_e32 v0, 21, v0
	v_add_u32_e32 v0, v2, v0
	v_ashrrev_i32_e32 v2, 11, v0
	v_accvgpr_read_b32 v0, a31
	v_sub_u32_e32 v52, v2, v0
	v_cmp_lt_i32_e32 vcc, 0, v52
	s_and_saveexec_b64 s[34:35], vcc
	s_cbranch_execz .LBB4_7729
; %bb.6190:                             ;   in Loop: Header=BB4_3264 Depth=2
	v_accvgpr_write_b32 a59, v2
	s_trap 2
	ds_read_b128 v[2:5], v0
	ds_read_b64 v[8:9], v0
	v_accvgpr_read_b32 v10, a44
	v_accvgpr_read_b32 v11, a45
	s_bitcmp1_b32 s85, 0
	s_waitcnt lgkmcnt(0)
	v_add_co_u32_e32 v24, vcc, v2, v10
	v_addc_co_u32_e32 v25, vcc, v3, v11, vcc
	v_add_co_u32_e32 v28, vcc, v4, v10
	v_addc_co_u32_e32 v29, vcc, v5, v11, vcc
	v_add_co_u32_e32 v40, vcc, v8, v10
	v_addc_co_u32_e32 v41, vcc, v9, v11, vcc
	s_mov_b64 s[64:65], 0
	s_cselect_b64 s[66:67], -1, 0
	s_branch .LBB4_6192
.LBB4_6191:                             ;   in Loop: Header=BB4_6192 Depth=3
	s_or_b64 exec, exec, s[28:29]
	v_lshlrev_b32_e32 v2, 8, v2
	v_lshlrev_b32_e32 v5, 16, v38
	;; [unrolled: 1-line block ×3, first 2 shown]
	v_perm_b32 v2, v2, v3, s9
	v_lshlrev_b32_e32 v3, 16, v20
	v_perm_b32 v5, v26, v5, s82
	v_perm_b32 v8, v8, v56, s9
	;; [unrolled: 1-line block ×3, first 2 shown]
	v_or_b32_e32 v45, v5, v8
	v_lshlrev_b32_e32 v8, 24, v47
	v_or_b32_e32 v47, v3, v2
	v_lshlrev_b32_e32 v2, 16, v17
	v_lshlrev_b32_e32 v0, 8, v0
	v_perm_b32 v2, v16, v2, s82
	v_perm_b32 v0, v0, v60, s9
	v_or_b32_e32 v15, v2, v0
	v_and_b32_e32 v0, 0xff, v7
	v_lshlrev_b32_e32 v3, 8, v23
	v_and_b32_e32 v5, 0xff, v46
	v_lshlrev_b32_e32 v10, 8, v53
	v_lshlrev_b32_e32 v2, 24, v30
	;; [unrolled: 1-line block ×3, first 2 shown]
	v_perm_b32 v3, v3, v22, s9
	v_lshlrev_b32_e32 v5, 16, v5
	v_perm_b32 v10, v10, v44, s9
	v_or3_b32 v14, v2, v0, v3
	v_and_b32_e32 v0, 0xff, v55
	v_lshlrev_b32_e32 v3, 8, v19
	v_or3_b32 v44, v8, v5, v10
	v_and_b32_e32 v5, 0xff, v58
	v_lshlrev_b32_e32 v10, 8, v57
	v_lshlrev_b32_e32 v2, 24, v36
	;; [unrolled: 1-line block ×3, first 2 shown]
	v_perm_b32 v3, v3, v18, s9
	v_accvgpr_read_b32 v58, a33
	v_lshlrev_b32_e32 v8, 24, v59
	v_lshlrev_b32_e32 v5, 16, v5
	v_perm_b32 v10, v10, v39, s9
	v_or3_b32 v16, v2, v0, v3
	v_lshlrev_b32_e32 v0, 8, v9
	v_lshlrev_b32_e32 v2, 16, v12
	v_add_co_u32_e32 v24, vcc, v24, v58
	v_accvgpr_read_b32 v55, a34
	v_or3_b32 v46, v8, v5, v10
	v_perm_b32 v0, v0, v37, s9
	v_perm_b32 v2, v4, v2, s82
	v_addc_co_u32_e32 v25, vcc, v25, v55, vcc
	v_or_b32_e32 v17, v2, v0
	global_store_dwordx4 v[40:41], v[44:47], off glc slc
	global_store_dwordx4 v[40:41], v[14:17], off offset:1024 glc slc
	v_add_co_u32_e32 v28, vcc, v28, v58
	v_accvgpr_read_b32 v46, a24
	v_addc_co_u32_e32 v29, vcc, v29, v55, vcc
	v_sub_u32_e32 v52, v52, v46
	v_cmp_gt_i32_e32 vcc, 1, v52
	s_or_b64 s[64:65], vcc, s[64:65]
	v_add_co_u32_e32 v40, vcc, v40, v58
	v_addc_co_u32_e32 v41, vcc, v41, v55, vcc
	s_andn2_b64 exec, exec, s[64:65]
	s_cbranch_execz .LBB4_7728
.LBB4_6192:                             ;   Parent Loop BB4_47 Depth=1
                                        ;     Parent Loop BB4_3264 Depth=2
                                        ; =>    This Inner Loop Header: Depth=3
	global_load_dwordx4 v[20:23], v[24:25], off glc slc
	global_load_dwordx4 v[12:15], v[24:25], off offset:1024 glc slc
	global_load_dwordx4 v[16:19], v[28:29], off glc slc
	global_load_dwordx4 v[8:11], v[28:29], off offset:1024 glc slc
	s_and_b64 vcc, exec, s[66:67]
	s_waitcnt vmcnt(0)
	v_cmp_ne_u16_sdwa s[28:29], v20, v43 src0_sel:BYTE_0 src1_sel:DWORD
	s_cbranch_vccz .LBB4_6210
; %bb.6193:                             ;   in Loop: Header=BB4_6192 Depth=3
	v_mov_b32_e32 v2, 0
	v_mov_b32_e32 v0, 0
	s_and_saveexec_b64 s[30:31], s[28:29]
	s_cbranch_execz .LBB4_6201
; %bb.6194:                             ;   in Loop: Header=BB4_6192 Depth=3
	v_cmp_ne_u16_sdwa vcc, sext(v20), s94 src0_sel:BYTE_0 src1_sel:DWORD
	v_bfrev_b32_e32 v0, 1
	s_and_saveexec_b64 s[68:69], vcc
	s_cbranch_execz .LBB4_6200
; %bb.6195:                             ;   in Loop: Header=BB4_6192 Depth=3
	v_and_b32_e32 v0, 0x7c, v20
	v_and_b32_e32 v3, 3, v20
	v_cmp_ne_u32_e32 vcc, s95, v0
                                        ; implicit-def: $vgpr0
	s_and_saveexec_b64 s[70:71], vcc
	s_xor_b64 s[70:71], exec, s[70:71]
	s_cbranch_execz .LBB4_6197
; %bb.6196:                             ;   in Loop: Header=BB4_6192 Depth=3
	v_ffbh_u32_e32 v4, v3
	v_min_u32_e32 v7, 32, v4
	v_subrev_u32_e32 v4, 29, v7
	v_bfe_u32 v0, v20, 2, 5
	v_lshlrev_b64 v[4:5], v4, v[20:21]
	v_sub_u32_e32 v5, 30, v7
	v_cmp_eq_u32_e32 vcc, 0, v0
	v_and_b32_e32 v4, 3, v4
	v_cndmask_b32_e32 v0, v0, v5, vcc
	v_bfrev_b32_e32 v5, 28
	v_cndmask_b32_e32 v3, v3, v4, vcc
	v_lshlrev_b32_e32 v4, 24, v20
	v_lshl_add_u32 v0, v0, 23, v5
	v_and_or_b32 v0, v4, s96, v0
	v_lshl_or_b32 v0, v3, 21, v0
                                        ; implicit-def: $vgpr3
.LBB4_6197:                             ;   in Loop: Header=BB4_6192 Depth=3
	s_andn2_saveexec_b64 s[70:71], s[70:71]
; %bb.6198:                             ;   in Loop: Header=BB4_6192 Depth=3
	v_mov_b32_e32 v0, -1
	v_cmp_gt_i16_sdwa vcc, sext(v20), v0 src0_sel:BYTE_0 src1_sel:DWORD
	v_cndmask_b32_e32 v0, v6, v1, vcc
	v_cmp_eq_u32_e32 vcc, 0, v3
	v_mov_b32_e32 v3, 0x7f800001
	v_cndmask_b32_e32 v0, v3, v0, vcc
; %bb.6199:                             ;   in Loop: Header=BB4_6192 Depth=3
	s_or_b64 exec, exec, s[70:71]
.LBB4_6200:                             ;   in Loop: Header=BB4_6192 Depth=3
	s_or_b64 exec, exec, s[68:69]
.LBB4_6201:                             ;   in Loop: Header=BB4_6192 Depth=3
	s_or_b64 exec, exec, s[30:31]
	v_cmp_ne_u16_sdwa vcc, sext(v16), v43 src0_sel:BYTE_0 src1_sel:DWORD
	s_and_saveexec_b64 s[30:31], vcc
	s_cbranch_execz .LBB4_6209
; %bb.6202:                             ;   in Loop: Header=BB4_6192 Depth=3
	v_cmp_ne_u16_sdwa vcc, sext(v16), s94 src0_sel:BYTE_0 src1_sel:DWORD
	v_bfrev_b32_e32 v2, 1
	s_and_saveexec_b64 s[68:69], vcc
	s_cbranch_execz .LBB4_6208
; %bb.6203:                             ;   in Loop: Header=BB4_6192 Depth=3
	v_and_b32_e32 v2, 0x7c, v16
	v_and_b32_e32 v3, 3, v16
	v_cmp_ne_u32_e32 vcc, s95, v2
                                        ; implicit-def: $vgpr2
	s_and_saveexec_b64 s[70:71], vcc
	s_xor_b64 s[70:71], exec, s[70:71]
	s_cbranch_execz .LBB4_6205
; %bb.6204:                             ;   in Loop: Header=BB4_6192 Depth=3
	v_ffbh_u32_e32 v4, v3
	v_min_u32_e32 v7, 32, v4
	v_subrev_u32_e32 v4, 29, v7
	v_bfe_u32 v2, v16, 2, 5
	v_lshlrev_b64 v[4:5], v4, v[16:17]
	v_sub_u32_e32 v5, 30, v7
	v_cmp_eq_u32_e32 vcc, 0, v2
	v_and_b32_e32 v4, 3, v4
	v_cndmask_b32_e32 v2, v2, v5, vcc
	v_bfrev_b32_e32 v5, 28
	v_cndmask_b32_e32 v3, v3, v4, vcc
	v_lshlrev_b32_e32 v4, 24, v16
	v_lshl_add_u32 v2, v2, 23, v5
	v_and_or_b32 v2, v4, s96, v2
	v_lshl_or_b32 v2, v3, 21, v2
                                        ; implicit-def: $vgpr3
.LBB4_6205:                             ;   in Loop: Header=BB4_6192 Depth=3
	s_andn2_saveexec_b64 s[70:71], s[70:71]
; %bb.6206:                             ;   in Loop: Header=BB4_6192 Depth=3
	v_mov_b32_e32 v2, -1
	v_cmp_gt_i16_sdwa vcc, sext(v16), v2 src0_sel:BYTE_0 src1_sel:DWORD
	v_cndmask_b32_e32 v2, v6, v1, vcc
	v_cmp_eq_u32_e32 vcc, 0, v3
	v_mov_b32_e32 v3, 0x7f800001
	v_cndmask_b32_e32 v2, v3, v2, vcc
; %bb.6207:                             ;   in Loop: Header=BB4_6192 Depth=3
	s_or_b64 exec, exec, s[70:71]
.LBB4_6208:                             ;   in Loop: Header=BB4_6192 Depth=3
	s_or_b64 exec, exec, s[68:69]
.LBB4_6209:                             ;   in Loop: Header=BB4_6192 Depth=3
	s_or_b64 exec, exec, s[30:31]
	v_max_f32_e32 v2, v2, v2
	v_max_f32_e32 v0, v0, v0
	;; [unrolled: 1-line block ×3, first 2 shown]
	s_branch .LBB4_6228
.LBB4_6210:                             ;   in Loop: Header=BB4_6192 Depth=3
                                        ; implicit-def: $vgpr2
	s_cbranch_execz .LBB4_6228
; %bb.6211:                             ;   in Loop: Header=BB4_6192 Depth=3
	v_mov_b32_e32 v2, 0
	v_mov_b32_e32 v0, 0
	s_and_saveexec_b64 s[30:31], s[28:29]
	s_cbranch_execz .LBB4_6219
; %bb.6212:                             ;   in Loop: Header=BB4_6192 Depth=3
	v_cmp_ne_u16_sdwa vcc, sext(v20), s94 src0_sel:BYTE_0 src1_sel:DWORD
	v_bfrev_b32_e32 v0, 1
	s_and_saveexec_b64 s[28:29], vcc
	s_cbranch_execz .LBB4_6218
; %bb.6213:                             ;   in Loop: Header=BB4_6192 Depth=3
	v_and_b32_e32 v0, 0x7c, v20
	v_and_b32_e32 v3, 3, v20
	v_cmp_ne_u32_e32 vcc, s95, v0
                                        ; implicit-def: $vgpr0
	s_and_saveexec_b64 s[68:69], vcc
	s_xor_b64 s[68:69], exec, s[68:69]
	s_cbranch_execz .LBB4_6215
; %bb.6214:                             ;   in Loop: Header=BB4_6192 Depth=3
	v_ffbh_u32_e32 v4, v3
	v_min_u32_e32 v7, 32, v4
	v_subrev_u32_e32 v4, 29, v7
	v_bfe_u32 v0, v20, 2, 5
	v_lshlrev_b64 v[4:5], v4, v[20:21]
	v_sub_u32_e32 v5, 30, v7
	v_cmp_eq_u32_e32 vcc, 0, v0
	v_and_b32_e32 v4, 3, v4
	v_cndmask_b32_e32 v0, v0, v5, vcc
	v_bfrev_b32_e32 v5, 28
	v_cndmask_b32_e32 v3, v3, v4, vcc
	v_lshlrev_b32_e32 v4, 24, v20
	v_lshl_add_u32 v0, v0, 23, v5
	v_and_or_b32 v0, v4, s96, v0
	v_lshl_or_b32 v0, v3, 21, v0
                                        ; implicit-def: $vgpr3
.LBB4_6215:                             ;   in Loop: Header=BB4_6192 Depth=3
	s_andn2_saveexec_b64 s[68:69], s[68:69]
; %bb.6216:                             ;   in Loop: Header=BB4_6192 Depth=3
	v_mov_b32_e32 v0, -1
	v_cmp_gt_i16_sdwa vcc, sext(v20), v0 src0_sel:BYTE_0 src1_sel:DWORD
	v_cndmask_b32_e32 v0, v6, v1, vcc
	v_cmp_eq_u32_e32 vcc, 0, v3
	v_mov_b32_e32 v3, 0x7f800001
	v_cndmask_b32_e32 v0, v3, v0, vcc
; %bb.6217:                             ;   in Loop: Header=BB4_6192 Depth=3
	s_or_b64 exec, exec, s[68:69]
.LBB4_6218:                             ;   in Loop: Header=BB4_6192 Depth=3
	s_or_b64 exec, exec, s[28:29]
.LBB4_6219:                             ;   in Loop: Header=BB4_6192 Depth=3
	s_or_b64 exec, exec, s[30:31]
	v_cmp_ne_u16_sdwa vcc, sext(v16), v43 src0_sel:BYTE_0 src1_sel:DWORD
	s_and_saveexec_b64 s[28:29], vcc
	s_cbranch_execz .LBB4_6227
; %bb.6220:                             ;   in Loop: Header=BB4_6192 Depth=3
	v_cmp_ne_u16_sdwa vcc, sext(v16), s94 src0_sel:BYTE_0 src1_sel:DWORD
	v_bfrev_b32_e32 v2, 1
	s_and_saveexec_b64 s[30:31], vcc
	s_cbranch_execz .LBB4_6226
; %bb.6221:                             ;   in Loop: Header=BB4_6192 Depth=3
	v_and_b32_e32 v2, 0x7c, v16
	v_and_b32_e32 v3, 3, v16
	v_cmp_ne_u32_e32 vcc, s95, v2
                                        ; implicit-def: $vgpr2
	s_and_saveexec_b64 s[68:69], vcc
	s_xor_b64 s[68:69], exec, s[68:69]
	s_cbranch_execz .LBB4_6223
; %bb.6222:                             ;   in Loop: Header=BB4_6192 Depth=3
	v_ffbh_u32_e32 v4, v3
	v_min_u32_e32 v7, 32, v4
	v_subrev_u32_e32 v4, 29, v7
	v_bfe_u32 v2, v16, 2, 5
	v_lshlrev_b64 v[4:5], v4, v[16:17]
	v_sub_u32_e32 v5, 30, v7
	v_cmp_eq_u32_e32 vcc, 0, v2
	v_and_b32_e32 v4, 3, v4
	v_cndmask_b32_e32 v2, v2, v5, vcc
	v_bfrev_b32_e32 v5, 28
	v_cndmask_b32_e32 v3, v3, v4, vcc
	v_lshlrev_b32_e32 v4, 24, v16
	v_lshl_add_u32 v2, v2, 23, v5
	v_and_or_b32 v2, v4, s96, v2
	v_lshl_or_b32 v2, v3, 21, v2
                                        ; implicit-def: $vgpr3
.LBB4_6223:                             ;   in Loop: Header=BB4_6192 Depth=3
	s_andn2_saveexec_b64 s[68:69], s[68:69]
; %bb.6224:                             ;   in Loop: Header=BB4_6192 Depth=3
	v_mov_b32_e32 v2, -1
	v_cmp_gt_i16_sdwa vcc, sext(v16), v2 src0_sel:BYTE_0 src1_sel:DWORD
	v_cndmask_b32_e32 v2, v6, v1, vcc
	v_cmp_eq_u32_e32 vcc, 0, v3
	v_mov_b32_e32 v3, 0x7f800001
	v_cndmask_b32_e32 v2, v3, v2, vcc
; %bb.6225:                             ;   in Loop: Header=BB4_6192 Depth=3
	s_or_b64 exec, exec, s[68:69]
.LBB4_6226:                             ;   in Loop: Header=BB4_6192 Depth=3
	s_or_b64 exec, exec, s[30:31]
.LBB4_6227:                             ;   in Loop: Header=BB4_6192 Depth=3
	s_or_b64 exec, exec, s[28:29]
	v_max_f32_e32 v2, v2, v2
	v_max_f32_e32 v0, v0, v0
	v_min_f32_e32 v2, v0, v2
.LBB4_6228:                             ;   in Loop: Header=BB4_6192 Depth=3
	v_and_b32_sdwa v0, v2, s97 dst_sel:DWORD dst_unused:UNUSED_PAD src0_sel:BYTE_3 src1_sel:DWORD
	v_and_b32_e32 v4, 0x7f800000, v2
	v_mov_b32_e32 v5, v43
	v_and_b32_e32 v42, 0x7fffff, v2
	v_or_b32_e32 v44, 0x7b, v0
	v_cmp_ne_u64_e32 vcc, s[52:53], v[4:5]
	s_and_saveexec_b64 s[28:29], vcc
	s_xor_b64 s[30:31], exec, s[28:29]
	s_cbranch_execz .LBB4_6238
; %bb.6229:                             ;   in Loop: Header=BB4_6192 Depth=3
	v_and_b32_e32 v4, 0x7fffffff, v2
	v_mov_b32_e32 v5, v43
	v_cmp_gt_u64_e32 vcc, s[54:55], v[4:5]
	s_and_saveexec_b64 s[68:69], vcc
	s_cbranch_execz .LBB4_6237
; %bb.6230:                             ;   in Loop: Header=BB4_6192 Depth=3
	v_cmp_ne_u32_e32 vcc, 0, v2
	v_mov_b32_e32 v44, 0
	s_and_saveexec_b64 s[70:71], vcc
	s_cbranch_execz .LBB4_6236
; %bb.6231:                             ;   in Loop: Header=BB4_6192 Depth=3
	v_bfe_u32 v2, v2, 23, 8
	v_sub_u32_e32 v4, 0x71, v2
	v_cmp_gt_u32_e32 vcc, s38, v2
	v_add_u32_e32 v3, 0xffffff81, v2
	v_cndmask_b32_e32 v4, 0, v4, vcc
	v_cmp_eq_u32_e32 vcc, 0, v2
	v_mov_b32_e32 v2, 0xffffff82
	v_cndmask_b32_e32 v7, v3, v2, vcc
	v_mov_b32_e32 v2, 0x70
	v_cndmask_b32_e32 v30, v4, v2, vcc
	v_add_u32_e32 v2, 21, v30
	v_or_b32_e32 v5, 0x800000, v42
	v_lshlrev_b64 v[2:3], v2, -1
	v_cndmask_b32_e32 v42, v5, v42, vcc
	v_not_b32_e32 v2, v2
	v_and_b32_e32 v4, v42, v2
	v_add_u32_e32 v2, 20, v30
	v_lshrrev_b64 v[36:37], v30, v[42:43]
	v_not_b32_e32 v3, v3
	v_lshlrev_b64 v[26:27], v2, 1
	v_lshrrev_b32_e32 v2, 23, v36
	v_and_b32_e32 v5, 0, v3
	v_add3_u32 v7, v30, v7, v2
	v_bfe_u32 v2, v36, 21, 1
	v_add_u32_e32 v2, -1, v2
	v_cmp_eq_u64_e32 vcc, v[4:5], v[26:27]
	v_cndmask_b32_e32 v2, 0, v2, vcc
	v_add_u32_e32 v2, v2, v36
	v_and_b32_e32 v2, 0x1fffff, v2
	v_add_co_u32_e32 v4, vcc, v2, v36
	v_add_u32_e32 v3, 14, v7
	v_addc_co_u32_e32 v5, vcc, 0, v37, vcc
	v_cmp_ne_u32_e32 vcc, 0, v3
                                        ; implicit-def: $vgpr2
	s_and_saveexec_b64 s[28:29], vcc
	s_xor_b64 s[28:29], exec, s[28:29]
; %bb.6232:                             ;   in Loop: Header=BB4_6192 Depth=3
	v_add_u32_e32 v2, 15, v7
	v_cmp_lt_u64_e32 vcc, s[56:57], v[4:5]
	v_cndmask_b32_e32 v2, v3, v2, vcc
	v_cndmask_b32_e64 v3, 0, 1, vcc
	v_lshrrev_b64 v[4:5], v3, v[4:5]
; %bb.6233:                             ;   in Loop: Header=BB4_6192 Depth=3
	s_andn2_saveexec_b64 s[28:29], s[28:29]
; %bb.6234:                             ;   in Loop: Header=BB4_6192 Depth=3
	v_bfe_u32 v2, v4, 23, 1
; %bb.6235:                             ;   in Loop: Header=BB4_6192 Depth=3
	s_or_b64 exec, exec, s[28:29]
	v_lshrrev_b64 v[4:5], 21, v[4:5]
	v_cmp_gt_i32_e32 vcc, 32, v2
	v_cndmask_b32_e32 v5, 0, v5, vcc
	v_cndmask_b32_e32 v4, 3, v4, vcc
	v_cmp_eq_u32_e32 vcc, 0, v2
	v_min_i32_e32 v2, 31, v2
	v_cmp_eq_u64_e64 s[28:29], 0, v[4:5]
	v_lshlrev_b32_e32 v2, 2, v2
	v_and_or_b32 v2, v4, 3, v2
	s_and_b64 s[28:29], vcc, s[28:29]
	v_cndmask_b32_e64 v2, v2, 0, s[28:29]
	v_or_b32_e32 v44, v2, v0
.LBB4_6236:                             ;   in Loop: Header=BB4_6192 Depth=3
	s_or_b64 exec, exec, s[70:71]
.LBB4_6237:                             ;   in Loop: Header=BB4_6192 Depth=3
	s_or_b64 exec, exec, s[68:69]
                                        ; implicit-def: $vgpr2
.LBB4_6238:                             ;   in Loop: Header=BB4_6192 Depth=3
	s_andn2_saveexec_b64 s[28:29], s[30:31]
; %bb.6239:                             ;   in Loop: Header=BB4_6192 Depth=3
	v_or_b32_sdwa v0, v2, s39 dst_sel:DWORD dst_unused:UNUSED_PAD src0_sel:BYTE_3 src1_sel:DWORD
	v_cmp_eq_u64_e32 vcc, 0, v[42:43]
	v_cndmask_b32_e32 v44, v0, v44, vcc
; %bb.6240:                             ;   in Loop: Header=BB4_6192 Depth=3
	s_or_b64 exec, exec, s[28:29]
	v_lshrrev_b16_e32 v42, 8, v20
	v_lshrrev_b16_e32 v4, 8, v16
	v_cmp_ne_u16_e64 s[28:29], 0, v42
	s_and_b64 vcc, exec, s[66:67]
	s_cbranch_vccz .LBB4_6258
; %bb.6241:                             ;   in Loop: Header=BB4_6192 Depth=3
	v_mov_b32_e32 v2, 0
	v_mov_b32_e32 v0, 0
	s_and_saveexec_b64 s[30:31], s[28:29]
	s_cbranch_execz .LBB4_6249
; %bb.6242:                             ;   in Loop: Header=BB4_6192 Depth=3
	v_cmp_ne_u16_e32 vcc, s97, v42
	v_bfrev_b32_e32 v0, 1
	s_and_saveexec_b64 s[68:69], vcc
	s_cbranch_execz .LBB4_6248
; %bb.6243:                             ;   in Loop: Header=BB4_6192 Depth=3
	v_and_b32_e32 v0, 0x7c, v42
	v_and_b32_e32 v3, 3, v42
	v_cmp_ne_u32_e32 vcc, s95, v0
                                        ; implicit-def: $vgpr0
	s_and_saveexec_b64 s[70:71], vcc
	s_xor_b64 s[70:71], exec, s[70:71]
	s_cbranch_execz .LBB4_6245
; %bb.6244:                             ;   in Loop: Header=BB4_6192 Depth=3
	v_ffbh_u32_e32 v5, v3
	v_min_u32_e32 v5, 32, v5
	v_subrev_u32_e32 v7, 29, v5
	v_bfe_u32 v0, v42, 2, 5
	v_lshlrev_b64 v[26:27], v7, v[42:43]
	v_sub_u32_e32 v5, 30, v5
	v_and_b32_e32 v7, 3, v26
	v_cmp_eq_u32_e32 vcc, 0, v0
	v_cndmask_b32_e32 v0, v0, v5, vcc
	v_cndmask_b32_e32 v3, v3, v7, vcc
	v_bfrev_b32_e32 v7, 28
	v_lshlrev_b32_e32 v5, 16, v20
	v_lshl_add_u32 v0, v0, 23, v7
	v_and_or_b32 v0, v5, s96, v0
	v_lshl_or_b32 v0, v3, 21, v0
                                        ; implicit-def: $vgpr3
.LBB4_6245:                             ;   in Loop: Header=BB4_6192 Depth=3
	s_andn2_saveexec_b64 s[70:71], s[70:71]
; %bb.6246:                             ;   in Loop: Header=BB4_6192 Depth=3
	v_cmp_lt_i16_e32 vcc, -1, v20
	v_cndmask_b32_e32 v0, v6, v1, vcc
	v_cmp_eq_u32_e32 vcc, 0, v3
	v_mov_b32_e32 v3, 0x7f800001
	v_cndmask_b32_e32 v0, v3, v0, vcc
; %bb.6247:                             ;   in Loop: Header=BB4_6192 Depth=3
	s_or_b64 exec, exec, s[70:71]
.LBB4_6248:                             ;   in Loop: Header=BB4_6192 Depth=3
	s_or_b64 exec, exec, s[68:69]
.LBB4_6249:                             ;   in Loop: Header=BB4_6192 Depth=3
	s_or_b64 exec, exec, s[30:31]
	v_cmp_ne_u16_e32 vcc, 0, v4
	s_and_saveexec_b64 s[30:31], vcc
	s_cbranch_execz .LBB4_6257
; %bb.6250:                             ;   in Loop: Header=BB4_6192 Depth=3
	v_cmp_ne_u16_e32 vcc, s97, v4
	v_bfrev_b32_e32 v2, 1
	s_and_saveexec_b64 s[68:69], vcc
	s_cbranch_execz .LBB4_6256
; %bb.6251:                             ;   in Loop: Header=BB4_6192 Depth=3
	v_and_b32_e32 v2, 0x7c, v4
	v_and_b32_e32 v3, 3, v4
	v_cmp_ne_u32_e32 vcc, s95, v2
                                        ; implicit-def: $vgpr2
	s_and_saveexec_b64 s[70:71], vcc
	s_xor_b64 s[70:71], exec, s[70:71]
	s_cbranch_execz .LBB4_6253
; %bb.6252:                             ;   in Loop: Header=BB4_6192 Depth=3
	v_ffbh_u32_e32 v7, v3
	v_min_u32_e32 v7, 32, v7
	v_mov_b32_e32 v5, v43
	v_subrev_u32_e32 v26, 29, v7
	v_bfe_u32 v2, v4, 2, 5
	v_lshlrev_b64 v[26:27], v26, v[4:5]
	v_sub_u32_e32 v5, 30, v7
	v_and_b32_e32 v7, 3, v26
	v_cmp_eq_u32_e32 vcc, 0, v2
	v_cndmask_b32_e32 v2, v2, v5, vcc
	v_cndmask_b32_e32 v3, v3, v7, vcc
	v_bfrev_b32_e32 v7, 28
	v_lshlrev_b32_e32 v5, 16, v16
	v_lshl_add_u32 v2, v2, 23, v7
	v_and_or_b32 v2, v5, s96, v2
	v_lshl_or_b32 v2, v3, 21, v2
                                        ; implicit-def: $vgpr3
.LBB4_6253:                             ;   in Loop: Header=BB4_6192 Depth=3
	s_andn2_saveexec_b64 s[70:71], s[70:71]
; %bb.6254:                             ;   in Loop: Header=BB4_6192 Depth=3
	v_cmp_lt_i16_e32 vcc, -1, v16
	v_cndmask_b32_e32 v2, v6, v1, vcc
	v_cmp_eq_u32_e32 vcc, 0, v3
	v_mov_b32_e32 v3, 0x7f800001
	v_cndmask_b32_e32 v2, v3, v2, vcc
; %bb.6255:                             ;   in Loop: Header=BB4_6192 Depth=3
	s_or_b64 exec, exec, s[70:71]
.LBB4_6256:                             ;   in Loop: Header=BB4_6192 Depth=3
	s_or_b64 exec, exec, s[68:69]
.LBB4_6257:                             ;   in Loop: Header=BB4_6192 Depth=3
	s_or_b64 exec, exec, s[30:31]
	v_max_f32_e32 v2, v2, v2
	v_max_f32_e32 v0, v0, v0
	;; [unrolled: 1-line block ×3, first 2 shown]
	s_branch .LBB4_6276
.LBB4_6258:                             ;   in Loop: Header=BB4_6192 Depth=3
                                        ; implicit-def: $vgpr2
	s_cbranch_execz .LBB4_6276
; %bb.6259:                             ;   in Loop: Header=BB4_6192 Depth=3
	v_mov_b32_e32 v2, 0
	v_mov_b32_e32 v0, 0
	s_and_saveexec_b64 s[30:31], s[28:29]
	s_cbranch_execz .LBB4_6267
; %bb.6260:                             ;   in Loop: Header=BB4_6192 Depth=3
	v_cmp_ne_u16_e32 vcc, s97, v42
	v_bfrev_b32_e32 v0, 1
	s_and_saveexec_b64 s[28:29], vcc
	s_cbranch_execz .LBB4_6266
; %bb.6261:                             ;   in Loop: Header=BB4_6192 Depth=3
	v_and_b32_e32 v0, 0x7c, v42
	v_and_b32_e32 v3, 3, v42
	v_cmp_ne_u32_e32 vcc, s95, v0
                                        ; implicit-def: $vgpr0
	s_and_saveexec_b64 s[68:69], vcc
	s_xor_b64 s[68:69], exec, s[68:69]
	s_cbranch_execz .LBB4_6263
; %bb.6262:                             ;   in Loop: Header=BB4_6192 Depth=3
	v_ffbh_u32_e32 v5, v3
	v_min_u32_e32 v5, 32, v5
	v_subrev_u32_e32 v7, 29, v5
	v_bfe_u32 v0, v42, 2, 5
	v_lshlrev_b64 v[26:27], v7, v[42:43]
	v_sub_u32_e32 v5, 30, v5
	v_and_b32_e32 v7, 3, v26
	v_cmp_eq_u32_e32 vcc, 0, v0
	v_cndmask_b32_e32 v0, v0, v5, vcc
	v_cndmask_b32_e32 v3, v3, v7, vcc
	v_bfrev_b32_e32 v7, 28
	v_lshlrev_b32_e32 v5, 16, v20
	v_lshl_add_u32 v0, v0, 23, v7
	v_and_or_b32 v0, v5, s96, v0
	v_lshl_or_b32 v0, v3, 21, v0
                                        ; implicit-def: $vgpr3
.LBB4_6263:                             ;   in Loop: Header=BB4_6192 Depth=3
	s_andn2_saveexec_b64 s[68:69], s[68:69]
; %bb.6264:                             ;   in Loop: Header=BB4_6192 Depth=3
	v_cmp_lt_i16_e32 vcc, -1, v20
	v_cndmask_b32_e32 v0, v6, v1, vcc
	v_cmp_eq_u32_e32 vcc, 0, v3
	v_mov_b32_e32 v3, 0x7f800001
	v_cndmask_b32_e32 v0, v3, v0, vcc
; %bb.6265:                             ;   in Loop: Header=BB4_6192 Depth=3
	s_or_b64 exec, exec, s[68:69]
.LBB4_6266:                             ;   in Loop: Header=BB4_6192 Depth=3
	s_or_b64 exec, exec, s[28:29]
.LBB4_6267:                             ;   in Loop: Header=BB4_6192 Depth=3
	s_or_b64 exec, exec, s[30:31]
	v_cmp_ne_u16_e32 vcc, 0, v4
	s_and_saveexec_b64 s[28:29], vcc
	s_cbranch_execz .LBB4_6275
; %bb.6268:                             ;   in Loop: Header=BB4_6192 Depth=3
	v_cmp_ne_u16_e32 vcc, s97, v4
	v_bfrev_b32_e32 v2, 1
	s_and_saveexec_b64 s[30:31], vcc
	s_cbranch_execz .LBB4_6274
; %bb.6269:                             ;   in Loop: Header=BB4_6192 Depth=3
	v_and_b32_e32 v2, 0x7c, v4
	v_and_b32_e32 v3, 3, v4
	v_cmp_ne_u32_e32 vcc, s95, v2
                                        ; implicit-def: $vgpr2
	s_and_saveexec_b64 s[68:69], vcc
	s_xor_b64 s[68:69], exec, s[68:69]
	s_cbranch_execz .LBB4_6271
; %bb.6270:                             ;   in Loop: Header=BB4_6192 Depth=3
	v_ffbh_u32_e32 v7, v3
	v_min_u32_e32 v7, 32, v7
	v_mov_b32_e32 v5, v43
	v_subrev_u32_e32 v26, 29, v7
	v_bfe_u32 v2, v4, 2, 5
	v_lshlrev_b64 v[4:5], v26, v[4:5]
	v_sub_u32_e32 v5, 30, v7
	v_cmp_eq_u32_e32 vcc, 0, v2
	v_and_b32_e32 v4, 3, v4
	v_cndmask_b32_e32 v2, v2, v5, vcc
	v_bfrev_b32_e32 v5, 28
	v_cndmask_b32_e32 v3, v3, v4, vcc
	v_lshlrev_b32_e32 v4, 16, v16
	v_lshl_add_u32 v2, v2, 23, v5
	v_and_or_b32 v2, v4, s96, v2
	v_lshl_or_b32 v2, v3, 21, v2
                                        ; implicit-def: $vgpr3
.LBB4_6271:                             ;   in Loop: Header=BB4_6192 Depth=3
	s_andn2_saveexec_b64 s[68:69], s[68:69]
; %bb.6272:                             ;   in Loop: Header=BB4_6192 Depth=3
	v_cmp_lt_i16_e32 vcc, -1, v16
	v_cndmask_b32_e32 v2, v6, v1, vcc
	v_cmp_eq_u32_e32 vcc, 0, v3
	v_mov_b32_e32 v3, 0x7f800001
	v_cndmask_b32_e32 v2, v3, v2, vcc
; %bb.6273:                             ;   in Loop: Header=BB4_6192 Depth=3
	s_or_b64 exec, exec, s[68:69]
.LBB4_6274:                             ;   in Loop: Header=BB4_6192 Depth=3
	s_or_b64 exec, exec, s[30:31]
.LBB4_6275:                             ;   in Loop: Header=BB4_6192 Depth=3
	s_or_b64 exec, exec, s[28:29]
	v_max_f32_e32 v2, v2, v2
	v_max_f32_e32 v0, v0, v0
	v_min_f32_e32 v2, v0, v2
.LBB4_6276:                             ;   in Loop: Header=BB4_6192 Depth=3
	v_and_b32_sdwa v0, v2, s97 dst_sel:DWORD dst_unused:UNUSED_PAD src0_sel:BYTE_3 src1_sel:DWORD
	v_and_b32_e32 v4, 0x7f800000, v2
	v_mov_b32_e32 v5, v43
	v_and_b32_e32 v42, 0x7fffff, v2
	v_or_b32_e32 v53, 0x7b, v0
	v_cmp_ne_u64_e32 vcc, s[52:53], v[4:5]
	s_and_saveexec_b64 s[28:29], vcc
	s_xor_b64 s[30:31], exec, s[28:29]
	s_cbranch_execz .LBB4_6286
; %bb.6277:                             ;   in Loop: Header=BB4_6192 Depth=3
	v_and_b32_e32 v4, 0x7fffffff, v2
	v_mov_b32_e32 v5, v43
	v_cmp_gt_u64_e32 vcc, s[54:55], v[4:5]
	s_and_saveexec_b64 s[68:69], vcc
	s_cbranch_execz .LBB4_6285
; %bb.6278:                             ;   in Loop: Header=BB4_6192 Depth=3
	v_cmp_ne_u32_e32 vcc, 0, v2
	v_mov_b32_e32 v53, 0
	s_and_saveexec_b64 s[70:71], vcc
	s_cbranch_execz .LBB4_6284
; %bb.6279:                             ;   in Loop: Header=BB4_6192 Depth=3
	v_bfe_u32 v2, v2, 23, 8
	v_sub_u32_e32 v4, 0x71, v2
	v_cmp_gt_u32_e32 vcc, s38, v2
	v_add_u32_e32 v3, 0xffffff81, v2
	v_cndmask_b32_e32 v4, 0, v4, vcc
	v_cmp_eq_u32_e32 vcc, 0, v2
	v_mov_b32_e32 v2, 0xffffff82
	v_cndmask_b32_e32 v7, v3, v2, vcc
	v_mov_b32_e32 v2, 0x70
	v_cndmask_b32_e32 v30, v4, v2, vcc
	v_add_u32_e32 v2, 21, v30
	v_or_b32_e32 v5, 0x800000, v42
	v_lshlrev_b64 v[2:3], v2, -1
	v_cndmask_b32_e32 v42, v5, v42, vcc
	v_not_b32_e32 v2, v2
	v_and_b32_e32 v4, v42, v2
	v_add_u32_e32 v2, 20, v30
	v_lshrrev_b64 v[36:37], v30, v[42:43]
	v_not_b32_e32 v3, v3
	v_lshlrev_b64 v[26:27], v2, 1
	v_lshrrev_b32_e32 v2, 23, v36
	v_and_b32_e32 v5, 0, v3
	v_add3_u32 v7, v30, v7, v2
	v_bfe_u32 v2, v36, 21, 1
	v_add_u32_e32 v2, -1, v2
	v_cmp_eq_u64_e32 vcc, v[4:5], v[26:27]
	v_cndmask_b32_e32 v2, 0, v2, vcc
	v_add_u32_e32 v2, v2, v36
	v_and_b32_e32 v2, 0x1fffff, v2
	v_add_co_u32_e32 v4, vcc, v2, v36
	v_add_u32_e32 v3, 14, v7
	v_addc_co_u32_e32 v5, vcc, 0, v37, vcc
	v_cmp_ne_u32_e32 vcc, 0, v3
                                        ; implicit-def: $vgpr2
	s_and_saveexec_b64 s[28:29], vcc
	s_xor_b64 s[28:29], exec, s[28:29]
; %bb.6280:                             ;   in Loop: Header=BB4_6192 Depth=3
	v_add_u32_e32 v2, 15, v7
	v_cmp_lt_u64_e32 vcc, s[56:57], v[4:5]
	v_cndmask_b32_e32 v2, v3, v2, vcc
	v_cndmask_b32_e64 v3, 0, 1, vcc
	v_lshrrev_b64 v[4:5], v3, v[4:5]
; %bb.6281:                             ;   in Loop: Header=BB4_6192 Depth=3
	s_andn2_saveexec_b64 s[28:29], s[28:29]
; %bb.6282:                             ;   in Loop: Header=BB4_6192 Depth=3
	v_bfe_u32 v2, v4, 23, 1
; %bb.6283:                             ;   in Loop: Header=BB4_6192 Depth=3
	s_or_b64 exec, exec, s[28:29]
	v_lshrrev_b64 v[4:5], 21, v[4:5]
	v_cmp_gt_i32_e32 vcc, 32, v2
	v_cndmask_b32_e32 v5, 0, v5, vcc
	v_cndmask_b32_e32 v4, 3, v4, vcc
	v_cmp_eq_u32_e32 vcc, 0, v2
	v_min_i32_e32 v2, 31, v2
	v_cmp_eq_u64_e64 s[28:29], 0, v[4:5]
	v_lshlrev_b32_e32 v2, 2, v2
	v_and_or_b32 v2, v4, 3, v2
	s_and_b64 s[28:29], vcc, s[28:29]
	v_cndmask_b32_e64 v2, v2, 0, s[28:29]
	v_or_b32_e32 v53, v2, v0
.LBB4_6284:                             ;   in Loop: Header=BB4_6192 Depth=3
	s_or_b64 exec, exec, s[70:71]
.LBB4_6285:                             ;   in Loop: Header=BB4_6192 Depth=3
	s_or_b64 exec, exec, s[68:69]
                                        ; implicit-def: $vgpr2
.LBB4_6286:                             ;   in Loop: Header=BB4_6192 Depth=3
	s_andn2_saveexec_b64 s[28:29], s[30:31]
; %bb.6287:                             ;   in Loop: Header=BB4_6192 Depth=3
	v_or_b32_sdwa v0, v2, s39 dst_sel:DWORD dst_unused:UNUSED_PAD src0_sel:BYTE_3 src1_sel:DWORD
	v_cmp_eq_u64_e32 vcc, 0, v[42:43]
	v_cndmask_b32_e32 v53, v0, v53, vcc
; %bb.6288:                             ;   in Loop: Header=BB4_6192 Depth=3
	s_or_b64 exec, exec, s[28:29]
	v_lshrrev_b32_e32 v26, 16, v20
	v_lshrrev_b32_e32 v4, 16, v16
	v_cmp_ne_u16_sdwa s[28:29], v26, v43 src0_sel:BYTE_0 src1_sel:DWORD
	s_and_b64 vcc, exec, s[66:67]
	s_cbranch_vccz .LBB4_6306
; %bb.6289:                             ;   in Loop: Header=BB4_6192 Depth=3
	v_mov_b32_e32 v2, 0
	v_mov_b32_e32 v0, 0
	s_and_saveexec_b64 s[30:31], s[28:29]
	s_cbranch_execz .LBB4_6297
; %bb.6290:                             ;   in Loop: Header=BB4_6192 Depth=3
	v_cmp_ne_u16_sdwa vcc, v26, s97 src0_sel:BYTE_0 src1_sel:DWORD
	v_bfrev_b32_e32 v0, 1
	s_and_saveexec_b64 s[68:69], vcc
	s_cbranch_execz .LBB4_6296
; %bb.6291:                             ;   in Loop: Header=BB4_6192 Depth=3
	v_and_b32_e32 v0, 0x7c0000, v20
	v_bfe_u32 v3, v20, 16, 2
	v_cmp_ne_u32_e32 vcc, s36, v0
                                        ; implicit-def: $vgpr0
	s_and_saveexec_b64 s[70:71], vcc
	s_xor_b64 s[70:71], exec, s[70:71]
	s_cbranch_execz .LBB4_6293
; %bb.6292:                             ;   in Loop: Header=BB4_6192 Depth=3
	v_ffbh_u32_e32 v5, v3
	v_min_u32_e32 v5, 32, v5
	v_subrev_u32_e32 v7, 29, v5
	v_bfe_u32 v0, v20, 18, 5
	v_lshlrev_b64 v[36:37], v7, v[26:27]
	v_sub_u32_e32 v5, 30, v5
	v_and_b32_e32 v7, 3, v36
	v_cmp_eq_u32_e32 vcc, 0, v0
	v_cndmask_b32_e32 v0, v0, v5, vcc
	v_cndmask_b32_e32 v3, v3, v7, vcc
	v_bfrev_b32_e32 v7, 28
	v_lshlrev_b32_e32 v5, 24, v26
	v_lshl_add_u32 v0, v0, 23, v7
	v_and_or_b32 v0, v5, s96, v0
	v_lshl_or_b32 v0, v3, 21, v0
                                        ; implicit-def: $vgpr3
.LBB4_6293:                             ;   in Loop: Header=BB4_6192 Depth=3
	s_andn2_saveexec_b64 s[70:71], s[70:71]
; %bb.6294:                             ;   in Loop: Header=BB4_6192 Depth=3
	v_mov_b32_e32 v0, -1
	v_cmp_gt_i16_sdwa vcc, sext(v26), v0 src0_sel:BYTE_0 src1_sel:DWORD
	v_cndmask_b32_e32 v0, v6, v1, vcc
	v_cmp_eq_u32_e32 vcc, 0, v3
	v_mov_b32_e32 v3, 0x7f800001
	v_cndmask_b32_e32 v0, v3, v0, vcc
; %bb.6295:                             ;   in Loop: Header=BB4_6192 Depth=3
	s_or_b64 exec, exec, s[70:71]
.LBB4_6296:                             ;   in Loop: Header=BB4_6192 Depth=3
	s_or_b64 exec, exec, s[68:69]
.LBB4_6297:                             ;   in Loop: Header=BB4_6192 Depth=3
	s_or_b64 exec, exec, s[30:31]
	v_cmp_ne_u16_sdwa vcc, v4, v43 src0_sel:BYTE_0 src1_sel:DWORD
	s_and_saveexec_b64 s[30:31], vcc
	s_cbranch_execz .LBB4_6305
; %bb.6298:                             ;   in Loop: Header=BB4_6192 Depth=3
	v_cmp_ne_u16_sdwa vcc, v4, s97 src0_sel:BYTE_0 src1_sel:DWORD
	v_bfrev_b32_e32 v2, 1
	s_and_saveexec_b64 s[68:69], vcc
	s_cbranch_execz .LBB4_6304
; %bb.6299:                             ;   in Loop: Header=BB4_6192 Depth=3
	v_and_b32_e32 v2, 0x7c0000, v16
	v_bfe_u32 v3, v16, 16, 2
	v_cmp_ne_u32_e32 vcc, s36, v2
                                        ; implicit-def: $vgpr2
	s_and_saveexec_b64 s[70:71], vcc
	s_xor_b64 s[70:71], exec, s[70:71]
	s_cbranch_execz .LBB4_6301
; %bb.6300:                             ;   in Loop: Header=BB4_6192 Depth=3
	v_ffbh_u32_e32 v5, v3
	v_min_u32_e32 v5, 32, v5
	v_subrev_u32_e32 v7, 29, v5
	v_bfe_u32 v2, v16, 18, 5
	v_lshlrev_b64 v[36:37], v7, v[4:5]
	v_sub_u32_e32 v5, 30, v5
	v_and_b32_e32 v7, 3, v36
	v_cmp_eq_u32_e32 vcc, 0, v2
	v_cndmask_b32_e32 v2, v2, v5, vcc
	v_cndmask_b32_e32 v3, v3, v7, vcc
	v_bfrev_b32_e32 v7, 28
	v_lshlrev_b32_e32 v5, 24, v4
	v_lshl_add_u32 v2, v2, 23, v7
	v_and_or_b32 v2, v5, s96, v2
	v_lshl_or_b32 v2, v3, 21, v2
                                        ; implicit-def: $vgpr3
.LBB4_6301:                             ;   in Loop: Header=BB4_6192 Depth=3
	s_andn2_saveexec_b64 s[70:71], s[70:71]
; %bb.6302:                             ;   in Loop: Header=BB4_6192 Depth=3
	v_mov_b32_e32 v2, -1
	v_cmp_gt_i16_sdwa vcc, sext(v4), v2 src0_sel:BYTE_0 src1_sel:DWORD
	v_cndmask_b32_e32 v2, v6, v1, vcc
	v_cmp_eq_u32_e32 vcc, 0, v3
	v_mov_b32_e32 v3, 0x7f800001
	v_cndmask_b32_e32 v2, v3, v2, vcc
; %bb.6303:                             ;   in Loop: Header=BB4_6192 Depth=3
	s_or_b64 exec, exec, s[70:71]
.LBB4_6304:                             ;   in Loop: Header=BB4_6192 Depth=3
	s_or_b64 exec, exec, s[68:69]
.LBB4_6305:                             ;   in Loop: Header=BB4_6192 Depth=3
	s_or_b64 exec, exec, s[30:31]
	v_max_f32_e32 v2, v2, v2
	v_max_f32_e32 v0, v0, v0
	;; [unrolled: 1-line block ×3, first 2 shown]
	s_branch .LBB4_6324
.LBB4_6306:                             ;   in Loop: Header=BB4_6192 Depth=3
                                        ; implicit-def: $vgpr2
	s_cbranch_execz .LBB4_6324
; %bb.6307:                             ;   in Loop: Header=BB4_6192 Depth=3
	v_mov_b32_e32 v2, 0
	v_mov_b32_e32 v0, 0
	s_and_saveexec_b64 s[30:31], s[28:29]
	s_cbranch_execz .LBB4_6315
; %bb.6308:                             ;   in Loop: Header=BB4_6192 Depth=3
	v_cmp_ne_u16_sdwa vcc, v26, s97 src0_sel:BYTE_0 src1_sel:DWORD
	v_bfrev_b32_e32 v0, 1
	s_and_saveexec_b64 s[28:29], vcc
	s_cbranch_execz .LBB4_6314
; %bb.6309:                             ;   in Loop: Header=BB4_6192 Depth=3
	v_and_b32_e32 v0, 0x7c0000, v20
	v_bfe_u32 v3, v20, 16, 2
	v_cmp_ne_u32_e32 vcc, s36, v0
                                        ; implicit-def: $vgpr0
	s_and_saveexec_b64 s[68:69], vcc
	s_xor_b64 s[68:69], exec, s[68:69]
	s_cbranch_execz .LBB4_6311
; %bb.6310:                             ;   in Loop: Header=BB4_6192 Depth=3
	v_ffbh_u32_e32 v5, v3
	v_min_u32_e32 v5, 32, v5
	v_subrev_u32_e32 v7, 29, v5
	v_bfe_u32 v0, v20, 18, 5
	v_lshlrev_b64 v[36:37], v7, v[26:27]
	v_sub_u32_e32 v5, 30, v5
	v_and_b32_e32 v7, 3, v36
	v_cmp_eq_u32_e32 vcc, 0, v0
	v_cndmask_b32_e32 v0, v0, v5, vcc
	v_cndmask_b32_e32 v3, v3, v7, vcc
	v_bfrev_b32_e32 v7, 28
	v_lshlrev_b32_e32 v5, 24, v26
	v_lshl_add_u32 v0, v0, 23, v7
	v_and_or_b32 v0, v5, s96, v0
	v_lshl_or_b32 v0, v3, 21, v0
                                        ; implicit-def: $vgpr3
                                        ; implicit-def: $vgpr26
.LBB4_6311:                             ;   in Loop: Header=BB4_6192 Depth=3
	s_andn2_saveexec_b64 s[68:69], s[68:69]
; %bb.6312:                             ;   in Loop: Header=BB4_6192 Depth=3
	v_mov_b32_e32 v0, -1
	v_cmp_gt_i16_sdwa vcc, sext(v26), v0 src0_sel:BYTE_0 src1_sel:DWORD
	v_cndmask_b32_e32 v0, v6, v1, vcc
	v_cmp_eq_u32_e32 vcc, 0, v3
	v_mov_b32_e32 v3, 0x7f800001
	v_cndmask_b32_e32 v0, v3, v0, vcc
; %bb.6313:                             ;   in Loop: Header=BB4_6192 Depth=3
	s_or_b64 exec, exec, s[68:69]
.LBB4_6314:                             ;   in Loop: Header=BB4_6192 Depth=3
	s_or_b64 exec, exec, s[28:29]
.LBB4_6315:                             ;   in Loop: Header=BB4_6192 Depth=3
	s_or_b64 exec, exec, s[30:31]
	v_cmp_ne_u16_sdwa vcc, v4, v43 src0_sel:BYTE_0 src1_sel:DWORD
	s_and_saveexec_b64 s[28:29], vcc
	s_cbranch_execz .LBB4_6323
; %bb.6316:                             ;   in Loop: Header=BB4_6192 Depth=3
	v_cmp_ne_u16_sdwa vcc, v4, s97 src0_sel:BYTE_0 src1_sel:DWORD
	v_bfrev_b32_e32 v2, 1
	s_and_saveexec_b64 s[30:31], vcc
	s_cbranch_execz .LBB4_6322
; %bb.6317:                             ;   in Loop: Header=BB4_6192 Depth=3
	v_and_b32_e32 v2, 0x7c0000, v16
	v_bfe_u32 v3, v16, 16, 2
	v_cmp_ne_u32_e32 vcc, s36, v2
                                        ; implicit-def: $vgpr2
	s_and_saveexec_b64 s[68:69], vcc
	s_xor_b64 s[68:69], exec, s[68:69]
	s_cbranch_execz .LBB4_6319
; %bb.6318:                             ;   in Loop: Header=BB4_6192 Depth=3
	v_ffbh_u32_e32 v5, v3
	v_min_u32_e32 v5, 32, v5
	v_bfe_u32 v2, v16, 18, 5
	v_subrev_u32_e32 v7, 29, v5
	v_lshlrev_b64 v[26:27], v7, v[4:5]
	v_sub_u32_e32 v5, 30, v5
	v_cmp_eq_u32_e32 vcc, 0, v2
	v_cndmask_b32_e32 v2, v2, v5, vcc
	v_bfrev_b32_e32 v5, 28
	v_and_b32_e32 v7, 3, v26
	v_lshlrev_b32_e32 v4, 24, v4
	v_lshl_add_u32 v2, v2, 23, v5
	v_cndmask_b32_e32 v3, v3, v7, vcc
	v_and_or_b32 v2, v4, s96, v2
	v_lshl_or_b32 v2, v3, 21, v2
                                        ; implicit-def: $vgpr3
                                        ; implicit-def: $vgpr4
.LBB4_6319:                             ;   in Loop: Header=BB4_6192 Depth=3
	s_andn2_saveexec_b64 s[68:69], s[68:69]
; %bb.6320:                             ;   in Loop: Header=BB4_6192 Depth=3
	v_mov_b32_e32 v2, -1
	v_cmp_gt_i16_sdwa vcc, sext(v4), v2 src0_sel:BYTE_0 src1_sel:DWORD
	v_cndmask_b32_e32 v2, v6, v1, vcc
	v_cmp_eq_u32_e32 vcc, 0, v3
	v_mov_b32_e32 v3, 0x7f800001
	v_cndmask_b32_e32 v2, v3, v2, vcc
; %bb.6321:                             ;   in Loop: Header=BB4_6192 Depth=3
	s_or_b64 exec, exec, s[68:69]
.LBB4_6322:                             ;   in Loop: Header=BB4_6192 Depth=3
	s_or_b64 exec, exec, s[30:31]
.LBB4_6323:                             ;   in Loop: Header=BB4_6192 Depth=3
	s_or_b64 exec, exec, s[28:29]
	v_max_f32_e32 v2, v2, v2
	v_max_f32_e32 v0, v0, v0
	v_min_f32_e32 v2, v0, v2
.LBB4_6324:                             ;   in Loop: Header=BB4_6192 Depth=3
	v_and_b32_sdwa v0, v2, s97 dst_sel:DWORD dst_unused:UNUSED_PAD src0_sel:BYTE_3 src1_sel:DWORD
	v_and_b32_e32 v4, 0x7f800000, v2
	v_mov_b32_e32 v5, v43
	v_and_b32_e32 v42, 0x7fffff, v2
	v_or_b32_e32 v46, 0x7b, v0
	v_cmp_ne_u64_e32 vcc, s[52:53], v[4:5]
	s_and_saveexec_b64 s[28:29], vcc
	s_xor_b64 s[30:31], exec, s[28:29]
	s_cbranch_execz .LBB4_6334
; %bb.6325:                             ;   in Loop: Header=BB4_6192 Depth=3
	v_and_b32_e32 v4, 0x7fffffff, v2
	v_mov_b32_e32 v5, v43
	v_cmp_gt_u64_e32 vcc, s[54:55], v[4:5]
	s_and_saveexec_b64 s[68:69], vcc
	s_cbranch_execz .LBB4_6333
; %bb.6326:                             ;   in Loop: Header=BB4_6192 Depth=3
	v_cmp_ne_u32_e32 vcc, 0, v2
	v_mov_b32_e32 v46, 0
	s_and_saveexec_b64 s[70:71], vcc
	s_cbranch_execz .LBB4_6332
; %bb.6327:                             ;   in Loop: Header=BB4_6192 Depth=3
	v_bfe_u32 v2, v2, 23, 8
	v_sub_u32_e32 v4, 0x71, v2
	v_cmp_gt_u32_e32 vcc, s38, v2
	v_add_u32_e32 v3, 0xffffff81, v2
	v_cndmask_b32_e32 v4, 0, v4, vcc
	v_cmp_eq_u32_e32 vcc, 0, v2
	v_mov_b32_e32 v2, 0xffffff82
	v_cndmask_b32_e32 v7, v3, v2, vcc
	v_mov_b32_e32 v2, 0x70
	v_cndmask_b32_e32 v30, v4, v2, vcc
	v_add_u32_e32 v2, 21, v30
	v_or_b32_e32 v5, 0x800000, v42
	v_lshlrev_b64 v[2:3], v2, -1
	v_cndmask_b32_e32 v42, v5, v42, vcc
	v_not_b32_e32 v2, v2
	v_and_b32_e32 v4, v42, v2
	v_add_u32_e32 v2, 20, v30
	v_lshrrev_b64 v[36:37], v30, v[42:43]
	v_not_b32_e32 v3, v3
	v_lshlrev_b64 v[26:27], v2, 1
	v_lshrrev_b32_e32 v2, 23, v36
	v_and_b32_e32 v5, 0, v3
	v_add3_u32 v7, v30, v7, v2
	v_bfe_u32 v2, v36, 21, 1
	v_add_u32_e32 v2, -1, v2
	v_cmp_eq_u64_e32 vcc, v[4:5], v[26:27]
	v_cndmask_b32_e32 v2, 0, v2, vcc
	v_add_u32_e32 v2, v2, v36
	v_and_b32_e32 v2, 0x1fffff, v2
	v_add_co_u32_e32 v4, vcc, v2, v36
	v_add_u32_e32 v3, 14, v7
	v_addc_co_u32_e32 v5, vcc, 0, v37, vcc
	v_cmp_ne_u32_e32 vcc, 0, v3
                                        ; implicit-def: $vgpr2
	s_and_saveexec_b64 s[28:29], vcc
	s_xor_b64 s[28:29], exec, s[28:29]
; %bb.6328:                             ;   in Loop: Header=BB4_6192 Depth=3
	v_add_u32_e32 v2, 15, v7
	v_cmp_lt_u64_e32 vcc, s[56:57], v[4:5]
	v_cndmask_b32_e32 v2, v3, v2, vcc
	v_cndmask_b32_e64 v3, 0, 1, vcc
	v_lshrrev_b64 v[4:5], v3, v[4:5]
; %bb.6329:                             ;   in Loop: Header=BB4_6192 Depth=3
	s_andn2_saveexec_b64 s[28:29], s[28:29]
; %bb.6330:                             ;   in Loop: Header=BB4_6192 Depth=3
	v_bfe_u32 v2, v4, 23, 1
; %bb.6331:                             ;   in Loop: Header=BB4_6192 Depth=3
	s_or_b64 exec, exec, s[28:29]
	v_lshrrev_b64 v[4:5], 21, v[4:5]
	v_cmp_gt_i32_e32 vcc, 32, v2
	v_cndmask_b32_e32 v5, 0, v5, vcc
	v_cndmask_b32_e32 v4, 3, v4, vcc
	v_cmp_eq_u32_e32 vcc, 0, v2
	v_min_i32_e32 v2, 31, v2
	v_cmp_eq_u64_e64 s[28:29], 0, v[4:5]
	v_lshlrev_b32_e32 v2, 2, v2
	v_and_or_b32 v2, v4, 3, v2
	s_and_b64 s[28:29], vcc, s[28:29]
	v_cndmask_b32_e64 v2, v2, 0, s[28:29]
	v_or_b32_e32 v46, v2, v0
.LBB4_6332:                             ;   in Loop: Header=BB4_6192 Depth=3
	s_or_b64 exec, exec, s[70:71]
.LBB4_6333:                             ;   in Loop: Header=BB4_6192 Depth=3
	s_or_b64 exec, exec, s[68:69]
                                        ; implicit-def: $vgpr2
.LBB4_6334:                             ;   in Loop: Header=BB4_6192 Depth=3
	s_andn2_saveexec_b64 s[28:29], s[30:31]
; %bb.6335:                             ;   in Loop: Header=BB4_6192 Depth=3
	v_or_b32_sdwa v0, v2, s39 dst_sel:DWORD dst_unused:UNUSED_PAD src0_sel:BYTE_3 src1_sel:DWORD
	v_cmp_eq_u64_e32 vcc, 0, v[42:43]
	v_cndmask_b32_e32 v46, v0, v46, vcc
; %bb.6336:                             ;   in Loop: Header=BB4_6192 Depth=3
	s_or_b64 exec, exec, s[28:29]
	v_lshrrev_b32_e32 v26, 24, v20
	v_lshrrev_b32_e32 v4, 24, v16
	v_cmp_lt_u32_e64 s[28:29], s43, v20
	s_and_b64 vcc, exec, s[66:67]
	s_cbranch_vccz .LBB4_6354
; %bb.6337:                             ;   in Loop: Header=BB4_6192 Depth=3
	v_mov_b32_e32 v2, 0
	v_mov_b32_e32 v0, 0
	s_and_saveexec_b64 s[30:31], s[28:29]
	s_cbranch_execz .LBB4_6345
; %bb.6338:                             ;   in Loop: Header=BB4_6192 Depth=3
	v_cmp_ne_u32_e32 vcc, s97, v26
	v_bfrev_b32_e32 v0, 1
	s_and_saveexec_b64 s[68:69], vcc
	s_cbranch_execz .LBB4_6344
; %bb.6339:                             ;   in Loop: Header=BB4_6192 Depth=3
	v_and_b32_e32 v0, 0x7c000000, v20
	v_bfe_u32 v3, v20, 24, 2
	v_cmp_ne_u32_e32 vcc, s37, v0
                                        ; implicit-def: $vgpr0
	s_and_saveexec_b64 s[70:71], vcc
	s_xor_b64 s[70:71], exec, s[70:71]
	s_cbranch_execz .LBB4_6341
; %bb.6340:                             ;   in Loop: Header=BB4_6192 Depth=3
	v_ffbh_u32_e32 v5, v3
	v_bfe_u32 v0, v20, 26, 5
	v_min_u32_e32 v5, 32, v5
	v_subrev_u32_e32 v7, 29, v5
	v_sub_u32_e32 v5, 30, v5
	v_cmp_eq_u32_e32 vcc, 0, v0
	v_lshlrev_b64 v[36:37], v7, v[26:27]
	v_cndmask_b32_e32 v0, v0, v5, vcc
	v_bfrev_b32_e32 v5, 28
	v_and_b32_e32 v7, 3, v36
	v_lshl_add_u32 v0, v0, 23, v5
	v_cndmask_b32_e32 v3, v3, v7, vcc
	v_and_or_b32 v0, v20, s96, v0
	v_lshl_or_b32 v0, v3, 21, v0
                                        ; implicit-def: $vgpr3
.LBB4_6341:                             ;   in Loop: Header=BB4_6192 Depth=3
	s_andn2_saveexec_b64 s[70:71], s[70:71]
; %bb.6342:                             ;   in Loop: Header=BB4_6192 Depth=3
	v_cmp_lt_i32_e32 vcc, -1, v20
	v_cndmask_b32_e32 v0, v6, v1, vcc
	v_cmp_eq_u32_e32 vcc, 0, v3
	v_mov_b32_e32 v3, 0x7f800001
	v_cndmask_b32_e32 v0, v3, v0, vcc
; %bb.6343:                             ;   in Loop: Header=BB4_6192 Depth=3
	s_or_b64 exec, exec, s[70:71]
.LBB4_6344:                             ;   in Loop: Header=BB4_6192 Depth=3
	s_or_b64 exec, exec, s[68:69]
.LBB4_6345:                             ;   in Loop: Header=BB4_6192 Depth=3
	s_or_b64 exec, exec, s[30:31]
	v_cmp_lt_u32_e32 vcc, s43, v16
	s_and_saveexec_b64 s[30:31], vcc
	s_cbranch_execz .LBB4_6353
; %bb.6346:                             ;   in Loop: Header=BB4_6192 Depth=3
	v_cmp_ne_u32_e32 vcc, s97, v4
	v_bfrev_b32_e32 v2, 1
	s_and_saveexec_b64 s[68:69], vcc
	s_cbranch_execz .LBB4_6352
; %bb.6347:                             ;   in Loop: Header=BB4_6192 Depth=3
	v_and_b32_e32 v2, 0x7c000000, v16
	v_bfe_u32 v3, v16, 24, 2
	v_cmp_ne_u32_e32 vcc, s37, v2
                                        ; implicit-def: $vgpr2
	s_and_saveexec_b64 s[70:71], vcc
	s_xor_b64 s[70:71], exec, s[70:71]
	s_cbranch_execz .LBB4_6349
; %bb.6348:                             ;   in Loop: Header=BB4_6192 Depth=3
	v_ffbh_u32_e32 v5, v3
	v_min_u32_e32 v5, 32, v5
	v_bfe_u32 v2, v16, 26, 5
	v_subrev_u32_e32 v7, 29, v5
	v_lshlrev_b64 v[36:37], v7, v[4:5]
	v_sub_u32_e32 v5, 30, v5
	v_cmp_eq_u32_e32 vcc, 0, v2
	v_cndmask_b32_e32 v2, v2, v5, vcc
	v_bfrev_b32_e32 v5, 28
	v_and_b32_e32 v7, 3, v36
	v_lshl_add_u32 v2, v2, 23, v5
	v_cndmask_b32_e32 v3, v3, v7, vcc
	v_and_or_b32 v2, v16, s96, v2
	v_lshl_or_b32 v2, v3, 21, v2
                                        ; implicit-def: $vgpr3
.LBB4_6349:                             ;   in Loop: Header=BB4_6192 Depth=3
	s_andn2_saveexec_b64 s[70:71], s[70:71]
; %bb.6350:                             ;   in Loop: Header=BB4_6192 Depth=3
	v_cmp_lt_i32_e32 vcc, -1, v16
	v_cndmask_b32_e32 v2, v6, v1, vcc
	v_cmp_eq_u32_e32 vcc, 0, v3
	v_mov_b32_e32 v3, 0x7f800001
	v_cndmask_b32_e32 v2, v3, v2, vcc
; %bb.6351:                             ;   in Loop: Header=BB4_6192 Depth=3
	s_or_b64 exec, exec, s[70:71]
.LBB4_6352:                             ;   in Loop: Header=BB4_6192 Depth=3
	s_or_b64 exec, exec, s[68:69]
.LBB4_6353:                             ;   in Loop: Header=BB4_6192 Depth=3
	s_or_b64 exec, exec, s[30:31]
	v_max_f32_e32 v2, v2, v2
	v_max_f32_e32 v0, v0, v0
	v_max_f32_e32 v2, v0, v2
	s_branch .LBB4_6372
.LBB4_6354:                             ;   in Loop: Header=BB4_6192 Depth=3
                                        ; implicit-def: $vgpr2
	s_cbranch_execz .LBB4_6372
; %bb.6355:                             ;   in Loop: Header=BB4_6192 Depth=3
	v_mov_b32_e32 v2, 0
	v_mov_b32_e32 v0, 0
	s_and_saveexec_b64 s[30:31], s[28:29]
	s_cbranch_execz .LBB4_6363
; %bb.6356:                             ;   in Loop: Header=BB4_6192 Depth=3
	v_cmp_ne_u32_e32 vcc, s97, v26
	v_bfrev_b32_e32 v0, 1
	s_and_saveexec_b64 s[28:29], vcc
	s_cbranch_execz .LBB4_6362
; %bb.6357:                             ;   in Loop: Header=BB4_6192 Depth=3
	v_and_b32_e32 v0, 0x7c000000, v20
	v_bfe_u32 v3, v20, 24, 2
	v_cmp_ne_u32_e32 vcc, s37, v0
                                        ; implicit-def: $vgpr0
	s_and_saveexec_b64 s[68:69], vcc
	s_xor_b64 s[68:69], exec, s[68:69]
	s_cbranch_execz .LBB4_6359
; %bb.6358:                             ;   in Loop: Header=BB4_6192 Depth=3
	v_ffbh_u32_e32 v5, v3
	v_bfe_u32 v0, v20, 26, 5
	v_min_u32_e32 v5, 32, v5
	v_subrev_u32_e32 v7, 29, v5
	v_sub_u32_e32 v5, 30, v5
	v_cmp_eq_u32_e32 vcc, 0, v0
	v_lshlrev_b64 v[26:27], v7, v[26:27]
	v_cndmask_b32_e32 v0, v0, v5, vcc
	v_bfrev_b32_e32 v5, 28
	v_and_b32_e32 v7, 3, v26
	v_lshl_add_u32 v0, v0, 23, v5
	v_cndmask_b32_e32 v3, v3, v7, vcc
	v_and_or_b32 v0, v20, s96, v0
	v_lshl_or_b32 v0, v3, 21, v0
                                        ; implicit-def: $vgpr3
.LBB4_6359:                             ;   in Loop: Header=BB4_6192 Depth=3
	s_andn2_saveexec_b64 s[68:69], s[68:69]
; %bb.6360:                             ;   in Loop: Header=BB4_6192 Depth=3
	v_cmp_lt_i32_e32 vcc, -1, v20
	v_cndmask_b32_e32 v0, v6, v1, vcc
	v_cmp_eq_u32_e32 vcc, 0, v3
	v_mov_b32_e32 v3, 0x7f800001
	v_cndmask_b32_e32 v0, v3, v0, vcc
; %bb.6361:                             ;   in Loop: Header=BB4_6192 Depth=3
	s_or_b64 exec, exec, s[68:69]
.LBB4_6362:                             ;   in Loop: Header=BB4_6192 Depth=3
	s_or_b64 exec, exec, s[28:29]
.LBB4_6363:                             ;   in Loop: Header=BB4_6192 Depth=3
	s_or_b64 exec, exec, s[30:31]
	v_cmp_lt_u32_e32 vcc, s43, v16
	s_and_saveexec_b64 s[28:29], vcc
	s_cbranch_execz .LBB4_6371
; %bb.6364:                             ;   in Loop: Header=BB4_6192 Depth=3
	v_cmp_ne_u32_e32 vcc, s97, v4
	v_bfrev_b32_e32 v2, 1
	s_and_saveexec_b64 s[30:31], vcc
	s_cbranch_execz .LBB4_6370
; %bb.6365:                             ;   in Loop: Header=BB4_6192 Depth=3
	v_and_b32_e32 v2, 0x7c000000, v16
	v_bfe_u32 v3, v16, 24, 2
	v_cmp_ne_u32_e32 vcc, s37, v2
                                        ; implicit-def: $vgpr2
	s_and_saveexec_b64 s[68:69], vcc
	s_xor_b64 s[68:69], exec, s[68:69]
	s_cbranch_execz .LBB4_6367
; %bb.6366:                             ;   in Loop: Header=BB4_6192 Depth=3
	v_ffbh_u32_e32 v5, v3
	v_min_u32_e32 v7, 32, v5
	v_subrev_u32_e32 v5, 29, v7
	v_bfe_u32 v2, v16, 26, 5
	v_lshlrev_b64 v[4:5], v5, v[4:5]
	v_sub_u32_e32 v5, 30, v7
	v_and_b32_e32 v4, 3, v4
	v_cmp_eq_u32_e32 vcc, 0, v2
	v_cndmask_b32_e32 v2, v2, v5, vcc
	v_cndmask_b32_e32 v3, v3, v4, vcc
	v_bfrev_b32_e32 v4, 28
	v_lshl_add_u32 v2, v2, 23, v4
	v_and_or_b32 v2, v16, s96, v2
	v_lshl_or_b32 v2, v3, 21, v2
                                        ; implicit-def: $vgpr3
.LBB4_6367:                             ;   in Loop: Header=BB4_6192 Depth=3
	s_andn2_saveexec_b64 s[68:69], s[68:69]
; %bb.6368:                             ;   in Loop: Header=BB4_6192 Depth=3
	v_cmp_lt_i32_e32 vcc, -1, v16
	v_cndmask_b32_e32 v2, v6, v1, vcc
	v_cmp_eq_u32_e32 vcc, 0, v3
	v_mov_b32_e32 v3, 0x7f800001
	v_cndmask_b32_e32 v2, v3, v2, vcc
; %bb.6369:                             ;   in Loop: Header=BB4_6192 Depth=3
	s_or_b64 exec, exec, s[68:69]
.LBB4_6370:                             ;   in Loop: Header=BB4_6192 Depth=3
	s_or_b64 exec, exec, s[30:31]
.LBB4_6371:                             ;   in Loop: Header=BB4_6192 Depth=3
	s_or_b64 exec, exec, s[28:29]
	v_max_f32_e32 v2, v2, v2
	v_max_f32_e32 v0, v0, v0
	v_min_f32_e32 v2, v0, v2
.LBB4_6372:                             ;   in Loop: Header=BB4_6192 Depth=3
	v_and_b32_sdwa v0, v2, s97 dst_sel:DWORD dst_unused:UNUSED_PAD src0_sel:BYTE_3 src1_sel:DWORD
	v_and_b32_e32 v4, 0x7f800000, v2
	v_mov_b32_e32 v5, v43
	v_and_b32_e32 v42, 0x7fffff, v2
	v_or_b32_e32 v47, 0x7b, v0
	v_cmp_ne_u64_e32 vcc, s[52:53], v[4:5]
	s_and_saveexec_b64 s[28:29], vcc
	s_xor_b64 s[30:31], exec, s[28:29]
	s_cbranch_execz .LBB4_6382
; %bb.6373:                             ;   in Loop: Header=BB4_6192 Depth=3
	v_and_b32_e32 v4, 0x7fffffff, v2
	v_mov_b32_e32 v5, v43
	v_cmp_gt_u64_e32 vcc, s[54:55], v[4:5]
	s_and_saveexec_b64 s[68:69], vcc
	s_cbranch_execz .LBB4_6381
; %bb.6374:                             ;   in Loop: Header=BB4_6192 Depth=3
	v_cmp_ne_u32_e32 vcc, 0, v2
	v_mov_b32_e32 v47, 0
	s_and_saveexec_b64 s[70:71], vcc
	s_cbranch_execz .LBB4_6380
; %bb.6375:                             ;   in Loop: Header=BB4_6192 Depth=3
	v_bfe_u32 v2, v2, 23, 8
	v_sub_u32_e32 v4, 0x71, v2
	v_cmp_gt_u32_e32 vcc, s38, v2
	v_add_u32_e32 v3, 0xffffff81, v2
	v_cndmask_b32_e32 v4, 0, v4, vcc
	v_cmp_eq_u32_e32 vcc, 0, v2
	v_mov_b32_e32 v2, 0xffffff82
	v_cndmask_b32_e32 v7, v3, v2, vcc
	v_mov_b32_e32 v2, 0x70
	v_cndmask_b32_e32 v30, v4, v2, vcc
	v_add_u32_e32 v2, 21, v30
	v_or_b32_e32 v5, 0x800000, v42
	v_lshlrev_b64 v[2:3], v2, -1
	v_cndmask_b32_e32 v42, v5, v42, vcc
	v_not_b32_e32 v2, v2
	v_and_b32_e32 v4, v42, v2
	v_add_u32_e32 v2, 20, v30
	v_lshrrev_b64 v[36:37], v30, v[42:43]
	v_not_b32_e32 v3, v3
	v_lshlrev_b64 v[26:27], v2, 1
	v_lshrrev_b32_e32 v2, 23, v36
	v_and_b32_e32 v5, 0, v3
	v_add3_u32 v7, v30, v7, v2
	v_bfe_u32 v2, v36, 21, 1
	v_add_u32_e32 v2, -1, v2
	v_cmp_eq_u64_e32 vcc, v[4:5], v[26:27]
	v_cndmask_b32_e32 v2, 0, v2, vcc
	v_add_u32_e32 v2, v2, v36
	v_and_b32_e32 v2, 0x1fffff, v2
	v_add_co_u32_e32 v4, vcc, v2, v36
	v_add_u32_e32 v3, 14, v7
	v_addc_co_u32_e32 v5, vcc, 0, v37, vcc
	v_cmp_ne_u32_e32 vcc, 0, v3
                                        ; implicit-def: $vgpr2
	s_and_saveexec_b64 s[28:29], vcc
	s_xor_b64 s[28:29], exec, s[28:29]
; %bb.6376:                             ;   in Loop: Header=BB4_6192 Depth=3
	v_add_u32_e32 v2, 15, v7
	v_cmp_lt_u64_e32 vcc, s[56:57], v[4:5]
	v_cndmask_b32_e32 v2, v3, v2, vcc
	v_cndmask_b32_e64 v3, 0, 1, vcc
	v_lshrrev_b64 v[4:5], v3, v[4:5]
; %bb.6377:                             ;   in Loop: Header=BB4_6192 Depth=3
	s_andn2_saveexec_b64 s[28:29], s[28:29]
; %bb.6378:                             ;   in Loop: Header=BB4_6192 Depth=3
	v_bfe_u32 v2, v4, 23, 1
; %bb.6379:                             ;   in Loop: Header=BB4_6192 Depth=3
	s_or_b64 exec, exec, s[28:29]
	v_lshrrev_b64 v[4:5], 21, v[4:5]
	v_cmp_gt_i32_e32 vcc, 32, v2
	v_cndmask_b32_e32 v5, 0, v5, vcc
	v_cndmask_b32_e32 v4, 3, v4, vcc
	v_cmp_eq_u32_e32 vcc, 0, v2
	v_min_i32_e32 v2, 31, v2
	v_cmp_eq_u64_e64 s[28:29], 0, v[4:5]
	v_lshlrev_b32_e32 v2, 2, v2
	v_and_or_b32 v2, v4, 3, v2
	s_and_b64 s[28:29], vcc, s[28:29]
	v_cndmask_b32_e64 v2, v2, 0, s[28:29]
	v_or_b32_e32 v47, v2, v0
.LBB4_6380:                             ;   in Loop: Header=BB4_6192 Depth=3
	s_or_b64 exec, exec, s[70:71]
.LBB4_6381:                             ;   in Loop: Header=BB4_6192 Depth=3
	s_or_b64 exec, exec, s[68:69]
                                        ; implicit-def: $vgpr2
.LBB4_6382:                             ;   in Loop: Header=BB4_6192 Depth=3
	s_andn2_saveexec_b64 s[28:29], s[30:31]
; %bb.6383:                             ;   in Loop: Header=BB4_6192 Depth=3
	v_or_b32_sdwa v0, v2, s39 dst_sel:DWORD dst_unused:UNUSED_PAD src0_sel:BYTE_3 src1_sel:DWORD
	v_cmp_eq_u64_e32 vcc, 0, v[42:43]
	v_cndmask_b32_e32 v47, v0, v47, vcc
; %bb.6384:                             ;   in Loop: Header=BB4_6192 Depth=3
	s_or_b64 exec, exec, s[28:29]
	v_mov_b32_e32 v42, v21
	v_mov_b32_e32 v4, v17
	;; [unrolled: 1-line block ×3, first 2 shown]
	v_cmp_ne_u16_sdwa s[28:29], v21, v43 src0_sel:BYTE_0 src1_sel:DWORD
	s_and_b64 vcc, exec, s[66:67]
	s_cbranch_vccz .LBB4_6402
; %bb.6385:                             ;   in Loop: Header=BB4_6192 Depth=3
	v_mov_b32_e32 v2, 0
	v_mov_b32_e32 v0, 0
	s_and_saveexec_b64 s[30:31], s[28:29]
	s_cbranch_execz .LBB4_6393
; %bb.6386:                             ;   in Loop: Header=BB4_6192 Depth=3
	v_cmp_ne_u16_sdwa vcc, v21, s97 src0_sel:BYTE_0 src1_sel:DWORD
	v_bfrev_b32_e32 v0, 1
	s_and_saveexec_b64 s[68:69], vcc
	s_cbranch_execz .LBB4_6392
; %bb.6387:                             ;   in Loop: Header=BB4_6192 Depth=3
	v_and_b32_e32 v0, 0x7c, v21
	v_and_b32_e32 v3, 3, v21
	v_cmp_ne_u32_e32 vcc, s95, v0
                                        ; implicit-def: $vgpr0
	s_and_saveexec_b64 s[70:71], vcc
	s_xor_b64 s[70:71], exec, s[70:71]
	s_cbranch_execz .LBB4_6389
; %bb.6388:                             ;   in Loop: Header=BB4_6192 Depth=3
	v_ffbh_u32_e32 v7, v3
	v_min_u32_e32 v7, 32, v7
	v_subrev_u32_e32 v26, 29, v7
	v_bfe_u32 v0, v21, 2, 5
	v_lshlrev_b64 v[26:27], v26, v[42:43]
	v_sub_u32_e32 v7, 30, v7
	v_and_b32_e32 v26, 3, v26
	v_cmp_eq_u32_e32 vcc, 0, v0
	v_cndmask_b32_e32 v0, v0, v7, vcc
	v_cndmask_b32_e32 v3, v3, v26, vcc
	v_bfrev_b32_e32 v26, 28
	v_lshlrev_b32_e32 v7, 24, v21
	v_lshl_add_u32 v0, v0, 23, v26
	v_and_or_b32 v0, v7, s96, v0
	v_lshl_or_b32 v0, v3, 21, v0
                                        ; implicit-def: $vgpr3
.LBB4_6389:                             ;   in Loop: Header=BB4_6192 Depth=3
	s_andn2_saveexec_b64 s[70:71], s[70:71]
; %bb.6390:                             ;   in Loop: Header=BB4_6192 Depth=3
	v_mov_b32_e32 v0, -1
	v_cmp_gt_i16_sdwa vcc, sext(v21), v0 src0_sel:BYTE_0 src1_sel:DWORD
	v_cndmask_b32_e32 v0, v6, v1, vcc
	v_cmp_eq_u32_e32 vcc, 0, v3
	v_mov_b32_e32 v3, 0x7f800001
	v_cndmask_b32_e32 v0, v3, v0, vcc
; %bb.6391:                             ;   in Loop: Header=BB4_6192 Depth=3
	s_or_b64 exec, exec, s[70:71]
.LBB4_6392:                             ;   in Loop: Header=BB4_6192 Depth=3
	s_or_b64 exec, exec, s[68:69]
.LBB4_6393:                             ;   in Loop: Header=BB4_6192 Depth=3
	s_or_b64 exec, exec, s[30:31]
	v_cmp_ne_u16_sdwa vcc, v17, v43 src0_sel:BYTE_0 src1_sel:DWORD
	s_and_saveexec_b64 s[30:31], vcc
	s_cbranch_execz .LBB4_6401
; %bb.6394:                             ;   in Loop: Header=BB4_6192 Depth=3
	v_cmp_ne_u16_sdwa vcc, v17, s97 src0_sel:BYTE_0 src1_sel:DWORD
	v_bfrev_b32_e32 v2, 1
	s_and_saveexec_b64 s[68:69], vcc
	s_cbranch_execz .LBB4_6400
; %bb.6395:                             ;   in Loop: Header=BB4_6192 Depth=3
	v_and_b32_e32 v2, 0x7c, v17
	v_and_b32_e32 v3, 3, v17
	v_cmp_ne_u32_e32 vcc, s95, v2
                                        ; implicit-def: $vgpr2
	s_and_saveexec_b64 s[70:71], vcc
	s_xor_b64 s[70:71], exec, s[70:71]
	s_cbranch_execz .LBB4_6397
; %bb.6396:                             ;   in Loop: Header=BB4_6192 Depth=3
	v_ffbh_u32_e32 v7, v3
	v_min_u32_e32 v7, 32, v7
	v_subrev_u32_e32 v26, 29, v7
	v_bfe_u32 v2, v17, 2, 5
	v_lshlrev_b64 v[26:27], v26, v[4:5]
	v_sub_u32_e32 v7, 30, v7
	v_and_b32_e32 v26, 3, v26
	v_cmp_eq_u32_e32 vcc, 0, v2
	v_cndmask_b32_e32 v2, v2, v7, vcc
	v_cndmask_b32_e32 v3, v3, v26, vcc
	v_bfrev_b32_e32 v26, 28
	v_lshlrev_b32_e32 v7, 24, v17
	v_lshl_add_u32 v2, v2, 23, v26
	v_and_or_b32 v2, v7, s96, v2
	v_lshl_or_b32 v2, v3, 21, v2
                                        ; implicit-def: $vgpr3
.LBB4_6397:                             ;   in Loop: Header=BB4_6192 Depth=3
	s_andn2_saveexec_b64 s[70:71], s[70:71]
; %bb.6398:                             ;   in Loop: Header=BB4_6192 Depth=3
	v_mov_b32_e32 v2, -1
	v_cmp_gt_i16_sdwa vcc, sext(v17), v2 src0_sel:BYTE_0 src1_sel:DWORD
	v_cndmask_b32_e32 v2, v6, v1, vcc
	v_cmp_eq_u32_e32 vcc, 0, v3
	v_mov_b32_e32 v3, 0x7f800001
	v_cndmask_b32_e32 v2, v3, v2, vcc
; %bb.6399:                             ;   in Loop: Header=BB4_6192 Depth=3
	s_or_b64 exec, exec, s[70:71]
.LBB4_6400:                             ;   in Loop: Header=BB4_6192 Depth=3
	s_or_b64 exec, exec, s[68:69]
.LBB4_6401:                             ;   in Loop: Header=BB4_6192 Depth=3
	s_or_b64 exec, exec, s[30:31]
	v_max_f32_e32 v2, v2, v2
	v_max_f32_e32 v0, v0, v0
	;; [unrolled: 1-line block ×3, first 2 shown]
	s_branch .LBB4_6420
.LBB4_6402:                             ;   in Loop: Header=BB4_6192 Depth=3
                                        ; implicit-def: $vgpr2
	s_cbranch_execz .LBB4_6420
; %bb.6403:                             ;   in Loop: Header=BB4_6192 Depth=3
	v_mov_b32_e32 v2, 0
	v_mov_b32_e32 v0, 0
	s_and_saveexec_b64 s[30:31], s[28:29]
	s_cbranch_execz .LBB4_6411
; %bb.6404:                             ;   in Loop: Header=BB4_6192 Depth=3
	v_cmp_ne_u16_sdwa vcc, v21, s97 src0_sel:BYTE_0 src1_sel:DWORD
	v_bfrev_b32_e32 v0, 1
	s_and_saveexec_b64 s[28:29], vcc
	s_cbranch_execz .LBB4_6410
; %bb.6405:                             ;   in Loop: Header=BB4_6192 Depth=3
	v_and_b32_e32 v0, 0x7c, v21
	v_and_b32_e32 v3, 3, v21
	v_cmp_ne_u32_e32 vcc, s95, v0
                                        ; implicit-def: $vgpr0
	s_and_saveexec_b64 s[68:69], vcc
	s_xor_b64 s[68:69], exec, s[68:69]
	s_cbranch_execz .LBB4_6407
; %bb.6406:                             ;   in Loop: Header=BB4_6192 Depth=3
	v_ffbh_u32_e32 v7, v3
	v_min_u32_e32 v7, 32, v7
	v_subrev_u32_e32 v26, 29, v7
	v_bfe_u32 v0, v21, 2, 5
	v_lshlrev_b64 v[26:27], v26, v[42:43]
	v_sub_u32_e32 v7, 30, v7
	v_and_b32_e32 v26, 3, v26
	v_cmp_eq_u32_e32 vcc, 0, v0
	v_cndmask_b32_e32 v0, v0, v7, vcc
	v_cndmask_b32_e32 v3, v3, v26, vcc
	v_bfrev_b32_e32 v26, 28
	v_lshlrev_b32_e32 v7, 24, v21
	v_lshl_add_u32 v0, v0, 23, v26
	v_and_or_b32 v0, v7, s96, v0
	v_lshl_or_b32 v0, v3, 21, v0
                                        ; implicit-def: $vgpr3
.LBB4_6407:                             ;   in Loop: Header=BB4_6192 Depth=3
	s_andn2_saveexec_b64 s[68:69], s[68:69]
; %bb.6408:                             ;   in Loop: Header=BB4_6192 Depth=3
	v_mov_b32_e32 v0, -1
	v_cmp_gt_i16_sdwa vcc, sext(v21), v0 src0_sel:BYTE_0 src1_sel:DWORD
	v_cndmask_b32_e32 v0, v6, v1, vcc
	v_cmp_eq_u32_e32 vcc, 0, v3
	v_mov_b32_e32 v3, 0x7f800001
	v_cndmask_b32_e32 v0, v3, v0, vcc
; %bb.6409:                             ;   in Loop: Header=BB4_6192 Depth=3
	s_or_b64 exec, exec, s[68:69]
.LBB4_6410:                             ;   in Loop: Header=BB4_6192 Depth=3
	s_or_b64 exec, exec, s[28:29]
.LBB4_6411:                             ;   in Loop: Header=BB4_6192 Depth=3
	s_or_b64 exec, exec, s[30:31]
	v_cmp_ne_u16_sdwa vcc, v17, v43 src0_sel:BYTE_0 src1_sel:DWORD
	s_and_saveexec_b64 s[28:29], vcc
	s_cbranch_execz .LBB4_6419
; %bb.6412:                             ;   in Loop: Header=BB4_6192 Depth=3
	v_cmp_ne_u16_sdwa vcc, v17, s97 src0_sel:BYTE_0 src1_sel:DWORD
	v_bfrev_b32_e32 v2, 1
	s_and_saveexec_b64 s[30:31], vcc
	s_cbranch_execz .LBB4_6418
; %bb.6413:                             ;   in Loop: Header=BB4_6192 Depth=3
	v_and_b32_e32 v2, 0x7c, v17
	v_and_b32_e32 v3, 3, v17
	v_cmp_ne_u32_e32 vcc, s95, v2
                                        ; implicit-def: $vgpr2
	s_and_saveexec_b64 s[68:69], vcc
	s_xor_b64 s[68:69], exec, s[68:69]
	s_cbranch_execz .LBB4_6415
; %bb.6414:                             ;   in Loop: Header=BB4_6192 Depth=3
	v_ffbh_u32_e32 v7, v3
	v_min_u32_e32 v7, 32, v7
	v_subrev_u32_e32 v26, 29, v7
	v_bfe_u32 v2, v17, 2, 5
	v_lshlrev_b64 v[26:27], v26, v[4:5]
	v_sub_u32_e32 v5, 30, v7
	v_and_b32_e32 v7, 3, v26
	v_cmp_eq_u32_e32 vcc, 0, v2
	v_cndmask_b32_e32 v2, v2, v5, vcc
	v_cndmask_b32_e32 v3, v3, v7, vcc
	v_bfrev_b32_e32 v7, 28
	v_lshlrev_b32_e32 v5, 24, v17
	v_lshl_add_u32 v2, v2, 23, v7
	v_and_or_b32 v2, v5, s96, v2
	v_lshl_or_b32 v2, v3, 21, v2
                                        ; implicit-def: $vgpr3
.LBB4_6415:                             ;   in Loop: Header=BB4_6192 Depth=3
	s_andn2_saveexec_b64 s[68:69], s[68:69]
; %bb.6416:                             ;   in Loop: Header=BB4_6192 Depth=3
	v_mov_b32_e32 v2, -1
	v_cmp_gt_i16_sdwa vcc, sext(v17), v2 src0_sel:BYTE_0 src1_sel:DWORD
	v_cndmask_b32_e32 v2, v6, v1, vcc
	v_cmp_eq_u32_e32 vcc, 0, v3
	v_mov_b32_e32 v3, 0x7f800001
	v_cndmask_b32_e32 v2, v3, v2, vcc
; %bb.6417:                             ;   in Loop: Header=BB4_6192 Depth=3
	s_or_b64 exec, exec, s[68:69]
.LBB4_6418:                             ;   in Loop: Header=BB4_6192 Depth=3
	s_or_b64 exec, exec, s[30:31]
.LBB4_6419:                             ;   in Loop: Header=BB4_6192 Depth=3
	s_or_b64 exec, exec, s[28:29]
	v_max_f32_e32 v2, v2, v2
	v_max_f32_e32 v0, v0, v0
	v_min_f32_e32 v2, v0, v2
.LBB4_6420:                             ;   in Loop: Header=BB4_6192 Depth=3
	v_and_b32_sdwa v0, v2, s97 dst_sel:DWORD dst_unused:UNUSED_PAD src0_sel:BYTE_3 src1_sel:DWORD
	v_and_b32_e32 v36, 0x7f800000, v2
	v_mov_b32_e32 v37, v43
	v_and_b32_e32 v26, 0x7fffff, v2
	v_mov_b32_e32 v27, v43
	v_or_b32_e32 v56, 0x7b, v0
	v_cmp_ne_u64_e32 vcc, s[52:53], v[36:37]
	s_and_saveexec_b64 s[28:29], vcc
	s_xor_b64 s[30:31], exec, s[28:29]
	s_cbranch_execz .LBB4_6430
; %bb.6421:                             ;   in Loop: Header=BB4_6192 Depth=3
	v_and_b32_e32 v36, 0x7fffffff, v2
	v_mov_b32_e32 v37, v43
	v_cmp_gt_u64_e32 vcc, s[54:55], v[36:37]
	s_and_saveexec_b64 s[68:69], vcc
	s_cbranch_execz .LBB4_6429
; %bb.6422:                             ;   in Loop: Header=BB4_6192 Depth=3
	v_cmp_ne_u32_e32 vcc, 0, v2
	v_mov_b32_e32 v56, 0
	s_and_saveexec_b64 s[70:71], vcc
	s_cbranch_execz .LBB4_6428
; %bb.6423:                             ;   in Loop: Header=BB4_6192 Depth=3
	v_bfe_u32 v2, v2, 23, 8
	v_sub_u32_e32 v5, 0x71, v2
	v_cmp_gt_u32_e32 vcc, s38, v2
	v_add_u32_e32 v3, 0xffffff81, v2
	v_cndmask_b32_e32 v5, 0, v5, vcc
	v_cmp_eq_u32_e32 vcc, 0, v2
	v_mov_b32_e32 v2, 0xffffff82
	v_cndmask_b32_e32 v30, v3, v2, vcc
	v_mov_b32_e32 v2, 0x70
	v_cndmask_b32_e32 v5, v5, v2, vcc
	v_add_u32_e32 v2, 21, v5
	v_or_b32_e32 v7, 0x800000, v26
	v_lshlrev_b64 v[2:3], v2, -1
	v_cndmask_b32_e32 v26, v7, v26, vcc
	v_not_b32_e32 v2, v2
	v_and_b32_e32 v36, v26, v2
	v_add_u32_e32 v2, 20, v5
	v_lshrrev_b64 v[26:27], v5, v[26:27]
	v_not_b32_e32 v3, v3
	v_lshlrev_b64 v[38:39], v2, 1
	v_lshrrev_b32_e32 v2, 23, v26
	v_and_b32_e32 v37, 0, v3
	v_add3_u32 v5, v5, v30, v2
	v_bfe_u32 v2, v26, 21, 1
	v_add_u32_e32 v2, -1, v2
	v_cmp_eq_u64_e32 vcc, v[36:37], v[38:39]
	v_cndmask_b32_e32 v2, 0, v2, vcc
	v_add_u32_e32 v2, v2, v26
	v_and_b32_e32 v2, 0x1fffff, v2
	v_add_co_u32_e32 v26, vcc, v2, v26
	v_add_u32_e32 v3, 14, v5
	v_addc_co_u32_e32 v27, vcc, 0, v27, vcc
	v_cmp_ne_u32_e32 vcc, 0, v3
                                        ; implicit-def: $vgpr2
	s_and_saveexec_b64 s[28:29], vcc
	s_xor_b64 s[28:29], exec, s[28:29]
; %bb.6424:                             ;   in Loop: Header=BB4_6192 Depth=3
	v_add_u32_e32 v2, 15, v5
	v_cmp_lt_u64_e32 vcc, s[56:57], v[26:27]
	v_cndmask_b32_e32 v2, v3, v2, vcc
	v_cndmask_b32_e64 v3, 0, 1, vcc
	v_lshrrev_b64 v[26:27], v3, v[26:27]
; %bb.6425:                             ;   in Loop: Header=BB4_6192 Depth=3
	s_andn2_saveexec_b64 s[28:29], s[28:29]
; %bb.6426:                             ;   in Loop: Header=BB4_6192 Depth=3
	v_bfe_u32 v2, v26, 23, 1
; %bb.6427:                             ;   in Loop: Header=BB4_6192 Depth=3
	s_or_b64 exec, exec, s[28:29]
	v_lshrrev_b64 v[26:27], 21, v[26:27]
	v_cmp_gt_i32_e32 vcc, 32, v2
	v_cndmask_b32_e32 v27, 0, v27, vcc
	v_cndmask_b32_e32 v26, 3, v26, vcc
	v_cmp_eq_u32_e32 vcc, 0, v2
	v_min_i32_e32 v2, 31, v2
	v_cmp_eq_u64_e64 s[28:29], 0, v[26:27]
	v_lshlrev_b32_e32 v2, 2, v2
	v_and_or_b32 v2, v26, 3, v2
	s_and_b64 s[28:29], vcc, s[28:29]
	v_cndmask_b32_e64 v2, v2, 0, s[28:29]
	v_or_b32_e32 v56, v2, v0
.LBB4_6428:                             ;   in Loop: Header=BB4_6192 Depth=3
	s_or_b64 exec, exec, s[70:71]
.LBB4_6429:                             ;   in Loop: Header=BB4_6192 Depth=3
	s_or_b64 exec, exec, s[68:69]
                                        ; implicit-def: $vgpr2
                                        ; implicit-def: $vgpr26_vgpr27
.LBB4_6430:                             ;   in Loop: Header=BB4_6192 Depth=3
	s_andn2_saveexec_b64 s[28:29], s[30:31]
; %bb.6431:                             ;   in Loop: Header=BB4_6192 Depth=3
	v_or_b32_sdwa v0, v2, s39 dst_sel:DWORD dst_unused:UNUSED_PAD src0_sel:BYTE_3 src1_sel:DWORD
	v_cmp_eq_u64_e32 vcc, 0, v[26:27]
	v_cndmask_b32_e32 v56, v0, v56, vcc
; %bb.6432:                             ;   in Loop: Header=BB4_6192 Depth=3
	s_or_b64 exec, exec, s[28:29]
	v_lshrrev_b16_e32 v38, 8, v42
	v_lshrrev_b16_e32 v26, 8, v4
	v_cmp_ne_u16_e64 s[28:29], 0, v38
	s_and_b64 vcc, exec, s[66:67]
	s_cbranch_vccz .LBB4_6450
; %bb.6433:                             ;   in Loop: Header=BB4_6192 Depth=3
	v_mov_b32_e32 v2, 0
	v_mov_b32_e32 v0, 0
	s_and_saveexec_b64 s[30:31], s[28:29]
	s_cbranch_execz .LBB4_6441
; %bb.6434:                             ;   in Loop: Header=BB4_6192 Depth=3
	v_cmp_ne_u16_e32 vcc, s97, v38
	v_bfrev_b32_e32 v0, 1
	s_and_saveexec_b64 s[68:69], vcc
	s_cbranch_execz .LBB4_6440
; %bb.6435:                             ;   in Loop: Header=BB4_6192 Depth=3
	v_and_b32_e32 v0, 0x7c, v38
	v_and_b32_e32 v3, 3, v38
	v_cmp_ne_u32_e32 vcc, s95, v0
                                        ; implicit-def: $vgpr0
	s_and_saveexec_b64 s[70:71], vcc
	s_xor_b64 s[70:71], exec, s[70:71]
	s_cbranch_execz .LBB4_6437
; %bb.6436:                             ;   in Loop: Header=BB4_6192 Depth=3
	v_ffbh_u32_e32 v5, v3
	v_min_u32_e32 v5, 32, v5
	v_mov_b32_e32 v39, v43
	v_subrev_u32_e32 v7, 29, v5
	v_bfe_u32 v0, v38, 2, 5
	v_lshlrev_b64 v[36:37], v7, v[38:39]
	v_sub_u32_e32 v5, 30, v5
	v_and_b32_e32 v7, 3, v36
	v_cmp_eq_u32_e32 vcc, 0, v0
	v_cndmask_b32_e32 v0, v0, v5, vcc
	v_cndmask_b32_e32 v3, v3, v7, vcc
	v_bfrev_b32_e32 v7, 28
	v_lshlrev_b32_e32 v5, 16, v42
	v_lshl_add_u32 v0, v0, 23, v7
	v_and_or_b32 v0, v5, s96, v0
	v_lshl_or_b32 v0, v3, 21, v0
                                        ; implicit-def: $vgpr3
.LBB4_6437:                             ;   in Loop: Header=BB4_6192 Depth=3
	s_andn2_saveexec_b64 s[70:71], s[70:71]
; %bb.6438:                             ;   in Loop: Header=BB4_6192 Depth=3
	v_cmp_lt_i16_e32 vcc, -1, v42
	v_cndmask_b32_e32 v0, v6, v1, vcc
	v_cmp_eq_u32_e32 vcc, 0, v3
	v_mov_b32_e32 v3, 0x7f800001
	v_cndmask_b32_e32 v0, v3, v0, vcc
; %bb.6439:                             ;   in Loop: Header=BB4_6192 Depth=3
	s_or_b64 exec, exec, s[70:71]
.LBB4_6440:                             ;   in Loop: Header=BB4_6192 Depth=3
	s_or_b64 exec, exec, s[68:69]
.LBB4_6441:                             ;   in Loop: Header=BB4_6192 Depth=3
	s_or_b64 exec, exec, s[30:31]
	v_cmp_ne_u16_e32 vcc, 0, v26
	s_and_saveexec_b64 s[30:31], vcc
	s_cbranch_execz .LBB4_6449
; %bb.6442:                             ;   in Loop: Header=BB4_6192 Depth=3
	v_cmp_ne_u16_e32 vcc, s97, v26
	v_bfrev_b32_e32 v2, 1
	s_and_saveexec_b64 s[68:69], vcc
	s_cbranch_execz .LBB4_6448
; %bb.6443:                             ;   in Loop: Header=BB4_6192 Depth=3
	v_and_b32_e32 v2, 0x7c, v26
	v_and_b32_e32 v3, 3, v26
	v_cmp_ne_u32_e32 vcc, s95, v2
                                        ; implicit-def: $vgpr2
	s_and_saveexec_b64 s[70:71], vcc
	s_xor_b64 s[70:71], exec, s[70:71]
	s_cbranch_execz .LBB4_6445
; %bb.6444:                             ;   in Loop: Header=BB4_6192 Depth=3
	v_ffbh_u32_e32 v5, v3
	v_min_u32_e32 v5, 32, v5
	v_mov_b32_e32 v27, v43
	v_subrev_u32_e32 v7, 29, v5
	v_bfe_u32 v2, v26, 2, 5
	v_lshlrev_b64 v[36:37], v7, v[26:27]
	v_sub_u32_e32 v5, 30, v5
	v_and_b32_e32 v7, 3, v36
	v_cmp_eq_u32_e32 vcc, 0, v2
	v_cndmask_b32_e32 v2, v2, v5, vcc
	v_cndmask_b32_e32 v3, v3, v7, vcc
	v_bfrev_b32_e32 v7, 28
	v_lshlrev_b32_e32 v5, 16, v4
	v_lshl_add_u32 v2, v2, 23, v7
	v_and_or_b32 v2, v5, s96, v2
	v_lshl_or_b32 v2, v3, 21, v2
                                        ; implicit-def: $vgpr3
.LBB4_6445:                             ;   in Loop: Header=BB4_6192 Depth=3
	s_andn2_saveexec_b64 s[70:71], s[70:71]
; %bb.6446:                             ;   in Loop: Header=BB4_6192 Depth=3
	v_cmp_lt_i16_e32 vcc, -1, v4
	v_cndmask_b32_e32 v2, v6, v1, vcc
	v_cmp_eq_u32_e32 vcc, 0, v3
	v_mov_b32_e32 v3, 0x7f800001
	v_cndmask_b32_e32 v2, v3, v2, vcc
; %bb.6447:                             ;   in Loop: Header=BB4_6192 Depth=3
	s_or_b64 exec, exec, s[70:71]
.LBB4_6448:                             ;   in Loop: Header=BB4_6192 Depth=3
	s_or_b64 exec, exec, s[68:69]
.LBB4_6449:                             ;   in Loop: Header=BB4_6192 Depth=3
	s_or_b64 exec, exec, s[30:31]
	v_max_f32_e32 v2, v2, v2
	v_max_f32_e32 v0, v0, v0
	;; [unrolled: 1-line block ×3, first 2 shown]
	s_branch .LBB4_6468
.LBB4_6450:                             ;   in Loop: Header=BB4_6192 Depth=3
                                        ; implicit-def: $vgpr2
	s_cbranch_execz .LBB4_6468
; %bb.6451:                             ;   in Loop: Header=BB4_6192 Depth=3
	v_mov_b32_e32 v2, 0
	v_mov_b32_e32 v0, 0
	s_and_saveexec_b64 s[30:31], s[28:29]
	s_cbranch_execz .LBB4_6459
; %bb.6452:                             ;   in Loop: Header=BB4_6192 Depth=3
	v_cmp_ne_u16_e32 vcc, s97, v38
	v_bfrev_b32_e32 v0, 1
	s_and_saveexec_b64 s[28:29], vcc
	s_cbranch_execz .LBB4_6458
; %bb.6453:                             ;   in Loop: Header=BB4_6192 Depth=3
	v_and_b32_e32 v0, 0x7c, v38
	v_and_b32_e32 v3, 3, v38
	v_cmp_ne_u32_e32 vcc, s95, v0
                                        ; implicit-def: $vgpr0
	s_and_saveexec_b64 s[68:69], vcc
	s_xor_b64 s[68:69], exec, s[68:69]
	s_cbranch_execz .LBB4_6455
; %bb.6454:                             ;   in Loop: Header=BB4_6192 Depth=3
	v_ffbh_u32_e32 v5, v3
	v_min_u32_e32 v5, 32, v5
	v_mov_b32_e32 v39, v43
	v_subrev_u32_e32 v7, 29, v5
	v_bfe_u32 v0, v38, 2, 5
	v_lshlrev_b64 v[36:37], v7, v[38:39]
	v_sub_u32_e32 v5, 30, v5
	v_and_b32_e32 v7, 3, v36
	v_cmp_eq_u32_e32 vcc, 0, v0
	v_cndmask_b32_e32 v0, v0, v5, vcc
	v_cndmask_b32_e32 v3, v3, v7, vcc
	v_bfrev_b32_e32 v7, 28
	v_lshlrev_b32_e32 v5, 16, v42
	v_lshl_add_u32 v0, v0, 23, v7
	v_and_or_b32 v0, v5, s96, v0
	v_lshl_or_b32 v0, v3, 21, v0
                                        ; implicit-def: $vgpr3
.LBB4_6455:                             ;   in Loop: Header=BB4_6192 Depth=3
	s_andn2_saveexec_b64 s[68:69], s[68:69]
; %bb.6456:                             ;   in Loop: Header=BB4_6192 Depth=3
	v_cmp_lt_i16_e32 vcc, -1, v42
	v_cndmask_b32_e32 v0, v6, v1, vcc
	v_cmp_eq_u32_e32 vcc, 0, v3
	v_mov_b32_e32 v3, 0x7f800001
	v_cndmask_b32_e32 v0, v3, v0, vcc
; %bb.6457:                             ;   in Loop: Header=BB4_6192 Depth=3
	s_or_b64 exec, exec, s[68:69]
.LBB4_6458:                             ;   in Loop: Header=BB4_6192 Depth=3
	s_or_b64 exec, exec, s[28:29]
.LBB4_6459:                             ;   in Loop: Header=BB4_6192 Depth=3
	s_or_b64 exec, exec, s[30:31]
	v_cmp_ne_u16_e32 vcc, 0, v26
	s_and_saveexec_b64 s[28:29], vcc
	s_cbranch_execz .LBB4_6467
; %bb.6460:                             ;   in Loop: Header=BB4_6192 Depth=3
	v_cmp_ne_u16_e32 vcc, s97, v26
	v_bfrev_b32_e32 v2, 1
	s_and_saveexec_b64 s[30:31], vcc
	s_cbranch_execz .LBB4_6466
; %bb.6461:                             ;   in Loop: Header=BB4_6192 Depth=3
	v_and_b32_e32 v2, 0x7c, v26
	v_and_b32_e32 v3, 3, v26
	v_cmp_ne_u32_e32 vcc, s95, v2
                                        ; implicit-def: $vgpr2
	s_and_saveexec_b64 s[68:69], vcc
	s_xor_b64 s[68:69], exec, s[68:69]
	s_cbranch_execz .LBB4_6463
; %bb.6462:                             ;   in Loop: Header=BB4_6192 Depth=3
	v_ffbh_u32_e32 v5, v3
	v_bfe_u32 v2, v26, 2, 5
	v_min_u32_e32 v5, 32, v5
	v_mov_b32_e32 v27, v43
	v_subrev_u32_e32 v7, 29, v5
	v_sub_u32_e32 v5, 30, v5
	v_cmp_eq_u32_e32 vcc, 0, v2
	v_lshlrev_b64 v[26:27], v7, v[26:27]
	v_cndmask_b32_e32 v2, v2, v5, vcc
	v_bfrev_b32_e32 v5, 28
	v_and_b32_e32 v7, 3, v26
	v_lshlrev_b32_e32 v4, 16, v4
	v_lshl_add_u32 v2, v2, 23, v5
	v_cndmask_b32_e32 v3, v3, v7, vcc
	v_and_or_b32 v2, v4, s96, v2
	v_lshl_or_b32 v2, v3, 21, v2
                                        ; implicit-def: $vgpr3
                                        ; implicit-def: $vgpr4_vgpr5
.LBB4_6463:                             ;   in Loop: Header=BB4_6192 Depth=3
	s_andn2_saveexec_b64 s[68:69], s[68:69]
; %bb.6464:                             ;   in Loop: Header=BB4_6192 Depth=3
	v_cmp_lt_i16_e32 vcc, -1, v4
	v_cndmask_b32_e32 v2, v6, v1, vcc
	v_cmp_eq_u32_e32 vcc, 0, v3
	v_mov_b32_e32 v3, 0x7f800001
	v_cndmask_b32_e32 v2, v3, v2, vcc
; %bb.6465:                             ;   in Loop: Header=BB4_6192 Depth=3
	s_or_b64 exec, exec, s[68:69]
.LBB4_6466:                             ;   in Loop: Header=BB4_6192 Depth=3
	s_or_b64 exec, exec, s[30:31]
.LBB4_6467:                             ;   in Loop: Header=BB4_6192 Depth=3
	s_or_b64 exec, exec, s[28:29]
	v_max_f32_e32 v2, v2, v2
	v_max_f32_e32 v0, v0, v0
	v_min_f32_e32 v2, v0, v2
.LBB4_6468:                             ;   in Loop: Header=BB4_6192 Depth=3
	v_and_b32_sdwa v0, v2, s97 dst_sel:DWORD dst_unused:UNUSED_PAD src0_sel:BYTE_3 src1_sel:DWORD
	v_and_b32_e32 v4, 0x7f800000, v2
	v_mov_b32_e32 v5, v43
	v_and_b32_e32 v42, 0x7fffff, v2
	v_or_b32_e32 v27, 0x7b, v0
	v_cmp_ne_u64_e32 vcc, s[52:53], v[4:5]
	s_and_saveexec_b64 s[28:29], vcc
	s_xor_b64 s[30:31], exec, s[28:29]
	s_cbranch_execz .LBB4_6478
; %bb.6469:                             ;   in Loop: Header=BB4_6192 Depth=3
	v_and_b32_e32 v4, 0x7fffffff, v2
	v_mov_b32_e32 v5, v43
	v_cmp_gt_u64_e32 vcc, s[54:55], v[4:5]
	s_and_saveexec_b64 s[68:69], vcc
	s_cbranch_execz .LBB4_6477
; %bb.6470:                             ;   in Loop: Header=BB4_6192 Depth=3
	v_cmp_ne_u32_e32 vcc, 0, v2
	v_mov_b32_e32 v27, 0
	s_and_saveexec_b64 s[70:71], vcc
	s_cbranch_execz .LBB4_6476
; %bb.6471:                             ;   in Loop: Header=BB4_6192 Depth=3
	v_bfe_u32 v2, v2, 23, 8
	v_sub_u32_e32 v4, 0x71, v2
	v_cmp_gt_u32_e32 vcc, s38, v2
	v_add_u32_e32 v3, 0xffffff81, v2
	v_cndmask_b32_e32 v4, 0, v4, vcc
	v_cmp_eq_u32_e32 vcc, 0, v2
	v_mov_b32_e32 v2, 0xffffff82
	v_cndmask_b32_e32 v7, v3, v2, vcc
	v_mov_b32_e32 v2, 0x70
	v_cndmask_b32_e32 v30, v4, v2, vcc
	v_add_u32_e32 v2, 21, v30
	v_or_b32_e32 v5, 0x800000, v42
	v_lshlrev_b64 v[2:3], v2, -1
	v_cndmask_b32_e32 v42, v5, v42, vcc
	v_not_b32_e32 v2, v2
	v_and_b32_e32 v4, v42, v2
	v_add_u32_e32 v2, 20, v30
	v_lshrrev_b64 v[36:37], v30, v[42:43]
	v_not_b32_e32 v3, v3
	v_lshlrev_b64 v[26:27], v2, 1
	v_lshrrev_b32_e32 v2, 23, v36
	v_and_b32_e32 v5, 0, v3
	v_add3_u32 v7, v30, v7, v2
	v_bfe_u32 v2, v36, 21, 1
	v_add_u32_e32 v2, -1, v2
	v_cmp_eq_u64_e32 vcc, v[4:5], v[26:27]
	v_cndmask_b32_e32 v2, 0, v2, vcc
	v_add_u32_e32 v2, v2, v36
	v_and_b32_e32 v2, 0x1fffff, v2
	v_add_co_u32_e32 v4, vcc, v2, v36
	v_add_u32_e32 v3, 14, v7
	v_addc_co_u32_e32 v5, vcc, 0, v37, vcc
	v_cmp_ne_u32_e32 vcc, 0, v3
                                        ; implicit-def: $vgpr2
	s_and_saveexec_b64 s[28:29], vcc
	s_xor_b64 s[28:29], exec, s[28:29]
; %bb.6472:                             ;   in Loop: Header=BB4_6192 Depth=3
	v_add_u32_e32 v2, 15, v7
	v_cmp_lt_u64_e32 vcc, s[56:57], v[4:5]
	v_cndmask_b32_e32 v2, v3, v2, vcc
	v_cndmask_b32_e64 v3, 0, 1, vcc
	v_lshrrev_b64 v[4:5], v3, v[4:5]
; %bb.6473:                             ;   in Loop: Header=BB4_6192 Depth=3
	s_andn2_saveexec_b64 s[28:29], s[28:29]
; %bb.6474:                             ;   in Loop: Header=BB4_6192 Depth=3
	v_bfe_u32 v2, v4, 23, 1
; %bb.6475:                             ;   in Loop: Header=BB4_6192 Depth=3
	s_or_b64 exec, exec, s[28:29]
	v_lshrrev_b64 v[4:5], 21, v[4:5]
	v_cmp_gt_i32_e32 vcc, 32, v2
	v_cndmask_b32_e32 v5, 0, v5, vcc
	v_cndmask_b32_e32 v4, 3, v4, vcc
	v_cmp_eq_u32_e32 vcc, 0, v2
	v_min_i32_e32 v2, 31, v2
	v_cmp_eq_u64_e64 s[28:29], 0, v[4:5]
	v_lshlrev_b32_e32 v2, 2, v2
	v_and_or_b32 v2, v4, 3, v2
	s_and_b64 s[28:29], vcc, s[28:29]
	v_cndmask_b32_e64 v2, v2, 0, s[28:29]
	v_or_b32_e32 v27, v2, v0
.LBB4_6476:                             ;   in Loop: Header=BB4_6192 Depth=3
	s_or_b64 exec, exec, s[70:71]
.LBB4_6477:                             ;   in Loop: Header=BB4_6192 Depth=3
	s_or_b64 exec, exec, s[68:69]
                                        ; implicit-def: $vgpr2
.LBB4_6478:                             ;   in Loop: Header=BB4_6192 Depth=3
	s_andn2_saveexec_b64 s[28:29], s[30:31]
; %bb.6479:                             ;   in Loop: Header=BB4_6192 Depth=3
	v_or_b32_sdwa v0, v2, s39 dst_sel:DWORD dst_unused:UNUSED_PAD src0_sel:BYTE_3 src1_sel:DWORD
	v_cmp_eq_u64_e32 vcc, 0, v[42:43]
	v_cndmask_b32_e32 v27, v0, v27, vcc
; %bb.6480:                             ;   in Loop: Header=BB4_6192 Depth=3
	s_or_b64 exec, exec, s[28:29]
	v_lshrrev_b32_e32 v26, 16, v21
	v_lshrrev_b32_e32 v4, 16, v17
	v_cmp_ne_u16_sdwa s[28:29], v26, v43 src0_sel:BYTE_0 src1_sel:DWORD
	s_and_b64 vcc, exec, s[66:67]
	s_cbranch_vccz .LBB4_6498
; %bb.6481:                             ;   in Loop: Header=BB4_6192 Depth=3
	v_mov_b32_e32 v2, 0
	v_mov_b32_e32 v0, 0
	s_and_saveexec_b64 s[30:31], s[28:29]
	s_cbranch_execz .LBB4_6489
; %bb.6482:                             ;   in Loop: Header=BB4_6192 Depth=3
	v_cmp_ne_u16_sdwa vcc, v26, s97 src0_sel:BYTE_0 src1_sel:DWORD
	v_bfrev_b32_e32 v0, 1
	s_and_saveexec_b64 s[68:69], vcc
	s_cbranch_execz .LBB4_6488
; %bb.6483:                             ;   in Loop: Header=BB4_6192 Depth=3
	v_and_b32_e32 v0, 0x7c0000, v21
	v_bfe_u32 v3, v21, 16, 2
	v_cmp_ne_u32_e32 vcc, s36, v0
                                        ; implicit-def: $vgpr0
	s_and_saveexec_b64 s[70:71], vcc
	s_xor_b64 s[70:71], exec, s[70:71]
	s_cbranch_execz .LBB4_6485
; %bb.6484:                             ;   in Loop: Header=BB4_6192 Depth=3
	v_ffbh_u32_e32 v5, v3
	v_min_u32_e32 v5, 32, v5
	v_subrev_u32_e32 v7, 29, v5
	v_bfe_u32 v0, v21, 18, 5
	v_lshlrev_b64 v[36:37], v7, v[26:27]
	v_sub_u32_e32 v5, 30, v5
	v_and_b32_e32 v7, 3, v36
	v_cmp_eq_u32_e32 vcc, 0, v0
	v_cndmask_b32_e32 v0, v0, v5, vcc
	v_cndmask_b32_e32 v3, v3, v7, vcc
	v_bfrev_b32_e32 v7, 28
	v_lshlrev_b32_e32 v5, 24, v26
	v_lshl_add_u32 v0, v0, 23, v7
	v_and_or_b32 v0, v5, s96, v0
	v_lshl_or_b32 v0, v3, 21, v0
                                        ; implicit-def: $vgpr3
.LBB4_6485:                             ;   in Loop: Header=BB4_6192 Depth=3
	s_andn2_saveexec_b64 s[70:71], s[70:71]
; %bb.6486:                             ;   in Loop: Header=BB4_6192 Depth=3
	v_mov_b32_e32 v0, -1
	v_cmp_gt_i16_sdwa vcc, sext(v26), v0 src0_sel:BYTE_0 src1_sel:DWORD
	v_cndmask_b32_e32 v0, v6, v1, vcc
	v_cmp_eq_u32_e32 vcc, 0, v3
	v_mov_b32_e32 v3, 0x7f800001
	v_cndmask_b32_e32 v0, v3, v0, vcc
; %bb.6487:                             ;   in Loop: Header=BB4_6192 Depth=3
	s_or_b64 exec, exec, s[70:71]
.LBB4_6488:                             ;   in Loop: Header=BB4_6192 Depth=3
	s_or_b64 exec, exec, s[68:69]
.LBB4_6489:                             ;   in Loop: Header=BB4_6192 Depth=3
	s_or_b64 exec, exec, s[30:31]
	v_cmp_ne_u16_sdwa vcc, v4, v43 src0_sel:BYTE_0 src1_sel:DWORD
	s_and_saveexec_b64 s[30:31], vcc
	s_cbranch_execz .LBB4_6497
; %bb.6490:                             ;   in Loop: Header=BB4_6192 Depth=3
	v_cmp_ne_u16_sdwa vcc, v4, s97 src0_sel:BYTE_0 src1_sel:DWORD
	v_bfrev_b32_e32 v2, 1
	s_and_saveexec_b64 s[68:69], vcc
	s_cbranch_execz .LBB4_6496
; %bb.6491:                             ;   in Loop: Header=BB4_6192 Depth=3
	v_and_b32_e32 v2, 0x7c0000, v17
	v_bfe_u32 v3, v17, 16, 2
	v_cmp_ne_u32_e32 vcc, s36, v2
                                        ; implicit-def: $vgpr2
	s_and_saveexec_b64 s[70:71], vcc
	s_xor_b64 s[70:71], exec, s[70:71]
	s_cbranch_execz .LBB4_6493
; %bb.6492:                             ;   in Loop: Header=BB4_6192 Depth=3
	v_ffbh_u32_e32 v5, v3
	v_min_u32_e32 v5, 32, v5
	v_subrev_u32_e32 v7, 29, v5
	v_bfe_u32 v2, v17, 18, 5
	v_lshlrev_b64 v[36:37], v7, v[4:5]
	v_sub_u32_e32 v5, 30, v5
	v_and_b32_e32 v7, 3, v36
	v_cmp_eq_u32_e32 vcc, 0, v2
	v_cndmask_b32_e32 v2, v2, v5, vcc
	v_cndmask_b32_e32 v3, v3, v7, vcc
	v_bfrev_b32_e32 v7, 28
	v_lshlrev_b32_e32 v5, 24, v4
	v_lshl_add_u32 v2, v2, 23, v7
	v_and_or_b32 v2, v5, s96, v2
	v_lshl_or_b32 v2, v3, 21, v2
                                        ; implicit-def: $vgpr3
.LBB4_6493:                             ;   in Loop: Header=BB4_6192 Depth=3
	s_andn2_saveexec_b64 s[70:71], s[70:71]
; %bb.6494:                             ;   in Loop: Header=BB4_6192 Depth=3
	v_mov_b32_e32 v2, -1
	v_cmp_gt_i16_sdwa vcc, sext(v4), v2 src0_sel:BYTE_0 src1_sel:DWORD
	v_cndmask_b32_e32 v2, v6, v1, vcc
	v_cmp_eq_u32_e32 vcc, 0, v3
	v_mov_b32_e32 v3, 0x7f800001
	v_cndmask_b32_e32 v2, v3, v2, vcc
; %bb.6495:                             ;   in Loop: Header=BB4_6192 Depth=3
	s_or_b64 exec, exec, s[70:71]
.LBB4_6496:                             ;   in Loop: Header=BB4_6192 Depth=3
	s_or_b64 exec, exec, s[68:69]
.LBB4_6497:                             ;   in Loop: Header=BB4_6192 Depth=3
	s_or_b64 exec, exec, s[30:31]
	v_max_f32_e32 v2, v2, v2
	v_max_f32_e32 v0, v0, v0
	;; [unrolled: 1-line block ×3, first 2 shown]
	s_branch .LBB4_6516
.LBB4_6498:                             ;   in Loop: Header=BB4_6192 Depth=3
                                        ; implicit-def: $vgpr2
	s_cbranch_execz .LBB4_6516
; %bb.6499:                             ;   in Loop: Header=BB4_6192 Depth=3
	v_mov_b32_e32 v2, 0
	v_mov_b32_e32 v0, 0
	s_and_saveexec_b64 s[30:31], s[28:29]
	s_cbranch_execz .LBB4_6507
; %bb.6500:                             ;   in Loop: Header=BB4_6192 Depth=3
	v_cmp_ne_u16_sdwa vcc, v26, s97 src0_sel:BYTE_0 src1_sel:DWORD
	v_bfrev_b32_e32 v0, 1
	s_and_saveexec_b64 s[28:29], vcc
	s_cbranch_execz .LBB4_6506
; %bb.6501:                             ;   in Loop: Header=BB4_6192 Depth=3
	v_and_b32_e32 v0, 0x7c0000, v21
	v_bfe_u32 v3, v21, 16, 2
	v_cmp_ne_u32_e32 vcc, s36, v0
                                        ; implicit-def: $vgpr0
	s_and_saveexec_b64 s[68:69], vcc
	s_xor_b64 s[68:69], exec, s[68:69]
	s_cbranch_execz .LBB4_6503
; %bb.6502:                             ;   in Loop: Header=BB4_6192 Depth=3
	v_ffbh_u32_e32 v5, v3
	v_min_u32_e32 v5, 32, v5
	v_subrev_u32_e32 v7, 29, v5
	v_bfe_u32 v0, v21, 18, 5
	v_lshlrev_b64 v[36:37], v7, v[26:27]
	v_sub_u32_e32 v5, 30, v5
	v_and_b32_e32 v7, 3, v36
	v_cmp_eq_u32_e32 vcc, 0, v0
	v_cndmask_b32_e32 v0, v0, v5, vcc
	v_cndmask_b32_e32 v3, v3, v7, vcc
	v_bfrev_b32_e32 v7, 28
	v_lshlrev_b32_e32 v5, 24, v26
	v_lshl_add_u32 v0, v0, 23, v7
	v_and_or_b32 v0, v5, s96, v0
	v_lshl_or_b32 v0, v3, 21, v0
                                        ; implicit-def: $vgpr3
                                        ; implicit-def: $vgpr26
.LBB4_6503:                             ;   in Loop: Header=BB4_6192 Depth=3
	s_andn2_saveexec_b64 s[68:69], s[68:69]
; %bb.6504:                             ;   in Loop: Header=BB4_6192 Depth=3
	v_mov_b32_e32 v0, -1
	v_cmp_gt_i16_sdwa vcc, sext(v26), v0 src0_sel:BYTE_0 src1_sel:DWORD
	v_cndmask_b32_e32 v0, v6, v1, vcc
	v_cmp_eq_u32_e32 vcc, 0, v3
	v_mov_b32_e32 v3, 0x7f800001
	v_cndmask_b32_e32 v0, v3, v0, vcc
; %bb.6505:                             ;   in Loop: Header=BB4_6192 Depth=3
	s_or_b64 exec, exec, s[68:69]
.LBB4_6506:                             ;   in Loop: Header=BB4_6192 Depth=3
	s_or_b64 exec, exec, s[28:29]
.LBB4_6507:                             ;   in Loop: Header=BB4_6192 Depth=3
	s_or_b64 exec, exec, s[30:31]
	v_cmp_ne_u16_sdwa vcc, v4, v43 src0_sel:BYTE_0 src1_sel:DWORD
	s_and_saveexec_b64 s[28:29], vcc
	s_cbranch_execz .LBB4_6515
; %bb.6508:                             ;   in Loop: Header=BB4_6192 Depth=3
	v_cmp_ne_u16_sdwa vcc, v4, s97 src0_sel:BYTE_0 src1_sel:DWORD
	v_bfrev_b32_e32 v2, 1
	s_and_saveexec_b64 s[30:31], vcc
	s_cbranch_execz .LBB4_6514
; %bb.6509:                             ;   in Loop: Header=BB4_6192 Depth=3
	v_and_b32_e32 v2, 0x7c0000, v17
	v_bfe_u32 v3, v17, 16, 2
	v_cmp_ne_u32_e32 vcc, s36, v2
                                        ; implicit-def: $vgpr2
	s_and_saveexec_b64 s[68:69], vcc
	s_xor_b64 s[68:69], exec, s[68:69]
	s_cbranch_execz .LBB4_6511
; %bb.6510:                             ;   in Loop: Header=BB4_6192 Depth=3
	v_ffbh_u32_e32 v5, v3
	v_min_u32_e32 v5, 32, v5
	v_bfe_u32 v2, v17, 18, 5
	v_subrev_u32_e32 v7, 29, v5
	v_lshlrev_b64 v[36:37], v7, v[4:5]
	v_sub_u32_e32 v5, 30, v5
	v_cmp_eq_u32_e32 vcc, 0, v2
	v_cndmask_b32_e32 v2, v2, v5, vcc
	v_bfrev_b32_e32 v5, 28
	v_and_b32_e32 v7, 3, v36
	v_lshlrev_b32_e32 v4, 24, v4
	v_lshl_add_u32 v2, v2, 23, v5
	v_cndmask_b32_e32 v3, v3, v7, vcc
	v_and_or_b32 v2, v4, s96, v2
	v_lshl_or_b32 v2, v3, 21, v2
                                        ; implicit-def: $vgpr3
                                        ; implicit-def: $vgpr4
.LBB4_6511:                             ;   in Loop: Header=BB4_6192 Depth=3
	s_andn2_saveexec_b64 s[68:69], s[68:69]
; %bb.6512:                             ;   in Loop: Header=BB4_6192 Depth=3
	v_mov_b32_e32 v2, -1
	v_cmp_gt_i16_sdwa vcc, sext(v4), v2 src0_sel:BYTE_0 src1_sel:DWORD
	v_cndmask_b32_e32 v2, v6, v1, vcc
	v_cmp_eq_u32_e32 vcc, 0, v3
	v_mov_b32_e32 v3, 0x7f800001
	v_cndmask_b32_e32 v2, v3, v2, vcc
; %bb.6513:                             ;   in Loop: Header=BB4_6192 Depth=3
	s_or_b64 exec, exec, s[68:69]
.LBB4_6514:                             ;   in Loop: Header=BB4_6192 Depth=3
	s_or_b64 exec, exec, s[30:31]
.LBB4_6515:                             ;   in Loop: Header=BB4_6192 Depth=3
	s_or_b64 exec, exec, s[28:29]
	v_max_f32_e32 v2, v2, v2
	v_max_f32_e32 v0, v0, v0
	v_min_f32_e32 v2, v0, v2
.LBB4_6516:                             ;   in Loop: Header=BB4_6192 Depth=3
	v_and_b32_sdwa v0, v2, s97 dst_sel:DWORD dst_unused:UNUSED_PAD src0_sel:BYTE_3 src1_sel:DWORD
	v_and_b32_e32 v4, 0x7f800000, v2
	v_mov_b32_e32 v5, v43
	v_and_b32_e32 v42, 0x7fffff, v2
	v_or_b32_e32 v38, 0x7b, v0
	v_cmp_ne_u64_e32 vcc, s[52:53], v[4:5]
	s_and_saveexec_b64 s[28:29], vcc
	s_xor_b64 s[30:31], exec, s[28:29]
	s_cbranch_execz .LBB4_6526
; %bb.6517:                             ;   in Loop: Header=BB4_6192 Depth=3
	v_and_b32_e32 v4, 0x7fffffff, v2
	v_mov_b32_e32 v5, v43
	v_cmp_gt_u64_e32 vcc, s[54:55], v[4:5]
	s_and_saveexec_b64 s[68:69], vcc
	s_cbranch_execz .LBB4_6525
; %bb.6518:                             ;   in Loop: Header=BB4_6192 Depth=3
	v_cmp_ne_u32_e32 vcc, 0, v2
	v_mov_b32_e32 v38, 0
	s_and_saveexec_b64 s[70:71], vcc
	s_cbranch_execz .LBB4_6524
; %bb.6519:                             ;   in Loop: Header=BB4_6192 Depth=3
	v_bfe_u32 v2, v2, 23, 8
	v_sub_u32_e32 v4, 0x71, v2
	v_cmp_gt_u32_e32 vcc, s38, v2
	v_add_u32_e32 v3, 0xffffff81, v2
	v_cndmask_b32_e32 v4, 0, v4, vcc
	v_cmp_eq_u32_e32 vcc, 0, v2
	v_mov_b32_e32 v2, 0xffffff82
	v_cndmask_b32_e32 v7, v3, v2, vcc
	v_mov_b32_e32 v2, 0x70
	v_cndmask_b32_e32 v26, v4, v2, vcc
	v_add_u32_e32 v2, 21, v26
	v_or_b32_e32 v5, 0x800000, v42
	v_lshlrev_b64 v[2:3], v2, -1
	v_cndmask_b32_e32 v42, v5, v42, vcc
	v_not_b32_e32 v2, v2
	v_and_b32_e32 v4, v42, v2
	v_add_u32_e32 v2, 20, v26
	v_lshrrev_b64 v[38:39], v26, v[42:43]
	v_not_b32_e32 v3, v3
	v_lshlrev_b64 v[36:37], v2, 1
	v_lshrrev_b32_e32 v2, 23, v38
	v_and_b32_e32 v5, 0, v3
	v_add3_u32 v7, v26, v7, v2
	v_bfe_u32 v2, v38, 21, 1
	v_add_u32_e32 v2, -1, v2
	v_cmp_eq_u64_e32 vcc, v[4:5], v[36:37]
	v_cndmask_b32_e32 v2, 0, v2, vcc
	v_add_u32_e32 v2, v2, v38
	v_and_b32_e32 v2, 0x1fffff, v2
	v_add_co_u32_e32 v4, vcc, v2, v38
	v_add_u32_e32 v3, 14, v7
	v_addc_co_u32_e32 v5, vcc, 0, v39, vcc
	v_cmp_ne_u32_e32 vcc, 0, v3
                                        ; implicit-def: $vgpr2
	s_and_saveexec_b64 s[28:29], vcc
	s_xor_b64 s[28:29], exec, s[28:29]
; %bb.6520:                             ;   in Loop: Header=BB4_6192 Depth=3
	v_add_u32_e32 v2, 15, v7
	v_cmp_lt_u64_e32 vcc, s[56:57], v[4:5]
	v_cndmask_b32_e32 v2, v3, v2, vcc
	v_cndmask_b32_e64 v3, 0, 1, vcc
	v_lshrrev_b64 v[4:5], v3, v[4:5]
; %bb.6521:                             ;   in Loop: Header=BB4_6192 Depth=3
	s_andn2_saveexec_b64 s[28:29], s[28:29]
; %bb.6522:                             ;   in Loop: Header=BB4_6192 Depth=3
	v_bfe_u32 v2, v4, 23, 1
; %bb.6523:                             ;   in Loop: Header=BB4_6192 Depth=3
	s_or_b64 exec, exec, s[28:29]
	v_lshrrev_b64 v[4:5], 21, v[4:5]
	v_cmp_gt_i32_e32 vcc, 32, v2
	v_cndmask_b32_e32 v5, 0, v5, vcc
	v_cndmask_b32_e32 v4, 3, v4, vcc
	v_cmp_eq_u32_e32 vcc, 0, v2
	v_min_i32_e32 v2, 31, v2
	v_cmp_eq_u64_e64 s[28:29], 0, v[4:5]
	v_lshlrev_b32_e32 v2, 2, v2
	v_and_or_b32 v2, v4, 3, v2
	s_and_b64 s[28:29], vcc, s[28:29]
	v_cndmask_b32_e64 v2, v2, 0, s[28:29]
	v_or_b32_e32 v38, v2, v0
.LBB4_6524:                             ;   in Loop: Header=BB4_6192 Depth=3
	s_or_b64 exec, exec, s[70:71]
.LBB4_6525:                             ;   in Loop: Header=BB4_6192 Depth=3
	s_or_b64 exec, exec, s[68:69]
                                        ; implicit-def: $vgpr2
.LBB4_6526:                             ;   in Loop: Header=BB4_6192 Depth=3
	s_andn2_saveexec_b64 s[28:29], s[30:31]
; %bb.6527:                             ;   in Loop: Header=BB4_6192 Depth=3
	v_or_b32_sdwa v0, v2, s39 dst_sel:DWORD dst_unused:UNUSED_PAD src0_sel:BYTE_3 src1_sel:DWORD
	v_cmp_eq_u64_e32 vcc, 0, v[42:43]
	v_cndmask_b32_e32 v38, v0, v38, vcc
; %bb.6528:                             ;   in Loop: Header=BB4_6192 Depth=3
	s_or_b64 exec, exec, s[28:29]
	v_lshrrev_b32_e32 v26, 24, v21
	v_lshrrev_b32_e32 v4, 24, v17
	v_cmp_lt_u64_e64 s[28:29], s[42:43], v[20:21]
	s_and_b64 vcc, exec, s[66:67]
	s_cbranch_vccz .LBB4_6546
; %bb.6529:                             ;   in Loop: Header=BB4_6192 Depth=3
	v_mov_b32_e32 v2, 0
	v_mov_b32_e32 v0, 0
	s_and_saveexec_b64 s[30:31], s[28:29]
	s_cbranch_execz .LBB4_6537
; %bb.6530:                             ;   in Loop: Header=BB4_6192 Depth=3
	v_cmp_ne_u32_e32 vcc, s97, v26
	v_bfrev_b32_e32 v0, 1
	s_and_saveexec_b64 s[68:69], vcc
	s_cbranch_execz .LBB4_6536
; %bb.6531:                             ;   in Loop: Header=BB4_6192 Depth=3
	v_and_b32_e32 v0, 0x7c000000, v21
	v_bfe_u32 v3, v21, 24, 2
	v_cmp_ne_u32_e32 vcc, s37, v0
                                        ; implicit-def: $vgpr0
	s_and_saveexec_b64 s[70:71], vcc
	s_xor_b64 s[70:71], exec, s[70:71]
	s_cbranch_execz .LBB4_6533
; %bb.6532:                             ;   in Loop: Header=BB4_6192 Depth=3
	v_ffbh_u32_e32 v5, v3
	v_bfe_u32 v0, v21, 26, 5
	v_min_u32_e32 v5, 32, v5
	v_subrev_u32_e32 v7, 29, v5
	v_sub_u32_e32 v5, 30, v5
	v_cmp_eq_u32_e32 vcc, 0, v0
	v_lshlrev_b64 v[36:37], v7, v[26:27]
	v_cndmask_b32_e32 v0, v0, v5, vcc
	v_bfrev_b32_e32 v5, 28
	v_and_b32_e32 v7, 3, v36
	v_lshl_add_u32 v0, v0, 23, v5
	v_cndmask_b32_e32 v3, v3, v7, vcc
	v_and_or_b32 v0, v21, s96, v0
	v_lshl_or_b32 v0, v3, 21, v0
                                        ; implicit-def: $vgpr3
.LBB4_6533:                             ;   in Loop: Header=BB4_6192 Depth=3
	s_andn2_saveexec_b64 s[70:71], s[70:71]
; %bb.6534:                             ;   in Loop: Header=BB4_6192 Depth=3
	v_cmp_lt_i64_e32 vcc, -1, v[20:21]
	v_cndmask_b32_e32 v0, v6, v1, vcc
	v_cmp_eq_u32_e32 vcc, 0, v3
	v_mov_b32_e32 v3, 0x7f800001
	v_cndmask_b32_e32 v0, v3, v0, vcc
; %bb.6535:                             ;   in Loop: Header=BB4_6192 Depth=3
	s_or_b64 exec, exec, s[70:71]
.LBB4_6536:                             ;   in Loop: Header=BB4_6192 Depth=3
	s_or_b64 exec, exec, s[68:69]
.LBB4_6537:                             ;   in Loop: Header=BB4_6192 Depth=3
	s_or_b64 exec, exec, s[30:31]
	v_cmp_lt_u64_e32 vcc, s[42:43], v[16:17]
	s_and_saveexec_b64 s[30:31], vcc
	s_cbranch_execz .LBB4_6545
; %bb.6538:                             ;   in Loop: Header=BB4_6192 Depth=3
	v_cmp_ne_u32_e32 vcc, s97, v4
	v_bfrev_b32_e32 v2, 1
	s_and_saveexec_b64 s[68:69], vcc
	s_cbranch_execz .LBB4_6544
; %bb.6539:                             ;   in Loop: Header=BB4_6192 Depth=3
	v_and_b32_e32 v2, 0x7c000000, v17
	v_bfe_u32 v3, v17, 24, 2
	v_cmp_ne_u32_e32 vcc, s37, v2
                                        ; implicit-def: $vgpr2
	s_and_saveexec_b64 s[70:71], vcc
	s_xor_b64 s[70:71], exec, s[70:71]
	s_cbranch_execz .LBB4_6541
; %bb.6540:                             ;   in Loop: Header=BB4_6192 Depth=3
	v_ffbh_u32_e32 v5, v3
	v_min_u32_e32 v5, 32, v5
	v_bfe_u32 v2, v17, 26, 5
	v_subrev_u32_e32 v7, 29, v5
	v_lshlrev_b64 v[36:37], v7, v[4:5]
	v_sub_u32_e32 v5, 30, v5
	v_cmp_eq_u32_e32 vcc, 0, v2
	v_cndmask_b32_e32 v2, v2, v5, vcc
	v_bfrev_b32_e32 v5, 28
	v_and_b32_e32 v7, 3, v36
	v_lshl_add_u32 v2, v2, 23, v5
	v_cndmask_b32_e32 v3, v3, v7, vcc
	v_and_or_b32 v2, v17, s96, v2
	v_lshl_or_b32 v2, v3, 21, v2
                                        ; implicit-def: $vgpr3
.LBB4_6541:                             ;   in Loop: Header=BB4_6192 Depth=3
	s_andn2_saveexec_b64 s[70:71], s[70:71]
; %bb.6542:                             ;   in Loop: Header=BB4_6192 Depth=3
	v_cmp_lt_i64_e32 vcc, -1, v[16:17]
	v_cndmask_b32_e32 v2, v6, v1, vcc
	v_cmp_eq_u32_e32 vcc, 0, v3
	v_mov_b32_e32 v3, 0x7f800001
	v_cndmask_b32_e32 v2, v3, v2, vcc
; %bb.6543:                             ;   in Loop: Header=BB4_6192 Depth=3
	s_or_b64 exec, exec, s[70:71]
.LBB4_6544:                             ;   in Loop: Header=BB4_6192 Depth=3
	s_or_b64 exec, exec, s[68:69]
.LBB4_6545:                             ;   in Loop: Header=BB4_6192 Depth=3
	s_or_b64 exec, exec, s[30:31]
	v_max_f32_e32 v2, v2, v2
	v_max_f32_e32 v0, v0, v0
	;; [unrolled: 1-line block ×3, first 2 shown]
	s_branch .LBB4_6564
.LBB4_6546:                             ;   in Loop: Header=BB4_6192 Depth=3
                                        ; implicit-def: $vgpr2
	s_cbranch_execz .LBB4_6564
; %bb.6547:                             ;   in Loop: Header=BB4_6192 Depth=3
	v_mov_b32_e32 v2, 0
	v_mov_b32_e32 v0, 0
	s_and_saveexec_b64 s[30:31], s[28:29]
	s_cbranch_execz .LBB4_6555
; %bb.6548:                             ;   in Loop: Header=BB4_6192 Depth=3
	v_cmp_ne_u32_e32 vcc, s97, v26
	v_bfrev_b32_e32 v0, 1
	s_and_saveexec_b64 s[28:29], vcc
	s_cbranch_execz .LBB4_6554
; %bb.6549:                             ;   in Loop: Header=BB4_6192 Depth=3
	v_and_b32_e32 v0, 0x7c000000, v21
	v_bfe_u32 v3, v21, 24, 2
	v_cmp_ne_u32_e32 vcc, s37, v0
                                        ; implicit-def: $vgpr0
	s_and_saveexec_b64 s[68:69], vcc
	s_xor_b64 s[68:69], exec, s[68:69]
	s_cbranch_execz .LBB4_6551
; %bb.6550:                             ;   in Loop: Header=BB4_6192 Depth=3
	v_ffbh_u32_e32 v5, v3
	v_bfe_u32 v0, v21, 26, 5
	v_min_u32_e32 v5, 32, v5
	v_subrev_u32_e32 v7, 29, v5
	v_sub_u32_e32 v5, 30, v5
	v_cmp_eq_u32_e32 vcc, 0, v0
	v_lshlrev_b64 v[36:37], v7, v[26:27]
	v_cndmask_b32_e32 v0, v0, v5, vcc
	v_bfrev_b32_e32 v5, 28
	v_and_b32_e32 v7, 3, v36
	v_lshl_add_u32 v0, v0, 23, v5
	v_cndmask_b32_e32 v3, v3, v7, vcc
	v_and_or_b32 v0, v21, s96, v0
	v_lshl_or_b32 v0, v3, 21, v0
                                        ; implicit-def: $vgpr3
.LBB4_6551:                             ;   in Loop: Header=BB4_6192 Depth=3
	s_andn2_saveexec_b64 s[68:69], s[68:69]
; %bb.6552:                             ;   in Loop: Header=BB4_6192 Depth=3
	v_cmp_lt_i64_e32 vcc, -1, v[20:21]
	v_cndmask_b32_e32 v0, v6, v1, vcc
	v_cmp_eq_u32_e32 vcc, 0, v3
	v_mov_b32_e32 v3, 0x7f800001
	v_cndmask_b32_e32 v0, v3, v0, vcc
; %bb.6553:                             ;   in Loop: Header=BB4_6192 Depth=3
	s_or_b64 exec, exec, s[68:69]
.LBB4_6554:                             ;   in Loop: Header=BB4_6192 Depth=3
	s_or_b64 exec, exec, s[28:29]
.LBB4_6555:                             ;   in Loop: Header=BB4_6192 Depth=3
	s_or_b64 exec, exec, s[30:31]
	v_cmp_lt_u64_e32 vcc, s[42:43], v[16:17]
	s_and_saveexec_b64 s[28:29], vcc
	s_cbranch_execz .LBB4_6563
; %bb.6556:                             ;   in Loop: Header=BB4_6192 Depth=3
	v_cmp_ne_u32_e32 vcc, s97, v4
	v_bfrev_b32_e32 v2, 1
	s_and_saveexec_b64 s[30:31], vcc
	s_cbranch_execz .LBB4_6562
; %bb.6557:                             ;   in Loop: Header=BB4_6192 Depth=3
	v_and_b32_e32 v2, 0x7c000000, v17
	v_bfe_u32 v3, v17, 24, 2
	v_cmp_ne_u32_e32 vcc, s37, v2
                                        ; implicit-def: $vgpr2
	s_and_saveexec_b64 s[68:69], vcc
	s_xor_b64 s[68:69], exec, s[68:69]
	s_cbranch_execz .LBB4_6559
; %bb.6558:                             ;   in Loop: Header=BB4_6192 Depth=3
	v_ffbh_u32_e32 v5, v3
	v_min_u32_e32 v7, 32, v5
	v_subrev_u32_e32 v5, 29, v7
	v_bfe_u32 v2, v17, 26, 5
	v_lshlrev_b64 v[4:5], v5, v[4:5]
	v_sub_u32_e32 v5, 30, v7
	v_and_b32_e32 v4, 3, v4
	v_cmp_eq_u32_e32 vcc, 0, v2
	v_cndmask_b32_e32 v2, v2, v5, vcc
	v_cndmask_b32_e32 v3, v3, v4, vcc
	v_bfrev_b32_e32 v4, 28
	v_lshl_add_u32 v2, v2, 23, v4
	v_and_or_b32 v2, v17, s96, v2
	v_lshl_or_b32 v2, v3, 21, v2
                                        ; implicit-def: $vgpr3
.LBB4_6559:                             ;   in Loop: Header=BB4_6192 Depth=3
	s_andn2_saveexec_b64 s[68:69], s[68:69]
; %bb.6560:                             ;   in Loop: Header=BB4_6192 Depth=3
	v_cmp_lt_i64_e32 vcc, -1, v[16:17]
	v_cndmask_b32_e32 v2, v6, v1, vcc
	v_cmp_eq_u32_e32 vcc, 0, v3
	v_mov_b32_e32 v3, 0x7f800001
	v_cndmask_b32_e32 v2, v3, v2, vcc
; %bb.6561:                             ;   in Loop: Header=BB4_6192 Depth=3
	s_or_b64 exec, exec, s[68:69]
.LBB4_6562:                             ;   in Loop: Header=BB4_6192 Depth=3
	s_or_b64 exec, exec, s[30:31]
.LBB4_6563:                             ;   in Loop: Header=BB4_6192 Depth=3
	s_or_b64 exec, exec, s[28:29]
	v_max_f32_e32 v2, v2, v2
	v_max_f32_e32 v0, v0, v0
	v_min_f32_e32 v2, v0, v2
.LBB4_6564:                             ;   in Loop: Header=BB4_6192 Depth=3
	v_and_b32_sdwa v0, v2, s97 dst_sel:DWORD dst_unused:UNUSED_PAD src0_sel:BYTE_3 src1_sel:DWORD
	v_and_b32_e32 v4, 0x7f800000, v2
	v_mov_b32_e32 v5, v43
	v_and_b32_e32 v42, 0x7fffff, v2
	v_or_b32_e32 v26, 0x7b, v0
	v_cmp_ne_u64_e32 vcc, s[52:53], v[4:5]
	s_and_saveexec_b64 s[28:29], vcc
	s_xor_b64 s[30:31], exec, s[28:29]
	s_cbranch_execz .LBB4_6592
; %bb.6565:                             ;   in Loop: Header=BB4_6192 Depth=3
	v_and_b32_e32 v4, 0x7fffffff, v2
	v_mov_b32_e32 v5, v43
	v_cmp_gt_u64_e32 vcc, s[54:55], v[4:5]
	s_and_saveexec_b64 s[68:69], vcc
	s_cbranch_execz .LBB4_6573
; %bb.6566:                             ;   in Loop: Header=BB4_6192 Depth=3
	v_cmp_ne_u32_e32 vcc, 0, v2
	v_mov_b32_e32 v26, 0
	s_and_saveexec_b64 s[70:71], vcc
	s_cbranch_execz .LBB4_6572
; %bb.6567:                             ;   in Loop: Header=BB4_6192 Depth=3
	v_bfe_u32 v2, v2, 23, 8
	v_sub_u32_e32 v4, 0x71, v2
	v_cmp_gt_u32_e32 vcc, s38, v2
	v_add_u32_e32 v3, 0xffffff81, v2
	v_cndmask_b32_e32 v4, 0, v4, vcc
	v_cmp_eq_u32_e32 vcc, 0, v2
	v_mov_b32_e32 v2, 0xffffff82
	v_cndmask_b32_e32 v7, v3, v2, vcc
	v_mov_b32_e32 v2, 0x70
	v_cndmask_b32_e32 v26, v4, v2, vcc
	v_add_u32_e32 v2, 21, v26
	v_or_b32_e32 v5, 0x800000, v42
	v_lshlrev_b64 v[2:3], v2, -1
	v_cndmask_b32_e32 v42, v5, v42, vcc
	v_not_b32_e32 v2, v2
	v_and_b32_e32 v4, v42, v2
	v_add_u32_e32 v2, 20, v26
	v_lshrrev_b64 v[20:21], v26, v[42:43]
	v_not_b32_e32 v3, v3
	v_lshlrev_b64 v[16:17], v2, 1
	v_lshrrev_b32_e32 v2, 23, v20
	v_and_b32_e32 v5, 0, v3
	v_add3_u32 v7, v26, v7, v2
	v_bfe_u32 v2, v20, 21, 1
	v_add_u32_e32 v2, -1, v2
	v_cmp_eq_u64_e32 vcc, v[4:5], v[16:17]
	v_cndmask_b32_e32 v2, 0, v2, vcc
	v_add_u32_e32 v2, v2, v20
	v_and_b32_e32 v2, 0x1fffff, v2
	v_add_co_u32_e32 v4, vcc, v2, v20
	v_add_u32_e32 v3, 14, v7
	v_addc_co_u32_e32 v5, vcc, 0, v21, vcc
	v_cmp_ne_u32_e32 vcc, 0, v3
                                        ; implicit-def: $vgpr2
	s_and_saveexec_b64 s[28:29], vcc
	s_xor_b64 s[28:29], exec, s[28:29]
; %bb.6568:                             ;   in Loop: Header=BB4_6192 Depth=3
	v_add_u32_e32 v2, 15, v7
	v_cmp_lt_u64_e32 vcc, s[56:57], v[4:5]
	v_cndmask_b32_e32 v2, v3, v2, vcc
	v_cndmask_b32_e64 v3, 0, 1, vcc
	v_lshrrev_b64 v[4:5], v3, v[4:5]
; %bb.6569:                             ;   in Loop: Header=BB4_6192 Depth=3
	s_andn2_saveexec_b64 s[28:29], s[28:29]
; %bb.6570:                             ;   in Loop: Header=BB4_6192 Depth=3
	v_bfe_u32 v2, v4, 23, 1
; %bb.6571:                             ;   in Loop: Header=BB4_6192 Depth=3
	s_or_b64 exec, exec, s[28:29]
	v_lshrrev_b64 v[4:5], 21, v[4:5]
	v_cmp_gt_i32_e32 vcc, 32, v2
	v_cndmask_b32_e32 v5, 0, v5, vcc
	v_cndmask_b32_e32 v4, 3, v4, vcc
	v_cmp_eq_u32_e32 vcc, 0, v2
	v_min_i32_e32 v2, 31, v2
	v_lshlrev_b32_e32 v2, 2, v2
	v_cmp_eq_u64_e64 s[28:29], 0, v[4:5]
	v_and_b32_e32 v2, 0xfc, v2
	v_and_or_b32 v2, v4, 3, v2
	s_and_b64 s[28:29], vcc, s[28:29]
	v_cndmask_b32_e64 v2, v2, 0, s[28:29]
	v_or_b32_e32 v26, v2, v0
.LBB4_6572:                             ;   in Loop: Header=BB4_6192 Depth=3
	s_or_b64 exec, exec, s[70:71]
.LBB4_6573:                             ;   in Loop: Header=BB4_6192 Depth=3
	s_or_b64 exec, exec, s[68:69]
                                        ; implicit-def: $vgpr2
	s_andn2_saveexec_b64 s[28:29], s[30:31]
	s_cbranch_execnz .LBB4_6593
.LBB4_6574:                             ;   in Loop: Header=BB4_6192 Depth=3
	s_or_b64 exec, exec, s[28:29]
	v_cmp_ne_u16_sdwa s[28:29], v22, v43 src0_sel:BYTE_0 src1_sel:DWORD
	s_and_b64 vcc, exec, s[66:67]
	s_cbranch_vccz .LBB4_6594
.LBB4_6575:                             ;   in Loop: Header=BB4_6192 Depth=3
	v_mov_b32_e32 v2, 0
	v_mov_b32_e32 v0, 0
	s_and_saveexec_b64 s[30:31], s[28:29]
	s_cbranch_execz .LBB4_6583
; %bb.6576:                             ;   in Loop: Header=BB4_6192 Depth=3
	v_cmp_ne_u16_sdwa vcc, sext(v22), s94 src0_sel:BYTE_0 src1_sel:DWORD
	v_bfrev_b32_e32 v0, 1
	s_and_saveexec_b64 s[68:69], vcc
	s_cbranch_execz .LBB4_6582
; %bb.6577:                             ;   in Loop: Header=BB4_6192 Depth=3
	v_and_b32_e32 v0, 0x7c, v22
	v_and_b32_e32 v3, 3, v22
	v_cmp_ne_u32_e32 vcc, s95, v0
                                        ; implicit-def: $vgpr0
	s_and_saveexec_b64 s[70:71], vcc
	s_xor_b64 s[70:71], exec, s[70:71]
	s_cbranch_execz .LBB4_6579
; %bb.6578:                             ;   in Loop: Header=BB4_6192 Depth=3
	v_ffbh_u32_e32 v4, v3
	v_min_u32_e32 v7, 32, v4
	v_subrev_u32_e32 v4, 29, v7
	v_bfe_u32 v0, v22, 2, 5
	v_lshlrev_b64 v[4:5], v4, v[22:23]
	v_sub_u32_e32 v5, 30, v7
	v_cmp_eq_u32_e32 vcc, 0, v0
	v_and_b32_e32 v4, 3, v4
	v_cndmask_b32_e32 v0, v0, v5, vcc
	v_bfrev_b32_e32 v5, 28
	v_cndmask_b32_e32 v3, v3, v4, vcc
	v_lshlrev_b32_e32 v4, 24, v22
	v_lshl_add_u32 v0, v0, 23, v5
	v_and_or_b32 v0, v4, s96, v0
	v_lshl_or_b32 v0, v3, 21, v0
                                        ; implicit-def: $vgpr3
.LBB4_6579:                             ;   in Loop: Header=BB4_6192 Depth=3
	s_andn2_saveexec_b64 s[70:71], s[70:71]
; %bb.6580:                             ;   in Loop: Header=BB4_6192 Depth=3
	v_mov_b32_e32 v0, -1
	v_cmp_gt_i16_sdwa vcc, sext(v22), v0 src0_sel:BYTE_0 src1_sel:DWORD
	v_cndmask_b32_e32 v0, v6, v1, vcc
	v_cmp_eq_u32_e32 vcc, 0, v3
	v_mov_b32_e32 v3, 0x7f800001
	v_cndmask_b32_e32 v0, v3, v0, vcc
; %bb.6581:                             ;   in Loop: Header=BB4_6192 Depth=3
	s_or_b64 exec, exec, s[70:71]
.LBB4_6582:                             ;   in Loop: Header=BB4_6192 Depth=3
	s_or_b64 exec, exec, s[68:69]
.LBB4_6583:                             ;   in Loop: Header=BB4_6192 Depth=3
	s_or_b64 exec, exec, s[30:31]
	v_cmp_ne_u16_sdwa vcc, sext(v18), v43 src0_sel:BYTE_0 src1_sel:DWORD
	s_and_saveexec_b64 s[30:31], vcc
	s_cbranch_execz .LBB4_6591
; %bb.6584:                             ;   in Loop: Header=BB4_6192 Depth=3
	v_cmp_ne_u16_sdwa vcc, sext(v18), s94 src0_sel:BYTE_0 src1_sel:DWORD
	v_bfrev_b32_e32 v2, 1
	s_and_saveexec_b64 s[68:69], vcc
	s_cbranch_execz .LBB4_6590
; %bb.6585:                             ;   in Loop: Header=BB4_6192 Depth=3
	v_and_b32_e32 v2, 0x7c, v18
	v_and_b32_e32 v3, 3, v18
	v_cmp_ne_u32_e32 vcc, s95, v2
                                        ; implicit-def: $vgpr2
	s_and_saveexec_b64 s[70:71], vcc
	s_xor_b64 s[70:71], exec, s[70:71]
	s_cbranch_execz .LBB4_6587
; %bb.6586:                             ;   in Loop: Header=BB4_6192 Depth=3
	v_ffbh_u32_e32 v4, v3
	v_min_u32_e32 v7, 32, v4
	v_subrev_u32_e32 v4, 29, v7
	v_bfe_u32 v2, v18, 2, 5
	v_lshlrev_b64 v[4:5], v4, v[18:19]
	v_sub_u32_e32 v5, 30, v7
	v_cmp_eq_u32_e32 vcc, 0, v2
	v_and_b32_e32 v4, 3, v4
	v_cndmask_b32_e32 v2, v2, v5, vcc
	v_bfrev_b32_e32 v5, 28
	v_cndmask_b32_e32 v3, v3, v4, vcc
	v_lshlrev_b32_e32 v4, 24, v18
	v_lshl_add_u32 v2, v2, 23, v5
	v_and_or_b32 v2, v4, s96, v2
	v_lshl_or_b32 v2, v3, 21, v2
                                        ; implicit-def: $vgpr3
.LBB4_6587:                             ;   in Loop: Header=BB4_6192 Depth=3
	s_andn2_saveexec_b64 s[70:71], s[70:71]
; %bb.6588:                             ;   in Loop: Header=BB4_6192 Depth=3
	v_mov_b32_e32 v2, -1
	v_cmp_gt_i16_sdwa vcc, sext(v18), v2 src0_sel:BYTE_0 src1_sel:DWORD
	v_cndmask_b32_e32 v2, v6, v1, vcc
	v_cmp_eq_u32_e32 vcc, 0, v3
	v_mov_b32_e32 v3, 0x7f800001
	v_cndmask_b32_e32 v2, v3, v2, vcc
; %bb.6589:                             ;   in Loop: Header=BB4_6192 Depth=3
	s_or_b64 exec, exec, s[70:71]
.LBB4_6590:                             ;   in Loop: Header=BB4_6192 Depth=3
	s_or_b64 exec, exec, s[68:69]
.LBB4_6591:                             ;   in Loop: Header=BB4_6192 Depth=3
	s_or_b64 exec, exec, s[30:31]
	v_max_f32_e32 v2, v2, v2
	v_max_f32_e32 v0, v0, v0
	;; [unrolled: 1-line block ×3, first 2 shown]
	s_branch .LBB4_6612
.LBB4_6592:                             ;   in Loop: Header=BB4_6192 Depth=3
	s_andn2_saveexec_b64 s[28:29], s[30:31]
	s_cbranch_execz .LBB4_6574
.LBB4_6593:                             ;   in Loop: Header=BB4_6192 Depth=3
	v_or_b32_sdwa v0, v2, s39 dst_sel:DWORD dst_unused:UNUSED_PAD src0_sel:BYTE_3 src1_sel:DWORD
	v_cmp_eq_u64_e32 vcc, 0, v[42:43]
	v_cndmask_b32_e32 v26, v0, v26, vcc
	s_or_b64 exec, exec, s[28:29]
	v_cmp_ne_u16_sdwa s[28:29], v22, v43 src0_sel:BYTE_0 src1_sel:DWORD
	s_and_b64 vcc, exec, s[66:67]
	s_cbranch_vccnz .LBB4_6575
.LBB4_6594:                             ;   in Loop: Header=BB4_6192 Depth=3
                                        ; implicit-def: $vgpr2
	s_cbranch_execz .LBB4_6612
; %bb.6595:                             ;   in Loop: Header=BB4_6192 Depth=3
	v_mov_b32_e32 v2, 0
	v_mov_b32_e32 v0, 0
	s_and_saveexec_b64 s[30:31], s[28:29]
	s_cbranch_execz .LBB4_6603
; %bb.6596:                             ;   in Loop: Header=BB4_6192 Depth=3
	v_cmp_ne_u16_sdwa vcc, sext(v22), s94 src0_sel:BYTE_0 src1_sel:DWORD
	v_bfrev_b32_e32 v0, 1
	s_and_saveexec_b64 s[28:29], vcc
	s_cbranch_execz .LBB4_6602
; %bb.6597:                             ;   in Loop: Header=BB4_6192 Depth=3
	v_and_b32_e32 v0, 0x7c, v22
	v_and_b32_e32 v3, 3, v22
	v_cmp_ne_u32_e32 vcc, s95, v0
                                        ; implicit-def: $vgpr0
	s_and_saveexec_b64 s[68:69], vcc
	s_xor_b64 s[68:69], exec, s[68:69]
	s_cbranch_execz .LBB4_6599
; %bb.6598:                             ;   in Loop: Header=BB4_6192 Depth=3
	v_ffbh_u32_e32 v4, v3
	v_min_u32_e32 v7, 32, v4
	v_subrev_u32_e32 v4, 29, v7
	v_bfe_u32 v0, v22, 2, 5
	v_lshlrev_b64 v[4:5], v4, v[22:23]
	v_sub_u32_e32 v5, 30, v7
	v_cmp_eq_u32_e32 vcc, 0, v0
	v_and_b32_e32 v4, 3, v4
	v_cndmask_b32_e32 v0, v0, v5, vcc
	v_bfrev_b32_e32 v5, 28
	v_cndmask_b32_e32 v3, v3, v4, vcc
	v_lshlrev_b32_e32 v4, 24, v22
	v_lshl_add_u32 v0, v0, 23, v5
	v_and_or_b32 v0, v4, s96, v0
	v_lshl_or_b32 v0, v3, 21, v0
                                        ; implicit-def: $vgpr3
.LBB4_6599:                             ;   in Loop: Header=BB4_6192 Depth=3
	s_andn2_saveexec_b64 s[68:69], s[68:69]
; %bb.6600:                             ;   in Loop: Header=BB4_6192 Depth=3
	v_mov_b32_e32 v0, -1
	v_cmp_gt_i16_sdwa vcc, sext(v22), v0 src0_sel:BYTE_0 src1_sel:DWORD
	v_cndmask_b32_e32 v0, v6, v1, vcc
	v_cmp_eq_u32_e32 vcc, 0, v3
	v_mov_b32_e32 v3, 0x7f800001
	v_cndmask_b32_e32 v0, v3, v0, vcc
; %bb.6601:                             ;   in Loop: Header=BB4_6192 Depth=3
	s_or_b64 exec, exec, s[68:69]
.LBB4_6602:                             ;   in Loop: Header=BB4_6192 Depth=3
	s_or_b64 exec, exec, s[28:29]
.LBB4_6603:                             ;   in Loop: Header=BB4_6192 Depth=3
	s_or_b64 exec, exec, s[30:31]
	v_cmp_ne_u16_sdwa vcc, sext(v18), v43 src0_sel:BYTE_0 src1_sel:DWORD
	s_and_saveexec_b64 s[28:29], vcc
	s_cbranch_execz .LBB4_6611
; %bb.6604:                             ;   in Loop: Header=BB4_6192 Depth=3
	v_cmp_ne_u16_sdwa vcc, sext(v18), s94 src0_sel:BYTE_0 src1_sel:DWORD
	v_bfrev_b32_e32 v2, 1
	s_and_saveexec_b64 s[30:31], vcc
	s_cbranch_execz .LBB4_6610
; %bb.6605:                             ;   in Loop: Header=BB4_6192 Depth=3
	v_and_b32_e32 v2, 0x7c, v18
	v_and_b32_e32 v3, 3, v18
	v_cmp_ne_u32_e32 vcc, s95, v2
                                        ; implicit-def: $vgpr2
	s_and_saveexec_b64 s[68:69], vcc
	s_xor_b64 s[68:69], exec, s[68:69]
	s_cbranch_execz .LBB4_6607
; %bb.6606:                             ;   in Loop: Header=BB4_6192 Depth=3
	v_ffbh_u32_e32 v4, v3
	v_min_u32_e32 v7, 32, v4
	v_subrev_u32_e32 v4, 29, v7
	v_bfe_u32 v2, v18, 2, 5
	v_lshlrev_b64 v[4:5], v4, v[18:19]
	v_sub_u32_e32 v5, 30, v7
	v_cmp_eq_u32_e32 vcc, 0, v2
	v_and_b32_e32 v4, 3, v4
	v_cndmask_b32_e32 v2, v2, v5, vcc
	v_bfrev_b32_e32 v5, 28
	v_cndmask_b32_e32 v3, v3, v4, vcc
	v_lshlrev_b32_e32 v4, 24, v18
	v_lshl_add_u32 v2, v2, 23, v5
	v_and_or_b32 v2, v4, s96, v2
	v_lshl_or_b32 v2, v3, 21, v2
                                        ; implicit-def: $vgpr3
.LBB4_6607:                             ;   in Loop: Header=BB4_6192 Depth=3
	s_andn2_saveexec_b64 s[68:69], s[68:69]
; %bb.6608:                             ;   in Loop: Header=BB4_6192 Depth=3
	v_mov_b32_e32 v2, -1
	v_cmp_gt_i16_sdwa vcc, sext(v18), v2 src0_sel:BYTE_0 src1_sel:DWORD
	v_cndmask_b32_e32 v2, v6, v1, vcc
	v_cmp_eq_u32_e32 vcc, 0, v3
	v_mov_b32_e32 v3, 0x7f800001
	v_cndmask_b32_e32 v2, v3, v2, vcc
; %bb.6609:                             ;   in Loop: Header=BB4_6192 Depth=3
	s_or_b64 exec, exec, s[68:69]
.LBB4_6610:                             ;   in Loop: Header=BB4_6192 Depth=3
	s_or_b64 exec, exec, s[30:31]
.LBB4_6611:                             ;   in Loop: Header=BB4_6192 Depth=3
	s_or_b64 exec, exec, s[28:29]
	v_max_f32_e32 v2, v2, v2
	v_max_f32_e32 v0, v0, v0
	v_min_f32_e32 v2, v0, v2
.LBB4_6612:                             ;   in Loop: Header=BB4_6192 Depth=3
	v_and_b32_sdwa v0, v2, s97 dst_sel:DWORD dst_unused:UNUSED_PAD src0_sel:BYTE_3 src1_sel:DWORD
	v_and_b32_e32 v4, 0x7f800000, v2
	v_mov_b32_e32 v5, v43
	v_and_b32_e32 v42, 0x7fffff, v2
	v_or_b32_e32 v39, 0x7b, v0
	v_cmp_ne_u64_e32 vcc, s[52:53], v[4:5]
	s_and_saveexec_b64 s[28:29], vcc
	s_xor_b64 s[30:31], exec, s[28:29]
	s_cbranch_execz .LBB4_6622
; %bb.6613:                             ;   in Loop: Header=BB4_6192 Depth=3
	v_and_b32_e32 v4, 0x7fffffff, v2
	v_mov_b32_e32 v5, v43
	v_cmp_gt_u64_e32 vcc, s[54:55], v[4:5]
	s_and_saveexec_b64 s[68:69], vcc
	s_cbranch_execz .LBB4_6621
; %bb.6614:                             ;   in Loop: Header=BB4_6192 Depth=3
	v_cmp_ne_u32_e32 vcc, 0, v2
	v_mov_b32_e32 v39, 0
	s_and_saveexec_b64 s[70:71], vcc
	s_cbranch_execz .LBB4_6620
; %bb.6615:                             ;   in Loop: Header=BB4_6192 Depth=3
	v_bfe_u32 v2, v2, 23, 8
	v_sub_u32_e32 v4, 0x71, v2
	v_cmp_gt_u32_e32 vcc, s38, v2
	v_add_u32_e32 v3, 0xffffff81, v2
	v_cndmask_b32_e32 v4, 0, v4, vcc
	v_cmp_eq_u32_e32 vcc, 0, v2
	v_mov_b32_e32 v2, 0xffffff82
	v_cndmask_b32_e32 v7, v3, v2, vcc
	v_mov_b32_e32 v2, 0x70
	v_cndmask_b32_e32 v30, v4, v2, vcc
	v_add_u32_e32 v2, 21, v30
	v_or_b32_e32 v5, 0x800000, v42
	v_lshlrev_b64 v[2:3], v2, -1
	v_cndmask_b32_e32 v42, v5, v42, vcc
	v_not_b32_e32 v2, v2
	v_and_b32_e32 v4, v42, v2
	v_add_u32_e32 v2, 20, v30
	v_lshrrev_b64 v[20:21], v30, v[42:43]
	v_not_b32_e32 v3, v3
	v_lshlrev_b64 v[16:17], v2, 1
	v_lshrrev_b32_e32 v2, 23, v20
	v_and_b32_e32 v5, 0, v3
	v_add3_u32 v7, v30, v7, v2
	v_bfe_u32 v2, v20, 21, 1
	v_add_u32_e32 v2, -1, v2
	v_cmp_eq_u64_e32 vcc, v[4:5], v[16:17]
	v_cndmask_b32_e32 v2, 0, v2, vcc
	v_add_u32_e32 v2, v2, v20
	v_and_b32_e32 v2, 0x1fffff, v2
	v_add_co_u32_e32 v4, vcc, v2, v20
	v_add_u32_e32 v3, 14, v7
	v_addc_co_u32_e32 v5, vcc, 0, v21, vcc
	v_cmp_ne_u32_e32 vcc, 0, v3
                                        ; implicit-def: $vgpr2
	s_and_saveexec_b64 s[28:29], vcc
	s_xor_b64 s[28:29], exec, s[28:29]
; %bb.6616:                             ;   in Loop: Header=BB4_6192 Depth=3
	v_add_u32_e32 v2, 15, v7
	v_cmp_lt_u64_e32 vcc, s[56:57], v[4:5]
	v_cndmask_b32_e32 v2, v3, v2, vcc
	v_cndmask_b32_e64 v3, 0, 1, vcc
	v_lshrrev_b64 v[4:5], v3, v[4:5]
; %bb.6617:                             ;   in Loop: Header=BB4_6192 Depth=3
	s_andn2_saveexec_b64 s[28:29], s[28:29]
; %bb.6618:                             ;   in Loop: Header=BB4_6192 Depth=3
	v_bfe_u32 v2, v4, 23, 1
; %bb.6619:                             ;   in Loop: Header=BB4_6192 Depth=3
	s_or_b64 exec, exec, s[28:29]
	v_lshrrev_b64 v[4:5], 21, v[4:5]
	v_cmp_gt_i32_e32 vcc, 32, v2
	v_cndmask_b32_e32 v5, 0, v5, vcc
	v_cndmask_b32_e32 v4, 3, v4, vcc
	v_cmp_eq_u32_e32 vcc, 0, v2
	v_min_i32_e32 v2, 31, v2
	v_cmp_eq_u64_e64 s[28:29], 0, v[4:5]
	v_lshlrev_b32_e32 v2, 2, v2
	v_and_or_b32 v2, v4, 3, v2
	s_and_b64 s[28:29], vcc, s[28:29]
	v_cndmask_b32_e64 v2, v2, 0, s[28:29]
	v_or_b32_e32 v39, v2, v0
.LBB4_6620:                             ;   in Loop: Header=BB4_6192 Depth=3
	s_or_b64 exec, exec, s[70:71]
.LBB4_6621:                             ;   in Loop: Header=BB4_6192 Depth=3
	s_or_b64 exec, exec, s[68:69]
                                        ; implicit-def: $vgpr2
.LBB4_6622:                             ;   in Loop: Header=BB4_6192 Depth=3
	s_andn2_saveexec_b64 s[28:29], s[30:31]
; %bb.6623:                             ;   in Loop: Header=BB4_6192 Depth=3
	v_or_b32_sdwa v0, v2, s39 dst_sel:DWORD dst_unused:UNUSED_PAD src0_sel:BYTE_3 src1_sel:DWORD
	v_cmp_eq_u64_e32 vcc, 0, v[42:43]
	v_cndmask_b32_e32 v39, v0, v39, vcc
; %bb.6624:                             ;   in Loop: Header=BB4_6192 Depth=3
	s_or_b64 exec, exec, s[28:29]
	v_lshrrev_b16_e32 v42, 8, v22
	v_lshrrev_b16_e32 v4, 8, v18
	v_cmp_ne_u16_e64 s[28:29], 0, v42
	s_and_b64 vcc, exec, s[66:67]
	s_cbranch_vccz .LBB4_6642
; %bb.6625:                             ;   in Loop: Header=BB4_6192 Depth=3
	v_mov_b32_e32 v2, 0
	v_mov_b32_e32 v0, 0
	s_and_saveexec_b64 s[30:31], s[28:29]
	s_cbranch_execz .LBB4_6633
; %bb.6626:                             ;   in Loop: Header=BB4_6192 Depth=3
	v_cmp_ne_u16_e32 vcc, s97, v42
	v_bfrev_b32_e32 v0, 1
	s_and_saveexec_b64 s[68:69], vcc
	s_cbranch_execz .LBB4_6632
; %bb.6627:                             ;   in Loop: Header=BB4_6192 Depth=3
	v_and_b32_e32 v0, 0x7c, v42
	v_and_b32_e32 v3, 3, v42
	v_cmp_ne_u32_e32 vcc, s95, v0
                                        ; implicit-def: $vgpr0
	s_and_saveexec_b64 s[70:71], vcc
	s_xor_b64 s[70:71], exec, s[70:71]
	s_cbranch_execz .LBB4_6629
; %bb.6628:                             ;   in Loop: Header=BB4_6192 Depth=3
	v_ffbh_u32_e32 v5, v3
	v_min_u32_e32 v5, 32, v5
	v_subrev_u32_e32 v7, 29, v5
	v_bfe_u32 v0, v42, 2, 5
	v_lshlrev_b64 v[16:17], v7, v[42:43]
	v_sub_u32_e32 v5, 30, v5
	v_and_b32_e32 v7, 3, v16
	v_cmp_eq_u32_e32 vcc, 0, v0
	v_cndmask_b32_e32 v0, v0, v5, vcc
	v_cndmask_b32_e32 v3, v3, v7, vcc
	v_bfrev_b32_e32 v7, 28
	v_lshlrev_b32_e32 v5, 16, v22
	v_lshl_add_u32 v0, v0, 23, v7
	v_and_or_b32 v0, v5, s96, v0
	v_lshl_or_b32 v0, v3, 21, v0
                                        ; implicit-def: $vgpr3
.LBB4_6629:                             ;   in Loop: Header=BB4_6192 Depth=3
	s_andn2_saveexec_b64 s[70:71], s[70:71]
; %bb.6630:                             ;   in Loop: Header=BB4_6192 Depth=3
	v_cmp_lt_i16_e32 vcc, -1, v22
	v_cndmask_b32_e32 v0, v6, v1, vcc
	v_cmp_eq_u32_e32 vcc, 0, v3
	v_mov_b32_e32 v3, 0x7f800001
	v_cndmask_b32_e32 v0, v3, v0, vcc
; %bb.6631:                             ;   in Loop: Header=BB4_6192 Depth=3
	s_or_b64 exec, exec, s[70:71]
.LBB4_6632:                             ;   in Loop: Header=BB4_6192 Depth=3
	s_or_b64 exec, exec, s[68:69]
.LBB4_6633:                             ;   in Loop: Header=BB4_6192 Depth=3
	s_or_b64 exec, exec, s[30:31]
	v_cmp_ne_u16_e32 vcc, 0, v4
	s_and_saveexec_b64 s[30:31], vcc
	s_cbranch_execz .LBB4_6641
; %bb.6634:                             ;   in Loop: Header=BB4_6192 Depth=3
	v_cmp_ne_u16_e32 vcc, s97, v4
	v_bfrev_b32_e32 v2, 1
	s_and_saveexec_b64 s[68:69], vcc
	s_cbranch_execz .LBB4_6640
; %bb.6635:                             ;   in Loop: Header=BB4_6192 Depth=3
	v_and_b32_e32 v2, 0x7c, v4
	v_and_b32_e32 v3, 3, v4
	v_cmp_ne_u32_e32 vcc, s95, v2
                                        ; implicit-def: $vgpr2
	s_and_saveexec_b64 s[70:71], vcc
	s_xor_b64 s[70:71], exec, s[70:71]
	s_cbranch_execz .LBB4_6637
; %bb.6636:                             ;   in Loop: Header=BB4_6192 Depth=3
	v_ffbh_u32_e32 v7, v3
	v_min_u32_e32 v7, 32, v7
	v_mov_b32_e32 v5, v43
	v_subrev_u32_e32 v16, 29, v7
	v_bfe_u32 v2, v4, 2, 5
	v_lshlrev_b64 v[16:17], v16, v[4:5]
	v_sub_u32_e32 v5, 30, v7
	v_and_b32_e32 v7, 3, v16
	v_cmp_eq_u32_e32 vcc, 0, v2
	v_cndmask_b32_e32 v2, v2, v5, vcc
	v_cndmask_b32_e32 v3, v3, v7, vcc
	v_bfrev_b32_e32 v7, 28
	v_lshlrev_b32_e32 v5, 16, v18
	v_lshl_add_u32 v2, v2, 23, v7
	v_and_or_b32 v2, v5, s96, v2
	v_lshl_or_b32 v2, v3, 21, v2
                                        ; implicit-def: $vgpr3
.LBB4_6637:                             ;   in Loop: Header=BB4_6192 Depth=3
	s_andn2_saveexec_b64 s[70:71], s[70:71]
; %bb.6638:                             ;   in Loop: Header=BB4_6192 Depth=3
	v_cmp_lt_i16_e32 vcc, -1, v18
	v_cndmask_b32_e32 v2, v6, v1, vcc
	v_cmp_eq_u32_e32 vcc, 0, v3
	v_mov_b32_e32 v3, 0x7f800001
	v_cndmask_b32_e32 v2, v3, v2, vcc
; %bb.6639:                             ;   in Loop: Header=BB4_6192 Depth=3
	s_or_b64 exec, exec, s[70:71]
.LBB4_6640:                             ;   in Loop: Header=BB4_6192 Depth=3
	s_or_b64 exec, exec, s[68:69]
.LBB4_6641:                             ;   in Loop: Header=BB4_6192 Depth=3
	s_or_b64 exec, exec, s[30:31]
	v_max_f32_e32 v2, v2, v2
	v_max_f32_e32 v0, v0, v0
	;; [unrolled: 1-line block ×3, first 2 shown]
	s_branch .LBB4_6660
.LBB4_6642:                             ;   in Loop: Header=BB4_6192 Depth=3
                                        ; implicit-def: $vgpr2
	s_cbranch_execz .LBB4_6660
; %bb.6643:                             ;   in Loop: Header=BB4_6192 Depth=3
	v_mov_b32_e32 v2, 0
	v_mov_b32_e32 v0, 0
	s_and_saveexec_b64 s[30:31], s[28:29]
	s_cbranch_execz .LBB4_6651
; %bb.6644:                             ;   in Loop: Header=BB4_6192 Depth=3
	v_cmp_ne_u16_e32 vcc, s97, v42
	v_bfrev_b32_e32 v0, 1
	s_and_saveexec_b64 s[28:29], vcc
	s_cbranch_execz .LBB4_6650
; %bb.6645:                             ;   in Loop: Header=BB4_6192 Depth=3
	v_and_b32_e32 v0, 0x7c, v42
	v_and_b32_e32 v3, 3, v42
	v_cmp_ne_u32_e32 vcc, s95, v0
                                        ; implicit-def: $vgpr0
	s_and_saveexec_b64 s[68:69], vcc
	s_xor_b64 s[68:69], exec, s[68:69]
	s_cbranch_execz .LBB4_6647
; %bb.6646:                             ;   in Loop: Header=BB4_6192 Depth=3
	v_ffbh_u32_e32 v5, v3
	v_min_u32_e32 v5, 32, v5
	v_subrev_u32_e32 v7, 29, v5
	v_bfe_u32 v0, v42, 2, 5
	v_lshlrev_b64 v[16:17], v7, v[42:43]
	v_sub_u32_e32 v5, 30, v5
	v_and_b32_e32 v7, 3, v16
	v_cmp_eq_u32_e32 vcc, 0, v0
	v_cndmask_b32_e32 v0, v0, v5, vcc
	v_cndmask_b32_e32 v3, v3, v7, vcc
	v_bfrev_b32_e32 v7, 28
	v_lshlrev_b32_e32 v5, 16, v22
	v_lshl_add_u32 v0, v0, 23, v7
	v_and_or_b32 v0, v5, s96, v0
	v_lshl_or_b32 v0, v3, 21, v0
                                        ; implicit-def: $vgpr3
.LBB4_6647:                             ;   in Loop: Header=BB4_6192 Depth=3
	s_andn2_saveexec_b64 s[68:69], s[68:69]
; %bb.6648:                             ;   in Loop: Header=BB4_6192 Depth=3
	v_cmp_lt_i16_e32 vcc, -1, v22
	v_cndmask_b32_e32 v0, v6, v1, vcc
	v_cmp_eq_u32_e32 vcc, 0, v3
	v_mov_b32_e32 v3, 0x7f800001
	v_cndmask_b32_e32 v0, v3, v0, vcc
; %bb.6649:                             ;   in Loop: Header=BB4_6192 Depth=3
	s_or_b64 exec, exec, s[68:69]
.LBB4_6650:                             ;   in Loop: Header=BB4_6192 Depth=3
	s_or_b64 exec, exec, s[28:29]
.LBB4_6651:                             ;   in Loop: Header=BB4_6192 Depth=3
	s_or_b64 exec, exec, s[30:31]
	v_cmp_ne_u16_e32 vcc, 0, v4
	s_and_saveexec_b64 s[28:29], vcc
	s_cbranch_execz .LBB4_6659
; %bb.6652:                             ;   in Loop: Header=BB4_6192 Depth=3
	v_cmp_ne_u16_e32 vcc, s97, v4
	v_bfrev_b32_e32 v2, 1
	s_and_saveexec_b64 s[30:31], vcc
	s_cbranch_execz .LBB4_6658
; %bb.6653:                             ;   in Loop: Header=BB4_6192 Depth=3
	v_and_b32_e32 v2, 0x7c, v4
	v_and_b32_e32 v3, 3, v4
	v_cmp_ne_u32_e32 vcc, s95, v2
                                        ; implicit-def: $vgpr2
	s_and_saveexec_b64 s[68:69], vcc
	s_xor_b64 s[68:69], exec, s[68:69]
	s_cbranch_execz .LBB4_6655
; %bb.6654:                             ;   in Loop: Header=BB4_6192 Depth=3
	v_ffbh_u32_e32 v7, v3
	v_min_u32_e32 v7, 32, v7
	v_mov_b32_e32 v5, v43
	v_subrev_u32_e32 v16, 29, v7
	v_bfe_u32 v2, v4, 2, 5
	v_lshlrev_b64 v[4:5], v16, v[4:5]
	v_sub_u32_e32 v5, 30, v7
	v_cmp_eq_u32_e32 vcc, 0, v2
	v_and_b32_e32 v4, 3, v4
	v_cndmask_b32_e32 v2, v2, v5, vcc
	v_bfrev_b32_e32 v5, 28
	v_cndmask_b32_e32 v3, v3, v4, vcc
	v_lshlrev_b32_e32 v4, 16, v18
	v_lshl_add_u32 v2, v2, 23, v5
	v_and_or_b32 v2, v4, s96, v2
	v_lshl_or_b32 v2, v3, 21, v2
                                        ; implicit-def: $vgpr3
.LBB4_6655:                             ;   in Loop: Header=BB4_6192 Depth=3
	s_andn2_saveexec_b64 s[68:69], s[68:69]
; %bb.6656:                             ;   in Loop: Header=BB4_6192 Depth=3
	v_cmp_lt_i16_e32 vcc, -1, v18
	v_cndmask_b32_e32 v2, v6, v1, vcc
	v_cmp_eq_u32_e32 vcc, 0, v3
	v_mov_b32_e32 v3, 0x7f800001
	v_cndmask_b32_e32 v2, v3, v2, vcc
; %bb.6657:                             ;   in Loop: Header=BB4_6192 Depth=3
	s_or_b64 exec, exec, s[68:69]
.LBB4_6658:                             ;   in Loop: Header=BB4_6192 Depth=3
	s_or_b64 exec, exec, s[30:31]
.LBB4_6659:                             ;   in Loop: Header=BB4_6192 Depth=3
	s_or_b64 exec, exec, s[28:29]
	v_max_f32_e32 v2, v2, v2
	v_max_f32_e32 v0, v0, v0
	v_min_f32_e32 v2, v0, v2
.LBB4_6660:                             ;   in Loop: Header=BB4_6192 Depth=3
	v_and_b32_sdwa v0, v2, s97 dst_sel:DWORD dst_unused:UNUSED_PAD src0_sel:BYTE_3 src1_sel:DWORD
	v_and_b32_e32 v4, 0x7f800000, v2
	v_mov_b32_e32 v5, v43
	v_and_b32_e32 v42, 0x7fffff, v2
	v_or_b32_e32 v57, 0x7b, v0
	v_cmp_ne_u64_e32 vcc, s[52:53], v[4:5]
	s_and_saveexec_b64 s[28:29], vcc
	s_xor_b64 s[30:31], exec, s[28:29]
	s_cbranch_execz .LBB4_6670
; %bb.6661:                             ;   in Loop: Header=BB4_6192 Depth=3
	v_and_b32_e32 v4, 0x7fffffff, v2
	v_mov_b32_e32 v5, v43
	v_cmp_gt_u64_e32 vcc, s[54:55], v[4:5]
	s_and_saveexec_b64 s[68:69], vcc
	s_cbranch_execz .LBB4_6669
; %bb.6662:                             ;   in Loop: Header=BB4_6192 Depth=3
	v_cmp_ne_u32_e32 vcc, 0, v2
	v_mov_b32_e32 v57, 0
	s_and_saveexec_b64 s[70:71], vcc
	s_cbranch_execz .LBB4_6668
; %bb.6663:                             ;   in Loop: Header=BB4_6192 Depth=3
	v_bfe_u32 v2, v2, 23, 8
	v_sub_u32_e32 v4, 0x71, v2
	v_cmp_gt_u32_e32 vcc, s38, v2
	v_add_u32_e32 v3, 0xffffff81, v2
	v_cndmask_b32_e32 v4, 0, v4, vcc
	v_cmp_eq_u32_e32 vcc, 0, v2
	v_mov_b32_e32 v2, 0xffffff82
	v_cndmask_b32_e32 v7, v3, v2, vcc
	v_mov_b32_e32 v2, 0x70
	v_cndmask_b32_e32 v30, v4, v2, vcc
	v_add_u32_e32 v2, 21, v30
	v_or_b32_e32 v5, 0x800000, v42
	v_lshlrev_b64 v[2:3], v2, -1
	v_cndmask_b32_e32 v42, v5, v42, vcc
	v_not_b32_e32 v2, v2
	v_and_b32_e32 v4, v42, v2
	v_add_u32_e32 v2, 20, v30
	v_lshrrev_b64 v[20:21], v30, v[42:43]
	v_not_b32_e32 v3, v3
	v_lshlrev_b64 v[16:17], v2, 1
	v_lshrrev_b32_e32 v2, 23, v20
	v_and_b32_e32 v5, 0, v3
	v_add3_u32 v7, v30, v7, v2
	v_bfe_u32 v2, v20, 21, 1
	v_add_u32_e32 v2, -1, v2
	v_cmp_eq_u64_e32 vcc, v[4:5], v[16:17]
	v_cndmask_b32_e32 v2, 0, v2, vcc
	v_add_u32_e32 v2, v2, v20
	v_and_b32_e32 v2, 0x1fffff, v2
	v_add_co_u32_e32 v4, vcc, v2, v20
	v_add_u32_e32 v3, 14, v7
	v_addc_co_u32_e32 v5, vcc, 0, v21, vcc
	v_cmp_ne_u32_e32 vcc, 0, v3
                                        ; implicit-def: $vgpr2
	s_and_saveexec_b64 s[28:29], vcc
	s_xor_b64 s[28:29], exec, s[28:29]
; %bb.6664:                             ;   in Loop: Header=BB4_6192 Depth=3
	v_add_u32_e32 v2, 15, v7
	v_cmp_lt_u64_e32 vcc, s[56:57], v[4:5]
	v_cndmask_b32_e32 v2, v3, v2, vcc
	v_cndmask_b32_e64 v3, 0, 1, vcc
	v_lshrrev_b64 v[4:5], v3, v[4:5]
; %bb.6665:                             ;   in Loop: Header=BB4_6192 Depth=3
	s_andn2_saveexec_b64 s[28:29], s[28:29]
; %bb.6666:                             ;   in Loop: Header=BB4_6192 Depth=3
	v_bfe_u32 v2, v4, 23, 1
; %bb.6667:                             ;   in Loop: Header=BB4_6192 Depth=3
	s_or_b64 exec, exec, s[28:29]
	v_lshrrev_b64 v[4:5], 21, v[4:5]
	v_cmp_gt_i32_e32 vcc, 32, v2
	v_cndmask_b32_e32 v5, 0, v5, vcc
	v_cndmask_b32_e32 v4, 3, v4, vcc
	v_cmp_eq_u32_e32 vcc, 0, v2
	v_min_i32_e32 v2, 31, v2
	v_cmp_eq_u64_e64 s[28:29], 0, v[4:5]
	v_lshlrev_b32_e32 v2, 2, v2
	v_and_or_b32 v2, v4, 3, v2
	s_and_b64 s[28:29], vcc, s[28:29]
	v_cndmask_b32_e64 v2, v2, 0, s[28:29]
	v_or_b32_e32 v57, v2, v0
.LBB4_6668:                             ;   in Loop: Header=BB4_6192 Depth=3
	s_or_b64 exec, exec, s[70:71]
.LBB4_6669:                             ;   in Loop: Header=BB4_6192 Depth=3
	s_or_b64 exec, exec, s[68:69]
                                        ; implicit-def: $vgpr2
.LBB4_6670:                             ;   in Loop: Header=BB4_6192 Depth=3
	s_andn2_saveexec_b64 s[28:29], s[30:31]
; %bb.6671:                             ;   in Loop: Header=BB4_6192 Depth=3
	v_or_b32_sdwa v0, v2, s39 dst_sel:DWORD dst_unused:UNUSED_PAD src0_sel:BYTE_3 src1_sel:DWORD
	v_cmp_eq_u64_e32 vcc, 0, v[42:43]
	v_cndmask_b32_e32 v57, v0, v57, vcc
; %bb.6672:                             ;   in Loop: Header=BB4_6192 Depth=3
	s_or_b64 exec, exec, s[28:29]
	v_lshrrev_b32_e32 v16, 16, v22
	v_lshrrev_b32_e32 v4, 16, v18
	v_cmp_ne_u16_sdwa s[28:29], v16, v43 src0_sel:BYTE_0 src1_sel:DWORD
	s_and_b64 vcc, exec, s[66:67]
	s_cbranch_vccz .LBB4_6690
; %bb.6673:                             ;   in Loop: Header=BB4_6192 Depth=3
	v_mov_b32_e32 v2, 0
	v_mov_b32_e32 v0, 0
	s_and_saveexec_b64 s[30:31], s[28:29]
	s_cbranch_execz .LBB4_6681
; %bb.6674:                             ;   in Loop: Header=BB4_6192 Depth=3
	v_cmp_ne_u16_sdwa vcc, v16, s97 src0_sel:BYTE_0 src1_sel:DWORD
	v_bfrev_b32_e32 v0, 1
	s_and_saveexec_b64 s[68:69], vcc
	s_cbranch_execz .LBB4_6680
; %bb.6675:                             ;   in Loop: Header=BB4_6192 Depth=3
	v_and_b32_e32 v0, 0x7c0000, v22
	v_bfe_u32 v3, v22, 16, 2
	v_cmp_ne_u32_e32 vcc, s36, v0
                                        ; implicit-def: $vgpr0
	s_and_saveexec_b64 s[70:71], vcc
	s_xor_b64 s[70:71], exec, s[70:71]
	s_cbranch_execz .LBB4_6677
; %bb.6676:                             ;   in Loop: Header=BB4_6192 Depth=3
	v_ffbh_u32_e32 v5, v3
	v_min_u32_e32 v5, 32, v5
	v_subrev_u32_e32 v7, 29, v5
	v_bfe_u32 v0, v22, 18, 5
	v_lshlrev_b64 v[20:21], v7, v[16:17]
	v_sub_u32_e32 v5, 30, v5
	v_and_b32_e32 v7, 3, v20
	v_cmp_eq_u32_e32 vcc, 0, v0
	v_cndmask_b32_e32 v0, v0, v5, vcc
	v_cndmask_b32_e32 v3, v3, v7, vcc
	v_bfrev_b32_e32 v7, 28
	v_lshlrev_b32_e32 v5, 24, v16
	v_lshl_add_u32 v0, v0, 23, v7
	v_and_or_b32 v0, v5, s96, v0
	v_lshl_or_b32 v0, v3, 21, v0
                                        ; implicit-def: $vgpr3
.LBB4_6677:                             ;   in Loop: Header=BB4_6192 Depth=3
	s_andn2_saveexec_b64 s[70:71], s[70:71]
; %bb.6678:                             ;   in Loop: Header=BB4_6192 Depth=3
	v_mov_b32_e32 v0, -1
	v_cmp_gt_i16_sdwa vcc, sext(v16), v0 src0_sel:BYTE_0 src1_sel:DWORD
	v_cndmask_b32_e32 v0, v6, v1, vcc
	v_cmp_eq_u32_e32 vcc, 0, v3
	v_mov_b32_e32 v3, 0x7f800001
	v_cndmask_b32_e32 v0, v3, v0, vcc
; %bb.6679:                             ;   in Loop: Header=BB4_6192 Depth=3
	s_or_b64 exec, exec, s[70:71]
.LBB4_6680:                             ;   in Loop: Header=BB4_6192 Depth=3
	s_or_b64 exec, exec, s[68:69]
.LBB4_6681:                             ;   in Loop: Header=BB4_6192 Depth=3
	s_or_b64 exec, exec, s[30:31]
	v_cmp_ne_u16_sdwa vcc, v4, v43 src0_sel:BYTE_0 src1_sel:DWORD
	s_and_saveexec_b64 s[30:31], vcc
	s_cbranch_execz .LBB4_6689
; %bb.6682:                             ;   in Loop: Header=BB4_6192 Depth=3
	v_cmp_ne_u16_sdwa vcc, v4, s97 src0_sel:BYTE_0 src1_sel:DWORD
	v_bfrev_b32_e32 v2, 1
	s_and_saveexec_b64 s[68:69], vcc
	s_cbranch_execz .LBB4_6688
; %bb.6683:                             ;   in Loop: Header=BB4_6192 Depth=3
	v_and_b32_e32 v2, 0x7c0000, v18
	v_bfe_u32 v3, v18, 16, 2
	v_cmp_ne_u32_e32 vcc, s36, v2
                                        ; implicit-def: $vgpr2
	s_and_saveexec_b64 s[70:71], vcc
	s_xor_b64 s[70:71], exec, s[70:71]
	s_cbranch_execz .LBB4_6685
; %bb.6684:                             ;   in Loop: Header=BB4_6192 Depth=3
	v_ffbh_u32_e32 v5, v3
	v_min_u32_e32 v5, 32, v5
	v_subrev_u32_e32 v7, 29, v5
	v_bfe_u32 v2, v18, 18, 5
	v_lshlrev_b64 v[20:21], v7, v[4:5]
	v_sub_u32_e32 v5, 30, v5
	v_and_b32_e32 v7, 3, v20
	v_cmp_eq_u32_e32 vcc, 0, v2
	v_cndmask_b32_e32 v2, v2, v5, vcc
	v_cndmask_b32_e32 v3, v3, v7, vcc
	v_bfrev_b32_e32 v7, 28
	v_lshlrev_b32_e32 v5, 24, v4
	v_lshl_add_u32 v2, v2, 23, v7
	v_and_or_b32 v2, v5, s96, v2
	v_lshl_or_b32 v2, v3, 21, v2
                                        ; implicit-def: $vgpr3
.LBB4_6685:                             ;   in Loop: Header=BB4_6192 Depth=3
	s_andn2_saveexec_b64 s[70:71], s[70:71]
; %bb.6686:                             ;   in Loop: Header=BB4_6192 Depth=3
	v_mov_b32_e32 v2, -1
	v_cmp_gt_i16_sdwa vcc, sext(v4), v2 src0_sel:BYTE_0 src1_sel:DWORD
	v_cndmask_b32_e32 v2, v6, v1, vcc
	v_cmp_eq_u32_e32 vcc, 0, v3
	v_mov_b32_e32 v3, 0x7f800001
	v_cndmask_b32_e32 v2, v3, v2, vcc
; %bb.6687:                             ;   in Loop: Header=BB4_6192 Depth=3
	s_or_b64 exec, exec, s[70:71]
.LBB4_6688:                             ;   in Loop: Header=BB4_6192 Depth=3
	s_or_b64 exec, exec, s[68:69]
.LBB4_6689:                             ;   in Loop: Header=BB4_6192 Depth=3
	s_or_b64 exec, exec, s[30:31]
	v_max_f32_e32 v2, v2, v2
	v_max_f32_e32 v0, v0, v0
	;; [unrolled: 1-line block ×3, first 2 shown]
	s_branch .LBB4_6708
.LBB4_6690:                             ;   in Loop: Header=BB4_6192 Depth=3
                                        ; implicit-def: $vgpr2
	s_cbranch_execz .LBB4_6708
; %bb.6691:                             ;   in Loop: Header=BB4_6192 Depth=3
	v_mov_b32_e32 v2, 0
	v_mov_b32_e32 v0, 0
	s_and_saveexec_b64 s[30:31], s[28:29]
	s_cbranch_execz .LBB4_6699
; %bb.6692:                             ;   in Loop: Header=BB4_6192 Depth=3
	v_cmp_ne_u16_sdwa vcc, v16, s97 src0_sel:BYTE_0 src1_sel:DWORD
	v_bfrev_b32_e32 v0, 1
	s_and_saveexec_b64 s[28:29], vcc
	s_cbranch_execz .LBB4_6698
; %bb.6693:                             ;   in Loop: Header=BB4_6192 Depth=3
	v_and_b32_e32 v0, 0x7c0000, v22
	v_bfe_u32 v3, v22, 16, 2
	v_cmp_ne_u32_e32 vcc, s36, v0
                                        ; implicit-def: $vgpr0
	s_and_saveexec_b64 s[68:69], vcc
	s_xor_b64 s[68:69], exec, s[68:69]
	s_cbranch_execz .LBB4_6695
; %bb.6694:                             ;   in Loop: Header=BB4_6192 Depth=3
	v_ffbh_u32_e32 v5, v3
	v_min_u32_e32 v5, 32, v5
	v_subrev_u32_e32 v7, 29, v5
	v_bfe_u32 v0, v22, 18, 5
	v_lshlrev_b64 v[20:21], v7, v[16:17]
	v_sub_u32_e32 v5, 30, v5
	v_and_b32_e32 v7, 3, v20
	v_cmp_eq_u32_e32 vcc, 0, v0
	v_cndmask_b32_e32 v0, v0, v5, vcc
	v_cndmask_b32_e32 v3, v3, v7, vcc
	v_bfrev_b32_e32 v7, 28
	v_lshlrev_b32_e32 v5, 24, v16
	v_lshl_add_u32 v0, v0, 23, v7
	v_and_or_b32 v0, v5, s96, v0
	v_lshl_or_b32 v0, v3, 21, v0
                                        ; implicit-def: $vgpr3
                                        ; implicit-def: $vgpr16
.LBB4_6695:                             ;   in Loop: Header=BB4_6192 Depth=3
	s_andn2_saveexec_b64 s[68:69], s[68:69]
; %bb.6696:                             ;   in Loop: Header=BB4_6192 Depth=3
	v_mov_b32_e32 v0, -1
	v_cmp_gt_i16_sdwa vcc, sext(v16), v0 src0_sel:BYTE_0 src1_sel:DWORD
	v_cndmask_b32_e32 v0, v6, v1, vcc
	v_cmp_eq_u32_e32 vcc, 0, v3
	v_mov_b32_e32 v3, 0x7f800001
	v_cndmask_b32_e32 v0, v3, v0, vcc
; %bb.6697:                             ;   in Loop: Header=BB4_6192 Depth=3
	s_or_b64 exec, exec, s[68:69]
.LBB4_6698:                             ;   in Loop: Header=BB4_6192 Depth=3
	s_or_b64 exec, exec, s[28:29]
.LBB4_6699:                             ;   in Loop: Header=BB4_6192 Depth=3
	s_or_b64 exec, exec, s[30:31]
	v_cmp_ne_u16_sdwa vcc, v4, v43 src0_sel:BYTE_0 src1_sel:DWORD
	s_and_saveexec_b64 s[28:29], vcc
	s_cbranch_execz .LBB4_6707
; %bb.6700:                             ;   in Loop: Header=BB4_6192 Depth=3
	v_cmp_ne_u16_sdwa vcc, v4, s97 src0_sel:BYTE_0 src1_sel:DWORD
	v_bfrev_b32_e32 v2, 1
	s_and_saveexec_b64 s[30:31], vcc
	s_cbranch_execz .LBB4_6706
; %bb.6701:                             ;   in Loop: Header=BB4_6192 Depth=3
	v_and_b32_e32 v2, 0x7c0000, v18
	v_bfe_u32 v3, v18, 16, 2
	v_cmp_ne_u32_e32 vcc, s36, v2
                                        ; implicit-def: $vgpr2
	s_and_saveexec_b64 s[68:69], vcc
	s_xor_b64 s[68:69], exec, s[68:69]
	s_cbranch_execz .LBB4_6703
; %bb.6702:                             ;   in Loop: Header=BB4_6192 Depth=3
	v_ffbh_u32_e32 v5, v3
	v_min_u32_e32 v5, 32, v5
	v_bfe_u32 v2, v18, 18, 5
	v_subrev_u32_e32 v7, 29, v5
	v_lshlrev_b64 v[16:17], v7, v[4:5]
	v_sub_u32_e32 v5, 30, v5
	v_cmp_eq_u32_e32 vcc, 0, v2
	v_cndmask_b32_e32 v2, v2, v5, vcc
	v_bfrev_b32_e32 v5, 28
	v_and_b32_e32 v7, 3, v16
	v_lshlrev_b32_e32 v4, 24, v4
	v_lshl_add_u32 v2, v2, 23, v5
	v_cndmask_b32_e32 v3, v3, v7, vcc
	v_and_or_b32 v2, v4, s96, v2
	v_lshl_or_b32 v2, v3, 21, v2
                                        ; implicit-def: $vgpr3
                                        ; implicit-def: $vgpr4
.LBB4_6703:                             ;   in Loop: Header=BB4_6192 Depth=3
	s_andn2_saveexec_b64 s[68:69], s[68:69]
; %bb.6704:                             ;   in Loop: Header=BB4_6192 Depth=3
	v_mov_b32_e32 v2, -1
	v_cmp_gt_i16_sdwa vcc, sext(v4), v2 src0_sel:BYTE_0 src1_sel:DWORD
	v_cndmask_b32_e32 v2, v6, v1, vcc
	v_cmp_eq_u32_e32 vcc, 0, v3
	v_mov_b32_e32 v3, 0x7f800001
	v_cndmask_b32_e32 v2, v3, v2, vcc
; %bb.6705:                             ;   in Loop: Header=BB4_6192 Depth=3
	s_or_b64 exec, exec, s[68:69]
.LBB4_6706:                             ;   in Loop: Header=BB4_6192 Depth=3
	s_or_b64 exec, exec, s[30:31]
.LBB4_6707:                             ;   in Loop: Header=BB4_6192 Depth=3
	s_or_b64 exec, exec, s[28:29]
	v_max_f32_e32 v2, v2, v2
	v_max_f32_e32 v0, v0, v0
	v_min_f32_e32 v2, v0, v2
.LBB4_6708:                             ;   in Loop: Header=BB4_6192 Depth=3
	v_and_b32_sdwa v0, v2, s97 dst_sel:DWORD dst_unused:UNUSED_PAD src0_sel:BYTE_3 src1_sel:DWORD
	v_and_b32_e32 v4, 0x7f800000, v2
	v_mov_b32_e32 v5, v43
	v_and_b32_e32 v42, 0x7fffff, v2
	v_or_b32_e32 v58, 0x7b, v0
	v_cmp_ne_u64_e32 vcc, s[52:53], v[4:5]
	s_and_saveexec_b64 s[28:29], vcc
	s_xor_b64 s[30:31], exec, s[28:29]
	s_cbranch_execz .LBB4_6718
; %bb.6709:                             ;   in Loop: Header=BB4_6192 Depth=3
	v_and_b32_e32 v4, 0x7fffffff, v2
	v_mov_b32_e32 v5, v43
	v_cmp_gt_u64_e32 vcc, s[54:55], v[4:5]
	s_and_saveexec_b64 s[68:69], vcc
	s_cbranch_execz .LBB4_6717
; %bb.6710:                             ;   in Loop: Header=BB4_6192 Depth=3
	v_cmp_ne_u32_e32 vcc, 0, v2
	v_mov_b32_e32 v58, 0
	s_and_saveexec_b64 s[70:71], vcc
	s_cbranch_execz .LBB4_6716
; %bb.6711:                             ;   in Loop: Header=BB4_6192 Depth=3
	v_bfe_u32 v2, v2, 23, 8
	v_sub_u32_e32 v4, 0x71, v2
	v_cmp_gt_u32_e32 vcc, s38, v2
	v_add_u32_e32 v3, 0xffffff81, v2
	v_cndmask_b32_e32 v4, 0, v4, vcc
	v_cmp_eq_u32_e32 vcc, 0, v2
	v_mov_b32_e32 v2, 0xffffff82
	v_cndmask_b32_e32 v7, v3, v2, vcc
	v_mov_b32_e32 v2, 0x70
	v_cndmask_b32_e32 v30, v4, v2, vcc
	v_add_u32_e32 v2, 21, v30
	v_or_b32_e32 v5, 0x800000, v42
	v_lshlrev_b64 v[2:3], v2, -1
	v_cndmask_b32_e32 v42, v5, v42, vcc
	v_not_b32_e32 v2, v2
	v_and_b32_e32 v4, v42, v2
	v_add_u32_e32 v2, 20, v30
	v_lshrrev_b64 v[20:21], v30, v[42:43]
	v_not_b32_e32 v3, v3
	v_lshlrev_b64 v[16:17], v2, 1
	v_lshrrev_b32_e32 v2, 23, v20
	v_and_b32_e32 v5, 0, v3
	v_add3_u32 v7, v30, v7, v2
	v_bfe_u32 v2, v20, 21, 1
	v_add_u32_e32 v2, -1, v2
	v_cmp_eq_u64_e32 vcc, v[4:5], v[16:17]
	v_cndmask_b32_e32 v2, 0, v2, vcc
	v_add_u32_e32 v2, v2, v20
	v_and_b32_e32 v2, 0x1fffff, v2
	v_add_co_u32_e32 v4, vcc, v2, v20
	v_add_u32_e32 v3, 14, v7
	v_addc_co_u32_e32 v5, vcc, 0, v21, vcc
	v_cmp_ne_u32_e32 vcc, 0, v3
                                        ; implicit-def: $vgpr2
	s_and_saveexec_b64 s[28:29], vcc
	s_xor_b64 s[28:29], exec, s[28:29]
; %bb.6712:                             ;   in Loop: Header=BB4_6192 Depth=3
	v_add_u32_e32 v2, 15, v7
	v_cmp_lt_u64_e32 vcc, s[56:57], v[4:5]
	v_cndmask_b32_e32 v2, v3, v2, vcc
	v_cndmask_b32_e64 v3, 0, 1, vcc
	v_lshrrev_b64 v[4:5], v3, v[4:5]
; %bb.6713:                             ;   in Loop: Header=BB4_6192 Depth=3
	s_andn2_saveexec_b64 s[28:29], s[28:29]
; %bb.6714:                             ;   in Loop: Header=BB4_6192 Depth=3
	v_bfe_u32 v2, v4, 23, 1
; %bb.6715:                             ;   in Loop: Header=BB4_6192 Depth=3
	s_or_b64 exec, exec, s[28:29]
	v_lshrrev_b64 v[4:5], 21, v[4:5]
	v_cmp_gt_i32_e32 vcc, 32, v2
	v_cndmask_b32_e32 v5, 0, v5, vcc
	v_cndmask_b32_e32 v4, 3, v4, vcc
	v_cmp_eq_u32_e32 vcc, 0, v2
	v_min_i32_e32 v2, 31, v2
	v_cmp_eq_u64_e64 s[28:29], 0, v[4:5]
	v_lshlrev_b32_e32 v2, 2, v2
	v_and_or_b32 v2, v4, 3, v2
	s_and_b64 s[28:29], vcc, s[28:29]
	v_cndmask_b32_e64 v2, v2, 0, s[28:29]
	v_or_b32_e32 v58, v2, v0
.LBB4_6716:                             ;   in Loop: Header=BB4_6192 Depth=3
	s_or_b64 exec, exec, s[70:71]
.LBB4_6717:                             ;   in Loop: Header=BB4_6192 Depth=3
	s_or_b64 exec, exec, s[68:69]
                                        ; implicit-def: $vgpr2
.LBB4_6718:                             ;   in Loop: Header=BB4_6192 Depth=3
	s_andn2_saveexec_b64 s[28:29], s[30:31]
; %bb.6719:                             ;   in Loop: Header=BB4_6192 Depth=3
	v_or_b32_sdwa v0, v2, s39 dst_sel:DWORD dst_unused:UNUSED_PAD src0_sel:BYTE_3 src1_sel:DWORD
	v_cmp_eq_u64_e32 vcc, 0, v[42:43]
	v_cndmask_b32_e32 v58, v0, v58, vcc
; %bb.6720:                             ;   in Loop: Header=BB4_6192 Depth=3
	s_or_b64 exec, exec, s[28:29]
	v_lshrrev_b32_e32 v16, 24, v22
	v_lshrrev_b32_e32 v4, 24, v18
	v_cmp_lt_u32_e64 s[28:29], s43, v22
	s_and_b64 vcc, exec, s[66:67]
	s_cbranch_vccz .LBB4_6738
; %bb.6721:                             ;   in Loop: Header=BB4_6192 Depth=3
	v_mov_b32_e32 v2, 0
	v_mov_b32_e32 v0, 0
	s_and_saveexec_b64 s[30:31], s[28:29]
	s_cbranch_execz .LBB4_6729
; %bb.6722:                             ;   in Loop: Header=BB4_6192 Depth=3
	v_cmp_ne_u32_e32 vcc, s97, v16
	v_bfrev_b32_e32 v0, 1
	s_and_saveexec_b64 s[68:69], vcc
	s_cbranch_execz .LBB4_6728
; %bb.6723:                             ;   in Loop: Header=BB4_6192 Depth=3
	v_and_b32_e32 v0, 0x7c000000, v22
	v_bfe_u32 v3, v22, 24, 2
	v_cmp_ne_u32_e32 vcc, s37, v0
                                        ; implicit-def: $vgpr0
	s_and_saveexec_b64 s[70:71], vcc
	s_xor_b64 s[70:71], exec, s[70:71]
	s_cbranch_execz .LBB4_6725
; %bb.6724:                             ;   in Loop: Header=BB4_6192 Depth=3
	v_ffbh_u32_e32 v5, v3
	v_bfe_u32 v0, v22, 26, 5
	v_min_u32_e32 v5, 32, v5
	v_subrev_u32_e32 v7, 29, v5
	v_sub_u32_e32 v5, 30, v5
	v_cmp_eq_u32_e32 vcc, 0, v0
	v_lshlrev_b64 v[20:21], v7, v[16:17]
	v_cndmask_b32_e32 v0, v0, v5, vcc
	v_bfrev_b32_e32 v5, 28
	v_and_b32_e32 v7, 3, v20
	v_lshl_add_u32 v0, v0, 23, v5
	v_cndmask_b32_e32 v3, v3, v7, vcc
	v_and_or_b32 v0, v22, s96, v0
	v_lshl_or_b32 v0, v3, 21, v0
                                        ; implicit-def: $vgpr3
.LBB4_6725:                             ;   in Loop: Header=BB4_6192 Depth=3
	s_andn2_saveexec_b64 s[70:71], s[70:71]
; %bb.6726:                             ;   in Loop: Header=BB4_6192 Depth=3
	v_cmp_lt_i32_e32 vcc, -1, v22
	v_cndmask_b32_e32 v0, v6, v1, vcc
	v_cmp_eq_u32_e32 vcc, 0, v3
	v_mov_b32_e32 v3, 0x7f800001
	v_cndmask_b32_e32 v0, v3, v0, vcc
; %bb.6727:                             ;   in Loop: Header=BB4_6192 Depth=3
	s_or_b64 exec, exec, s[70:71]
.LBB4_6728:                             ;   in Loop: Header=BB4_6192 Depth=3
	s_or_b64 exec, exec, s[68:69]
.LBB4_6729:                             ;   in Loop: Header=BB4_6192 Depth=3
	s_or_b64 exec, exec, s[30:31]
	v_cmp_lt_u32_e32 vcc, s43, v18
	s_and_saveexec_b64 s[30:31], vcc
	s_cbranch_execz .LBB4_6737
; %bb.6730:                             ;   in Loop: Header=BB4_6192 Depth=3
	v_cmp_ne_u32_e32 vcc, s97, v4
	v_bfrev_b32_e32 v2, 1
	s_and_saveexec_b64 s[68:69], vcc
	s_cbranch_execz .LBB4_6736
; %bb.6731:                             ;   in Loop: Header=BB4_6192 Depth=3
	v_and_b32_e32 v2, 0x7c000000, v18
	v_bfe_u32 v3, v18, 24, 2
	v_cmp_ne_u32_e32 vcc, s37, v2
                                        ; implicit-def: $vgpr2
	s_and_saveexec_b64 s[70:71], vcc
	s_xor_b64 s[70:71], exec, s[70:71]
	s_cbranch_execz .LBB4_6733
; %bb.6732:                             ;   in Loop: Header=BB4_6192 Depth=3
	v_ffbh_u32_e32 v5, v3
	v_min_u32_e32 v5, 32, v5
	v_bfe_u32 v2, v18, 26, 5
	v_subrev_u32_e32 v7, 29, v5
	v_lshlrev_b64 v[20:21], v7, v[4:5]
	v_sub_u32_e32 v5, 30, v5
	v_cmp_eq_u32_e32 vcc, 0, v2
	v_cndmask_b32_e32 v2, v2, v5, vcc
	v_bfrev_b32_e32 v5, 28
	v_and_b32_e32 v7, 3, v20
	v_lshl_add_u32 v2, v2, 23, v5
	v_cndmask_b32_e32 v3, v3, v7, vcc
	v_and_or_b32 v2, v18, s96, v2
	v_lshl_or_b32 v2, v3, 21, v2
                                        ; implicit-def: $vgpr3
.LBB4_6733:                             ;   in Loop: Header=BB4_6192 Depth=3
	s_andn2_saveexec_b64 s[70:71], s[70:71]
; %bb.6734:                             ;   in Loop: Header=BB4_6192 Depth=3
	v_cmp_lt_i32_e32 vcc, -1, v18
	v_cndmask_b32_e32 v2, v6, v1, vcc
	v_cmp_eq_u32_e32 vcc, 0, v3
	v_mov_b32_e32 v3, 0x7f800001
	v_cndmask_b32_e32 v2, v3, v2, vcc
; %bb.6735:                             ;   in Loop: Header=BB4_6192 Depth=3
	s_or_b64 exec, exec, s[70:71]
.LBB4_6736:                             ;   in Loop: Header=BB4_6192 Depth=3
	s_or_b64 exec, exec, s[68:69]
.LBB4_6737:                             ;   in Loop: Header=BB4_6192 Depth=3
	s_or_b64 exec, exec, s[30:31]
	v_max_f32_e32 v2, v2, v2
	v_max_f32_e32 v0, v0, v0
	;; [unrolled: 1-line block ×3, first 2 shown]
	s_branch .LBB4_6756
.LBB4_6738:                             ;   in Loop: Header=BB4_6192 Depth=3
                                        ; implicit-def: $vgpr2
	s_cbranch_execz .LBB4_6756
; %bb.6739:                             ;   in Loop: Header=BB4_6192 Depth=3
	v_mov_b32_e32 v2, 0
	v_mov_b32_e32 v0, 0
	s_and_saveexec_b64 s[30:31], s[28:29]
	s_cbranch_execz .LBB4_6747
; %bb.6740:                             ;   in Loop: Header=BB4_6192 Depth=3
	v_cmp_ne_u32_e32 vcc, s97, v16
	v_bfrev_b32_e32 v0, 1
	s_and_saveexec_b64 s[28:29], vcc
	s_cbranch_execz .LBB4_6746
; %bb.6741:                             ;   in Loop: Header=BB4_6192 Depth=3
	v_and_b32_e32 v0, 0x7c000000, v22
	v_bfe_u32 v3, v22, 24, 2
	v_cmp_ne_u32_e32 vcc, s37, v0
                                        ; implicit-def: $vgpr0
	s_and_saveexec_b64 s[68:69], vcc
	s_xor_b64 s[68:69], exec, s[68:69]
	s_cbranch_execz .LBB4_6743
; %bb.6742:                             ;   in Loop: Header=BB4_6192 Depth=3
	v_ffbh_u32_e32 v5, v3
	v_bfe_u32 v0, v22, 26, 5
	v_min_u32_e32 v5, 32, v5
	v_subrev_u32_e32 v7, 29, v5
	v_sub_u32_e32 v5, 30, v5
	v_cmp_eq_u32_e32 vcc, 0, v0
	v_lshlrev_b64 v[16:17], v7, v[16:17]
	v_cndmask_b32_e32 v0, v0, v5, vcc
	v_bfrev_b32_e32 v5, 28
	v_and_b32_e32 v7, 3, v16
	v_lshl_add_u32 v0, v0, 23, v5
	v_cndmask_b32_e32 v3, v3, v7, vcc
	v_and_or_b32 v0, v22, s96, v0
	v_lshl_or_b32 v0, v3, 21, v0
                                        ; implicit-def: $vgpr3
.LBB4_6743:                             ;   in Loop: Header=BB4_6192 Depth=3
	s_andn2_saveexec_b64 s[68:69], s[68:69]
; %bb.6744:                             ;   in Loop: Header=BB4_6192 Depth=3
	v_cmp_lt_i32_e32 vcc, -1, v22
	v_cndmask_b32_e32 v0, v6, v1, vcc
	v_cmp_eq_u32_e32 vcc, 0, v3
	v_mov_b32_e32 v3, 0x7f800001
	v_cndmask_b32_e32 v0, v3, v0, vcc
; %bb.6745:                             ;   in Loop: Header=BB4_6192 Depth=3
	s_or_b64 exec, exec, s[68:69]
.LBB4_6746:                             ;   in Loop: Header=BB4_6192 Depth=3
	s_or_b64 exec, exec, s[28:29]
.LBB4_6747:                             ;   in Loop: Header=BB4_6192 Depth=3
	s_or_b64 exec, exec, s[30:31]
	v_cmp_lt_u32_e32 vcc, s43, v18
	s_and_saveexec_b64 s[28:29], vcc
	s_cbranch_execz .LBB4_6755
; %bb.6748:                             ;   in Loop: Header=BB4_6192 Depth=3
	v_cmp_ne_u32_e32 vcc, s97, v4
	v_bfrev_b32_e32 v2, 1
	s_and_saveexec_b64 s[30:31], vcc
	s_cbranch_execz .LBB4_6754
; %bb.6749:                             ;   in Loop: Header=BB4_6192 Depth=3
	v_and_b32_e32 v2, 0x7c000000, v18
	v_bfe_u32 v3, v18, 24, 2
	v_cmp_ne_u32_e32 vcc, s37, v2
                                        ; implicit-def: $vgpr2
	s_and_saveexec_b64 s[68:69], vcc
	s_xor_b64 s[68:69], exec, s[68:69]
	s_cbranch_execz .LBB4_6751
; %bb.6750:                             ;   in Loop: Header=BB4_6192 Depth=3
	v_ffbh_u32_e32 v5, v3
	v_min_u32_e32 v7, 32, v5
	v_subrev_u32_e32 v5, 29, v7
	v_bfe_u32 v2, v18, 26, 5
	v_lshlrev_b64 v[4:5], v5, v[4:5]
	v_sub_u32_e32 v5, 30, v7
	v_and_b32_e32 v4, 3, v4
	v_cmp_eq_u32_e32 vcc, 0, v2
	v_cndmask_b32_e32 v2, v2, v5, vcc
	v_cndmask_b32_e32 v3, v3, v4, vcc
	v_bfrev_b32_e32 v4, 28
	v_lshl_add_u32 v2, v2, 23, v4
	v_and_or_b32 v2, v18, s96, v2
	v_lshl_or_b32 v2, v3, 21, v2
                                        ; implicit-def: $vgpr3
.LBB4_6751:                             ;   in Loop: Header=BB4_6192 Depth=3
	s_andn2_saveexec_b64 s[68:69], s[68:69]
; %bb.6752:                             ;   in Loop: Header=BB4_6192 Depth=3
	v_cmp_lt_i32_e32 vcc, -1, v18
	v_cndmask_b32_e32 v2, v6, v1, vcc
	v_cmp_eq_u32_e32 vcc, 0, v3
	v_mov_b32_e32 v3, 0x7f800001
	v_cndmask_b32_e32 v2, v3, v2, vcc
; %bb.6753:                             ;   in Loop: Header=BB4_6192 Depth=3
	s_or_b64 exec, exec, s[68:69]
.LBB4_6754:                             ;   in Loop: Header=BB4_6192 Depth=3
	s_or_b64 exec, exec, s[30:31]
.LBB4_6755:                             ;   in Loop: Header=BB4_6192 Depth=3
	s_or_b64 exec, exec, s[28:29]
	v_max_f32_e32 v2, v2, v2
	v_max_f32_e32 v0, v0, v0
	v_min_f32_e32 v2, v0, v2
.LBB4_6756:                             ;   in Loop: Header=BB4_6192 Depth=3
	v_and_b32_sdwa v0, v2, s97 dst_sel:DWORD dst_unused:UNUSED_PAD src0_sel:BYTE_3 src1_sel:DWORD
	v_and_b32_e32 v4, 0x7f800000, v2
	v_mov_b32_e32 v5, v43
	v_and_b32_e32 v42, 0x7fffff, v2
	v_or_b32_e32 v59, 0x7b, v0
	v_cmp_ne_u64_e32 vcc, s[52:53], v[4:5]
	s_and_saveexec_b64 s[28:29], vcc
	s_xor_b64 s[30:31], exec, s[28:29]
	s_cbranch_execz .LBB4_6766
; %bb.6757:                             ;   in Loop: Header=BB4_6192 Depth=3
	v_and_b32_e32 v4, 0x7fffffff, v2
	v_mov_b32_e32 v5, v43
	v_cmp_gt_u64_e32 vcc, s[54:55], v[4:5]
	s_and_saveexec_b64 s[68:69], vcc
	s_cbranch_execz .LBB4_6765
; %bb.6758:                             ;   in Loop: Header=BB4_6192 Depth=3
	v_cmp_ne_u32_e32 vcc, 0, v2
	v_mov_b32_e32 v59, 0
	s_and_saveexec_b64 s[70:71], vcc
	s_cbranch_execz .LBB4_6764
; %bb.6759:                             ;   in Loop: Header=BB4_6192 Depth=3
	v_bfe_u32 v2, v2, 23, 8
	v_sub_u32_e32 v4, 0x71, v2
	v_cmp_gt_u32_e32 vcc, s38, v2
	v_add_u32_e32 v3, 0xffffff81, v2
	v_cndmask_b32_e32 v4, 0, v4, vcc
	v_cmp_eq_u32_e32 vcc, 0, v2
	v_mov_b32_e32 v2, 0xffffff82
	v_cndmask_b32_e32 v7, v3, v2, vcc
	v_mov_b32_e32 v2, 0x70
	v_cndmask_b32_e32 v30, v4, v2, vcc
	v_add_u32_e32 v2, 21, v30
	v_or_b32_e32 v5, 0x800000, v42
	v_lshlrev_b64 v[2:3], v2, -1
	v_cndmask_b32_e32 v42, v5, v42, vcc
	v_not_b32_e32 v2, v2
	v_and_b32_e32 v4, v42, v2
	v_add_u32_e32 v2, 20, v30
	v_lshrrev_b64 v[20:21], v30, v[42:43]
	v_not_b32_e32 v3, v3
	v_lshlrev_b64 v[16:17], v2, 1
	v_lshrrev_b32_e32 v2, 23, v20
	v_and_b32_e32 v5, 0, v3
	v_add3_u32 v7, v30, v7, v2
	v_bfe_u32 v2, v20, 21, 1
	v_add_u32_e32 v2, -1, v2
	v_cmp_eq_u64_e32 vcc, v[4:5], v[16:17]
	v_cndmask_b32_e32 v2, 0, v2, vcc
	v_add_u32_e32 v2, v2, v20
	v_and_b32_e32 v2, 0x1fffff, v2
	v_add_co_u32_e32 v4, vcc, v2, v20
	v_add_u32_e32 v3, 14, v7
	v_addc_co_u32_e32 v5, vcc, 0, v21, vcc
	v_cmp_ne_u32_e32 vcc, 0, v3
                                        ; implicit-def: $vgpr2
	s_and_saveexec_b64 s[28:29], vcc
	s_xor_b64 s[28:29], exec, s[28:29]
; %bb.6760:                             ;   in Loop: Header=BB4_6192 Depth=3
	v_add_u32_e32 v2, 15, v7
	v_cmp_lt_u64_e32 vcc, s[56:57], v[4:5]
	v_cndmask_b32_e32 v2, v3, v2, vcc
	v_cndmask_b32_e64 v3, 0, 1, vcc
	v_lshrrev_b64 v[4:5], v3, v[4:5]
; %bb.6761:                             ;   in Loop: Header=BB4_6192 Depth=3
	s_andn2_saveexec_b64 s[28:29], s[28:29]
; %bb.6762:                             ;   in Loop: Header=BB4_6192 Depth=3
	v_bfe_u32 v2, v4, 23, 1
; %bb.6763:                             ;   in Loop: Header=BB4_6192 Depth=3
	s_or_b64 exec, exec, s[28:29]
	v_lshrrev_b64 v[4:5], 21, v[4:5]
	v_cmp_gt_i32_e32 vcc, 32, v2
	v_cndmask_b32_e32 v5, 0, v5, vcc
	v_cndmask_b32_e32 v4, 3, v4, vcc
	v_cmp_eq_u32_e32 vcc, 0, v2
	v_min_i32_e32 v2, 31, v2
	v_cmp_eq_u64_e64 s[28:29], 0, v[4:5]
	v_lshlrev_b32_e32 v2, 2, v2
	v_and_or_b32 v2, v4, 3, v2
	s_and_b64 s[28:29], vcc, s[28:29]
	v_cndmask_b32_e64 v2, v2, 0, s[28:29]
	v_or_b32_e32 v59, v2, v0
.LBB4_6764:                             ;   in Loop: Header=BB4_6192 Depth=3
	s_or_b64 exec, exec, s[70:71]
.LBB4_6765:                             ;   in Loop: Header=BB4_6192 Depth=3
	s_or_b64 exec, exec, s[68:69]
                                        ; implicit-def: $vgpr2
.LBB4_6766:                             ;   in Loop: Header=BB4_6192 Depth=3
	s_andn2_saveexec_b64 s[28:29], s[30:31]
; %bb.6767:                             ;   in Loop: Header=BB4_6192 Depth=3
	v_or_b32_sdwa v0, v2, s39 dst_sel:DWORD dst_unused:UNUSED_PAD src0_sel:BYTE_3 src1_sel:DWORD
	v_cmp_eq_u64_e32 vcc, 0, v[42:43]
	v_cndmask_b32_e32 v59, v0, v59, vcc
; %bb.6768:                             ;   in Loop: Header=BB4_6192 Depth=3
	s_or_b64 exec, exec, s[28:29]
	v_mov_b32_e32 v42, v23
	v_mov_b32_e32 v4, v19
	;; [unrolled: 1-line block ×3, first 2 shown]
	v_cmp_ne_u16_sdwa s[28:29], v23, v43 src0_sel:BYTE_0 src1_sel:DWORD
	s_and_b64 vcc, exec, s[66:67]
	s_cbranch_vccz .LBB4_6786
; %bb.6769:                             ;   in Loop: Header=BB4_6192 Depth=3
	v_mov_b32_e32 v2, 0
	v_mov_b32_e32 v0, 0
	s_and_saveexec_b64 s[30:31], s[28:29]
	s_cbranch_execz .LBB4_6777
; %bb.6770:                             ;   in Loop: Header=BB4_6192 Depth=3
	v_cmp_ne_u16_sdwa vcc, v23, s97 src0_sel:BYTE_0 src1_sel:DWORD
	v_bfrev_b32_e32 v0, 1
	s_and_saveexec_b64 s[68:69], vcc
	s_cbranch_execz .LBB4_6776
; %bb.6771:                             ;   in Loop: Header=BB4_6192 Depth=3
	v_and_b32_e32 v0, 0x7c, v23
	v_and_b32_e32 v3, 3, v23
	v_cmp_ne_u32_e32 vcc, s95, v0
                                        ; implicit-def: $vgpr0
	s_and_saveexec_b64 s[70:71], vcc
	s_xor_b64 s[70:71], exec, s[70:71]
	s_cbranch_execz .LBB4_6773
; %bb.6772:                             ;   in Loop: Header=BB4_6192 Depth=3
	v_ffbh_u32_e32 v7, v3
	v_min_u32_e32 v7, 32, v7
	v_subrev_u32_e32 v16, 29, v7
	v_bfe_u32 v0, v23, 2, 5
	v_lshlrev_b64 v[16:17], v16, v[42:43]
	v_sub_u32_e32 v7, 30, v7
	v_and_b32_e32 v16, 3, v16
	v_cmp_eq_u32_e32 vcc, 0, v0
	v_cndmask_b32_e32 v0, v0, v7, vcc
	v_cndmask_b32_e32 v3, v3, v16, vcc
	v_bfrev_b32_e32 v16, 28
	v_lshlrev_b32_e32 v7, 24, v23
	v_lshl_add_u32 v0, v0, 23, v16
	v_and_or_b32 v0, v7, s96, v0
	v_lshl_or_b32 v0, v3, 21, v0
                                        ; implicit-def: $vgpr3
.LBB4_6773:                             ;   in Loop: Header=BB4_6192 Depth=3
	s_andn2_saveexec_b64 s[70:71], s[70:71]
; %bb.6774:                             ;   in Loop: Header=BB4_6192 Depth=3
	v_mov_b32_e32 v0, -1
	v_cmp_gt_i16_sdwa vcc, sext(v23), v0 src0_sel:BYTE_0 src1_sel:DWORD
	v_cndmask_b32_e32 v0, v6, v1, vcc
	v_cmp_eq_u32_e32 vcc, 0, v3
	v_mov_b32_e32 v3, 0x7f800001
	v_cndmask_b32_e32 v0, v3, v0, vcc
; %bb.6775:                             ;   in Loop: Header=BB4_6192 Depth=3
	s_or_b64 exec, exec, s[70:71]
.LBB4_6776:                             ;   in Loop: Header=BB4_6192 Depth=3
	s_or_b64 exec, exec, s[68:69]
.LBB4_6777:                             ;   in Loop: Header=BB4_6192 Depth=3
	s_or_b64 exec, exec, s[30:31]
	v_cmp_ne_u16_sdwa vcc, v19, v43 src0_sel:BYTE_0 src1_sel:DWORD
	s_and_saveexec_b64 s[30:31], vcc
	s_cbranch_execz .LBB4_6785
; %bb.6778:                             ;   in Loop: Header=BB4_6192 Depth=3
	v_cmp_ne_u16_sdwa vcc, v19, s97 src0_sel:BYTE_0 src1_sel:DWORD
	v_bfrev_b32_e32 v2, 1
	s_and_saveexec_b64 s[68:69], vcc
	s_cbranch_execz .LBB4_6784
; %bb.6779:                             ;   in Loop: Header=BB4_6192 Depth=3
	v_and_b32_e32 v2, 0x7c, v19
	v_and_b32_e32 v3, 3, v19
	v_cmp_ne_u32_e32 vcc, s95, v2
                                        ; implicit-def: $vgpr2
	s_and_saveexec_b64 s[70:71], vcc
	s_xor_b64 s[70:71], exec, s[70:71]
	s_cbranch_execz .LBB4_6781
; %bb.6780:                             ;   in Loop: Header=BB4_6192 Depth=3
	v_ffbh_u32_e32 v7, v3
	v_min_u32_e32 v7, 32, v7
	v_subrev_u32_e32 v16, 29, v7
	v_bfe_u32 v2, v19, 2, 5
	v_lshlrev_b64 v[16:17], v16, v[4:5]
	v_sub_u32_e32 v7, 30, v7
	v_and_b32_e32 v16, 3, v16
	v_cmp_eq_u32_e32 vcc, 0, v2
	v_cndmask_b32_e32 v2, v2, v7, vcc
	v_cndmask_b32_e32 v3, v3, v16, vcc
	v_bfrev_b32_e32 v16, 28
	v_lshlrev_b32_e32 v7, 24, v19
	v_lshl_add_u32 v2, v2, 23, v16
	v_and_or_b32 v2, v7, s96, v2
	v_lshl_or_b32 v2, v3, 21, v2
                                        ; implicit-def: $vgpr3
.LBB4_6781:                             ;   in Loop: Header=BB4_6192 Depth=3
	s_andn2_saveexec_b64 s[70:71], s[70:71]
; %bb.6782:                             ;   in Loop: Header=BB4_6192 Depth=3
	v_mov_b32_e32 v2, -1
	v_cmp_gt_i16_sdwa vcc, sext(v19), v2 src0_sel:BYTE_0 src1_sel:DWORD
	v_cndmask_b32_e32 v2, v6, v1, vcc
	v_cmp_eq_u32_e32 vcc, 0, v3
	v_mov_b32_e32 v3, 0x7f800001
	v_cndmask_b32_e32 v2, v3, v2, vcc
; %bb.6783:                             ;   in Loop: Header=BB4_6192 Depth=3
	s_or_b64 exec, exec, s[70:71]
.LBB4_6784:                             ;   in Loop: Header=BB4_6192 Depth=3
	s_or_b64 exec, exec, s[68:69]
.LBB4_6785:                             ;   in Loop: Header=BB4_6192 Depth=3
	s_or_b64 exec, exec, s[30:31]
	v_max_f32_e32 v2, v2, v2
	v_max_f32_e32 v0, v0, v0
	;; [unrolled: 1-line block ×3, first 2 shown]
	s_branch .LBB4_6804
.LBB4_6786:                             ;   in Loop: Header=BB4_6192 Depth=3
                                        ; implicit-def: $vgpr2
	s_cbranch_execz .LBB4_6804
; %bb.6787:                             ;   in Loop: Header=BB4_6192 Depth=3
	v_mov_b32_e32 v2, 0
	v_mov_b32_e32 v0, 0
	s_and_saveexec_b64 s[30:31], s[28:29]
	s_cbranch_execz .LBB4_6795
; %bb.6788:                             ;   in Loop: Header=BB4_6192 Depth=3
	v_cmp_ne_u16_sdwa vcc, v23, s97 src0_sel:BYTE_0 src1_sel:DWORD
	v_bfrev_b32_e32 v0, 1
	s_and_saveexec_b64 s[28:29], vcc
	s_cbranch_execz .LBB4_6794
; %bb.6789:                             ;   in Loop: Header=BB4_6192 Depth=3
	v_and_b32_e32 v0, 0x7c, v23
	v_and_b32_e32 v3, 3, v23
	v_cmp_ne_u32_e32 vcc, s95, v0
                                        ; implicit-def: $vgpr0
	s_and_saveexec_b64 s[68:69], vcc
	s_xor_b64 s[68:69], exec, s[68:69]
	s_cbranch_execz .LBB4_6791
; %bb.6790:                             ;   in Loop: Header=BB4_6192 Depth=3
	v_ffbh_u32_e32 v7, v3
	v_min_u32_e32 v7, 32, v7
	v_subrev_u32_e32 v16, 29, v7
	v_bfe_u32 v0, v23, 2, 5
	v_lshlrev_b64 v[16:17], v16, v[42:43]
	v_sub_u32_e32 v7, 30, v7
	v_and_b32_e32 v16, 3, v16
	v_cmp_eq_u32_e32 vcc, 0, v0
	v_cndmask_b32_e32 v0, v0, v7, vcc
	v_cndmask_b32_e32 v3, v3, v16, vcc
	v_bfrev_b32_e32 v16, 28
	v_lshlrev_b32_e32 v7, 24, v23
	v_lshl_add_u32 v0, v0, 23, v16
	v_and_or_b32 v0, v7, s96, v0
	v_lshl_or_b32 v0, v3, 21, v0
                                        ; implicit-def: $vgpr3
.LBB4_6791:                             ;   in Loop: Header=BB4_6192 Depth=3
	s_andn2_saveexec_b64 s[68:69], s[68:69]
; %bb.6792:                             ;   in Loop: Header=BB4_6192 Depth=3
	v_mov_b32_e32 v0, -1
	v_cmp_gt_i16_sdwa vcc, sext(v23), v0 src0_sel:BYTE_0 src1_sel:DWORD
	v_cndmask_b32_e32 v0, v6, v1, vcc
	v_cmp_eq_u32_e32 vcc, 0, v3
	v_mov_b32_e32 v3, 0x7f800001
	v_cndmask_b32_e32 v0, v3, v0, vcc
; %bb.6793:                             ;   in Loop: Header=BB4_6192 Depth=3
	s_or_b64 exec, exec, s[68:69]
.LBB4_6794:                             ;   in Loop: Header=BB4_6192 Depth=3
	s_or_b64 exec, exec, s[28:29]
.LBB4_6795:                             ;   in Loop: Header=BB4_6192 Depth=3
	s_or_b64 exec, exec, s[30:31]
	v_cmp_ne_u16_sdwa vcc, v19, v43 src0_sel:BYTE_0 src1_sel:DWORD
	s_and_saveexec_b64 s[28:29], vcc
	s_cbranch_execz .LBB4_6803
; %bb.6796:                             ;   in Loop: Header=BB4_6192 Depth=3
	v_cmp_ne_u16_sdwa vcc, v19, s97 src0_sel:BYTE_0 src1_sel:DWORD
	v_bfrev_b32_e32 v2, 1
	s_and_saveexec_b64 s[30:31], vcc
	s_cbranch_execz .LBB4_6802
; %bb.6797:                             ;   in Loop: Header=BB4_6192 Depth=3
	v_and_b32_e32 v2, 0x7c, v19
	v_and_b32_e32 v3, 3, v19
	v_cmp_ne_u32_e32 vcc, s95, v2
                                        ; implicit-def: $vgpr2
	s_and_saveexec_b64 s[68:69], vcc
	s_xor_b64 s[68:69], exec, s[68:69]
	s_cbranch_execz .LBB4_6799
; %bb.6798:                             ;   in Loop: Header=BB4_6192 Depth=3
	v_ffbh_u32_e32 v7, v3
	v_min_u32_e32 v7, 32, v7
	v_subrev_u32_e32 v16, 29, v7
	v_bfe_u32 v2, v19, 2, 5
	v_lshlrev_b64 v[16:17], v16, v[4:5]
	v_sub_u32_e32 v5, 30, v7
	v_and_b32_e32 v7, 3, v16
	v_cmp_eq_u32_e32 vcc, 0, v2
	v_cndmask_b32_e32 v2, v2, v5, vcc
	v_cndmask_b32_e32 v3, v3, v7, vcc
	v_bfrev_b32_e32 v7, 28
	v_lshlrev_b32_e32 v5, 24, v19
	v_lshl_add_u32 v2, v2, 23, v7
	v_and_or_b32 v2, v5, s96, v2
	v_lshl_or_b32 v2, v3, 21, v2
                                        ; implicit-def: $vgpr3
.LBB4_6799:                             ;   in Loop: Header=BB4_6192 Depth=3
	s_andn2_saveexec_b64 s[68:69], s[68:69]
; %bb.6800:                             ;   in Loop: Header=BB4_6192 Depth=3
	v_mov_b32_e32 v2, -1
	v_cmp_gt_i16_sdwa vcc, sext(v19), v2 src0_sel:BYTE_0 src1_sel:DWORD
	v_cndmask_b32_e32 v2, v6, v1, vcc
	v_cmp_eq_u32_e32 vcc, 0, v3
	v_mov_b32_e32 v3, 0x7f800001
	v_cndmask_b32_e32 v2, v3, v2, vcc
; %bb.6801:                             ;   in Loop: Header=BB4_6192 Depth=3
	s_or_b64 exec, exec, s[68:69]
.LBB4_6802:                             ;   in Loop: Header=BB4_6192 Depth=3
	s_or_b64 exec, exec, s[30:31]
.LBB4_6803:                             ;   in Loop: Header=BB4_6192 Depth=3
	s_or_b64 exec, exec, s[28:29]
	v_max_f32_e32 v2, v2, v2
	v_max_f32_e32 v0, v0, v0
	v_min_f32_e32 v2, v0, v2
.LBB4_6804:                             ;   in Loop: Header=BB4_6192 Depth=3
	v_and_b32_sdwa v0, v2, s97 dst_sel:DWORD dst_unused:UNUSED_PAD src0_sel:BYTE_3 src1_sel:DWORD
	v_and_b32_e32 v20, 0x7f800000, v2
	v_mov_b32_e32 v21, v43
	v_and_b32_e32 v16, 0x7fffff, v2
	v_mov_b32_e32 v17, v43
	v_or_b32_e32 v3, 0x7b, v0
	v_cmp_ne_u64_e32 vcc, s[52:53], v[20:21]
	s_and_saveexec_b64 s[28:29], vcc
	s_xor_b64 s[30:31], exec, s[28:29]
	s_cbranch_execz .LBB4_6814
; %bb.6805:                             ;   in Loop: Header=BB4_6192 Depth=3
	v_and_b32_e32 v20, 0x7fffffff, v2
	v_mov_b32_e32 v21, v43
	v_cmp_gt_u64_e32 vcc, s[54:55], v[20:21]
	s_and_saveexec_b64 s[68:69], vcc
	s_cbranch_execz .LBB4_6813
; %bb.6806:                             ;   in Loop: Header=BB4_6192 Depth=3
	v_cmp_ne_u32_e32 vcc, 0, v2
	v_mov_b32_e32 v3, 0
	s_and_saveexec_b64 s[70:71], vcc
	s_cbranch_execz .LBB4_6812
; %bb.6807:                             ;   in Loop: Header=BB4_6192 Depth=3
	v_bfe_u32 v2, v2, 23, 8
	v_sub_u32_e32 v5, 0x71, v2
	v_cmp_gt_u32_e32 vcc, s38, v2
	v_add_u32_e32 v3, 0xffffff81, v2
	v_cndmask_b32_e32 v5, 0, v5, vcc
	v_cmp_eq_u32_e32 vcc, 0, v2
	v_mov_b32_e32 v2, 0xffffff82
	v_cndmask_b32_e32 v30, v3, v2, vcc
	v_mov_b32_e32 v2, 0x70
	v_cndmask_b32_e32 v5, v5, v2, vcc
	v_add_u32_e32 v2, 21, v5
	v_or_b32_e32 v7, 0x800000, v16
	v_lshlrev_b64 v[2:3], v2, -1
	v_cndmask_b32_e32 v16, v7, v16, vcc
	v_not_b32_e32 v2, v2
	v_and_b32_e32 v20, v16, v2
	v_add_u32_e32 v2, 20, v5
	v_lshrrev_b64 v[16:17], v5, v[16:17]
	v_not_b32_e32 v3, v3
	v_lshlrev_b64 v[36:37], v2, 1
	v_lshrrev_b32_e32 v2, 23, v16
	v_and_b32_e32 v21, 0, v3
	v_add3_u32 v5, v5, v30, v2
	v_bfe_u32 v2, v16, 21, 1
	v_add_u32_e32 v2, -1, v2
	v_cmp_eq_u64_e32 vcc, v[20:21], v[36:37]
	v_cndmask_b32_e32 v2, 0, v2, vcc
	v_add_u32_e32 v2, v2, v16
	v_and_b32_e32 v2, 0x1fffff, v2
	v_add_co_u32_e32 v16, vcc, v2, v16
	v_add_u32_e32 v3, 14, v5
	v_addc_co_u32_e32 v17, vcc, 0, v17, vcc
	v_cmp_ne_u32_e32 vcc, 0, v3
                                        ; implicit-def: $vgpr2
	s_and_saveexec_b64 s[28:29], vcc
	s_xor_b64 s[28:29], exec, s[28:29]
; %bb.6808:                             ;   in Loop: Header=BB4_6192 Depth=3
	v_add_u32_e32 v2, 15, v5
	v_cmp_lt_u64_e32 vcc, s[56:57], v[16:17]
	v_cndmask_b32_e32 v2, v3, v2, vcc
	v_cndmask_b32_e64 v3, 0, 1, vcc
	v_lshrrev_b64 v[16:17], v3, v[16:17]
; %bb.6809:                             ;   in Loop: Header=BB4_6192 Depth=3
	s_andn2_saveexec_b64 s[28:29], s[28:29]
; %bb.6810:                             ;   in Loop: Header=BB4_6192 Depth=3
	v_bfe_u32 v2, v16, 23, 1
; %bb.6811:                             ;   in Loop: Header=BB4_6192 Depth=3
	s_or_b64 exec, exec, s[28:29]
	v_lshrrev_b64 v[16:17], 21, v[16:17]
	v_cmp_gt_i32_e32 vcc, 32, v2
	v_cndmask_b32_e32 v17, 0, v17, vcc
	v_cndmask_b32_e32 v16, 3, v16, vcc
	v_cmp_eq_u32_e32 vcc, 0, v2
	v_min_i32_e32 v2, 31, v2
	v_cmp_eq_u64_e64 s[28:29], 0, v[16:17]
	v_lshlrev_b32_e32 v2, 2, v2
	v_and_or_b32 v2, v16, 3, v2
	s_and_b64 s[28:29], vcc, s[28:29]
	v_cndmask_b32_e64 v2, v2, 0, s[28:29]
	v_or_b32_e32 v3, v2, v0
.LBB4_6812:                             ;   in Loop: Header=BB4_6192 Depth=3
	s_or_b64 exec, exec, s[70:71]
.LBB4_6813:                             ;   in Loop: Header=BB4_6192 Depth=3
	s_or_b64 exec, exec, s[68:69]
                                        ; implicit-def: $vgpr2
                                        ; implicit-def: $vgpr16_vgpr17
.LBB4_6814:                             ;   in Loop: Header=BB4_6192 Depth=3
	s_andn2_saveexec_b64 s[28:29], s[30:31]
; %bb.6815:                             ;   in Loop: Header=BB4_6192 Depth=3
	v_or_b32_sdwa v0, v2, s39 dst_sel:DWORD dst_unused:UNUSED_PAD src0_sel:BYTE_3 src1_sel:DWORD
	v_cmp_eq_u64_e32 vcc, 0, v[16:17]
	v_cndmask_b32_e32 v3, v0, v3, vcc
; %bb.6816:                             ;   in Loop: Header=BB4_6192 Depth=3
	s_or_b64 exec, exec, s[28:29]
	v_lshrrev_b16_e32 v20, 8, v42
	v_lshrrev_b16_e32 v16, 8, v4
	v_cmp_ne_u16_e64 s[28:29], 0, v20
	s_and_b64 vcc, exec, s[66:67]
	s_cbranch_vccz .LBB4_6834
; %bb.6817:                             ;   in Loop: Header=BB4_6192 Depth=3
	v_mov_b32_e32 v2, 0
	v_mov_b32_e32 v0, 0
	s_and_saveexec_b64 s[30:31], s[28:29]
	s_cbranch_execz .LBB4_6825
; %bb.6818:                             ;   in Loop: Header=BB4_6192 Depth=3
	v_cmp_ne_u16_e32 vcc, s97, v20
	v_bfrev_b32_e32 v0, 1
	s_and_saveexec_b64 s[68:69], vcc
	s_cbranch_execz .LBB4_6824
; %bb.6819:                             ;   in Loop: Header=BB4_6192 Depth=3
	v_and_b32_e32 v0, 0x7c, v20
	v_and_b32_e32 v5, 3, v20
	v_cmp_ne_u32_e32 vcc, s95, v0
                                        ; implicit-def: $vgpr0
	s_and_saveexec_b64 s[70:71], vcc
	s_xor_b64 s[70:71], exec, s[70:71]
	s_cbranch_execz .LBB4_6821
; %bb.6820:                             ;   in Loop: Header=BB4_6192 Depth=3
	v_ffbh_u32_e32 v7, v5
	v_min_u32_e32 v7, 32, v7
	v_mov_b32_e32 v21, v43
	v_subrev_u32_e32 v17, 29, v7
	v_bfe_u32 v0, v20, 2, 5
	v_lshlrev_b64 v[36:37], v17, v[20:21]
	v_sub_u32_e32 v7, 30, v7
	v_and_b32_e32 v17, 3, v36
	v_cmp_eq_u32_e32 vcc, 0, v0
	v_cndmask_b32_e32 v0, v0, v7, vcc
	v_cndmask_b32_e32 v5, v5, v17, vcc
	v_bfrev_b32_e32 v17, 28
	v_lshlrev_b32_e32 v7, 16, v42
	v_lshl_add_u32 v0, v0, 23, v17
	v_and_or_b32 v0, v7, s96, v0
	v_lshl_or_b32 v0, v5, 21, v0
                                        ; implicit-def: $vgpr5
.LBB4_6821:                             ;   in Loop: Header=BB4_6192 Depth=3
	s_andn2_saveexec_b64 s[70:71], s[70:71]
; %bb.6822:                             ;   in Loop: Header=BB4_6192 Depth=3
	v_cmp_lt_i16_e32 vcc, -1, v42
	v_cndmask_b32_e32 v0, v6, v1, vcc
	v_cmp_eq_u32_e32 vcc, 0, v5
	v_mov_b32_e32 v5, 0x7f800001
	v_cndmask_b32_e32 v0, v5, v0, vcc
; %bb.6823:                             ;   in Loop: Header=BB4_6192 Depth=3
	s_or_b64 exec, exec, s[70:71]
.LBB4_6824:                             ;   in Loop: Header=BB4_6192 Depth=3
	s_or_b64 exec, exec, s[68:69]
.LBB4_6825:                             ;   in Loop: Header=BB4_6192 Depth=3
	s_or_b64 exec, exec, s[30:31]
	v_cmp_ne_u16_e32 vcc, 0, v16
	s_and_saveexec_b64 s[30:31], vcc
	s_cbranch_execz .LBB4_6833
; %bb.6826:                             ;   in Loop: Header=BB4_6192 Depth=3
	v_cmp_ne_u16_e32 vcc, s97, v16
	v_bfrev_b32_e32 v2, 1
	s_and_saveexec_b64 s[68:69], vcc
	s_cbranch_execz .LBB4_6832
; %bb.6827:                             ;   in Loop: Header=BB4_6192 Depth=3
	v_and_b32_e32 v2, 0x7c, v16
	v_and_b32_e32 v5, 3, v16
	v_cmp_ne_u32_e32 vcc, s95, v2
                                        ; implicit-def: $vgpr2
	s_and_saveexec_b64 s[70:71], vcc
	s_xor_b64 s[70:71], exec, s[70:71]
	s_cbranch_execz .LBB4_6829
; %bb.6828:                             ;   in Loop: Header=BB4_6192 Depth=3
	v_ffbh_u32_e32 v7, v5
	v_min_u32_e32 v7, 32, v7
	v_mov_b32_e32 v17, v43
	v_subrev_u32_e32 v21, 29, v7
	v_bfe_u32 v2, v16, 2, 5
	v_lshlrev_b64 v[36:37], v21, v[16:17]
	v_sub_u32_e32 v7, 30, v7
	v_and_b32_e32 v17, 3, v36
	v_cmp_eq_u32_e32 vcc, 0, v2
	v_cndmask_b32_e32 v2, v2, v7, vcc
	v_cndmask_b32_e32 v5, v5, v17, vcc
	v_bfrev_b32_e32 v17, 28
	v_lshlrev_b32_e32 v7, 16, v4
	v_lshl_add_u32 v2, v2, 23, v17
	v_and_or_b32 v2, v7, s96, v2
	v_lshl_or_b32 v2, v5, 21, v2
                                        ; implicit-def: $vgpr5
.LBB4_6829:                             ;   in Loop: Header=BB4_6192 Depth=3
	s_andn2_saveexec_b64 s[70:71], s[70:71]
; %bb.6830:                             ;   in Loop: Header=BB4_6192 Depth=3
	v_cmp_lt_i16_e32 vcc, -1, v4
	v_cndmask_b32_e32 v2, v6, v1, vcc
	v_cmp_eq_u32_e32 vcc, 0, v5
	v_mov_b32_e32 v5, 0x7f800001
	v_cndmask_b32_e32 v2, v5, v2, vcc
; %bb.6831:                             ;   in Loop: Header=BB4_6192 Depth=3
	s_or_b64 exec, exec, s[70:71]
.LBB4_6832:                             ;   in Loop: Header=BB4_6192 Depth=3
	s_or_b64 exec, exec, s[68:69]
.LBB4_6833:                             ;   in Loop: Header=BB4_6192 Depth=3
	s_or_b64 exec, exec, s[30:31]
	v_max_f32_e32 v2, v2, v2
	v_max_f32_e32 v0, v0, v0
	;; [unrolled: 1-line block ×3, first 2 shown]
	s_branch .LBB4_6852
.LBB4_6834:                             ;   in Loop: Header=BB4_6192 Depth=3
                                        ; implicit-def: $vgpr5
	s_cbranch_execz .LBB4_6852
; %bb.6835:                             ;   in Loop: Header=BB4_6192 Depth=3
	v_mov_b32_e32 v2, 0
	v_mov_b32_e32 v0, 0
	s_and_saveexec_b64 s[30:31], s[28:29]
	s_cbranch_execz .LBB4_6843
; %bb.6836:                             ;   in Loop: Header=BB4_6192 Depth=3
	v_cmp_ne_u16_e32 vcc, s97, v20
	v_bfrev_b32_e32 v0, 1
	s_and_saveexec_b64 s[28:29], vcc
	s_cbranch_execz .LBB4_6842
; %bb.6837:                             ;   in Loop: Header=BB4_6192 Depth=3
	v_and_b32_e32 v0, 0x7c, v20
	v_and_b32_e32 v5, 3, v20
	v_cmp_ne_u32_e32 vcc, s95, v0
                                        ; implicit-def: $vgpr0
	s_and_saveexec_b64 s[68:69], vcc
	s_xor_b64 s[68:69], exec, s[68:69]
	s_cbranch_execz .LBB4_6839
; %bb.6838:                             ;   in Loop: Header=BB4_6192 Depth=3
	v_ffbh_u32_e32 v7, v5
	v_min_u32_e32 v7, 32, v7
	v_mov_b32_e32 v21, v43
	v_subrev_u32_e32 v17, 29, v7
	v_bfe_u32 v0, v20, 2, 5
	v_lshlrev_b64 v[20:21], v17, v[20:21]
	v_sub_u32_e32 v7, 30, v7
	v_and_b32_e32 v17, 3, v20
	v_cmp_eq_u32_e32 vcc, 0, v0
	v_cndmask_b32_e32 v0, v0, v7, vcc
	v_cndmask_b32_e32 v5, v5, v17, vcc
	v_bfrev_b32_e32 v17, 28
	v_lshlrev_b32_e32 v7, 16, v42
	v_lshl_add_u32 v0, v0, 23, v17
	v_and_or_b32 v0, v7, s96, v0
	v_lshl_or_b32 v0, v5, 21, v0
                                        ; implicit-def: $vgpr5
.LBB4_6839:                             ;   in Loop: Header=BB4_6192 Depth=3
	s_andn2_saveexec_b64 s[68:69], s[68:69]
; %bb.6840:                             ;   in Loop: Header=BB4_6192 Depth=3
	v_cmp_lt_i16_e32 vcc, -1, v42
	v_cndmask_b32_e32 v0, v6, v1, vcc
	v_cmp_eq_u32_e32 vcc, 0, v5
	v_mov_b32_e32 v5, 0x7f800001
	v_cndmask_b32_e32 v0, v5, v0, vcc
; %bb.6841:                             ;   in Loop: Header=BB4_6192 Depth=3
	s_or_b64 exec, exec, s[68:69]
.LBB4_6842:                             ;   in Loop: Header=BB4_6192 Depth=3
	s_or_b64 exec, exec, s[28:29]
.LBB4_6843:                             ;   in Loop: Header=BB4_6192 Depth=3
	s_or_b64 exec, exec, s[30:31]
	v_cmp_ne_u16_e32 vcc, 0, v16
	s_and_saveexec_b64 s[28:29], vcc
	s_cbranch_execz .LBB4_6851
; %bb.6844:                             ;   in Loop: Header=BB4_6192 Depth=3
	v_cmp_ne_u16_e32 vcc, s97, v16
	v_bfrev_b32_e32 v2, 1
	s_and_saveexec_b64 s[30:31], vcc
	s_cbranch_execz .LBB4_6850
; %bb.6845:                             ;   in Loop: Header=BB4_6192 Depth=3
	v_and_b32_e32 v2, 0x7c, v16
	v_and_b32_e32 v7, 3, v16
	v_cmp_ne_u32_e32 vcc, s95, v2
                                        ; implicit-def: $vgpr2
	s_and_saveexec_b64 s[68:69], vcc
	s_xor_b64 s[68:69], exec, s[68:69]
	s_cbranch_execz .LBB4_6847
; %bb.6846:                             ;   in Loop: Header=BB4_6192 Depth=3
	v_ffbh_u32_e32 v5, v7
	v_min_u32_e32 v5, 32, v5
	v_mov_b32_e32 v17, v43
	v_subrev_u32_e32 v20, 29, v5
	v_bfe_u32 v2, v16, 2, 5
	v_lshlrev_b64 v[16:17], v20, v[16:17]
	v_sub_u32_e32 v5, 30, v5
	v_and_b32_e32 v16, 3, v16
	v_cmp_eq_u32_e32 vcc, 0, v2
	v_cndmask_b32_e32 v2, v2, v5, vcc
	v_cndmask_b32_e32 v5, v7, v16, vcc
	v_bfrev_b32_e32 v7, 28
	v_lshlrev_b32_e32 v4, 16, v4
	v_lshl_add_u32 v2, v2, 23, v7
	v_and_or_b32 v2, v4, s96, v2
	v_lshl_or_b32 v2, v5, 21, v2
                                        ; implicit-def: $vgpr7
                                        ; implicit-def: $vgpr4_vgpr5
.LBB4_6847:                             ;   in Loop: Header=BB4_6192 Depth=3
	s_andn2_saveexec_b64 s[68:69], s[68:69]
; %bb.6848:                             ;   in Loop: Header=BB4_6192 Depth=3
	v_cmp_lt_i16_e32 vcc, -1, v4
	v_cndmask_b32_e32 v2, v6, v1, vcc
	v_cmp_eq_u32_e32 vcc, 0, v7
	v_mov_b32_e32 v4, 0x7f800001
	v_cndmask_b32_e32 v2, v4, v2, vcc
; %bb.6849:                             ;   in Loop: Header=BB4_6192 Depth=3
	s_or_b64 exec, exec, s[68:69]
.LBB4_6850:                             ;   in Loop: Header=BB4_6192 Depth=3
	s_or_b64 exec, exec, s[30:31]
.LBB4_6851:                             ;   in Loop: Header=BB4_6192 Depth=3
	s_or_b64 exec, exec, s[28:29]
	v_max_f32_e32 v2, v2, v2
	v_max_f32_e32 v0, v0, v0
	v_min_f32_e32 v5, v0, v2
.LBB4_6852:                             ;   in Loop: Header=BB4_6192 Depth=3
	v_and_b32_sdwa v0, v5, s97 dst_sel:DWORD dst_unused:UNUSED_PAD src0_sel:BYTE_3 src1_sel:DWORD
	v_and_b32_e32 v16, 0x7f800000, v5
	v_mov_b32_e32 v17, v43
	v_and_b32_e32 v42, 0x7fffff, v5
	v_or_b32_e32 v2, 0x7b, v0
	v_cmp_ne_u64_e32 vcc, s[52:53], v[16:17]
	s_and_saveexec_b64 s[28:29], vcc
	s_xor_b64 s[30:31], exec, s[28:29]
	s_cbranch_execz .LBB4_6862
; %bb.6853:                             ;   in Loop: Header=BB4_6192 Depth=3
	v_and_b32_e32 v16, 0x7fffffff, v5
	v_mov_b32_e32 v17, v43
	v_cmp_gt_u64_e32 vcc, s[54:55], v[16:17]
	s_and_saveexec_b64 s[68:69], vcc
	s_cbranch_execz .LBB4_6861
; %bb.6854:                             ;   in Loop: Header=BB4_6192 Depth=3
	v_cmp_ne_u32_e32 vcc, 0, v5
	v_mov_b32_e32 v2, 0
	s_and_saveexec_b64 s[70:71], vcc
	s_cbranch_execz .LBB4_6860
; %bb.6855:                             ;   in Loop: Header=BB4_6192 Depth=3
	v_bfe_u32 v2, v5, 23, 8
	v_sub_u32_e32 v5, 0x71, v2
	v_cmp_gt_u32_e32 vcc, s38, v2
	v_add_u32_e32 v4, 0xffffff81, v2
	v_cndmask_b32_e32 v5, 0, v5, vcc
	v_cmp_eq_u32_e32 vcc, 0, v2
	v_mov_b32_e32 v2, 0xffffff82
	v_cndmask_b32_e32 v2, v4, v2, vcc
	v_mov_b32_e32 v4, 0x70
	v_or_b32_e32 v7, 0x800000, v42
	v_cndmask_b32_e32 v16, v5, v4, vcc
	v_cndmask_b32_e32 v42, v7, v42, vcc
	v_add_u32_e32 v4, 21, v16
	v_lshlrev_b64 v[4:5], v4, -1
	v_add_u32_e32 v7, 20, v16
	v_lshrrev_b64 v[36:37], v16, v[42:43]
	v_not_b32_e32 v5, v5
	v_not_b32_e32 v4, v4
	v_lshlrev_b64 v[20:21], v7, 1
	v_lshrrev_b32_e32 v7, 23, v36
	v_and_b32_e32 v5, 0, v5
	v_and_b32_e32 v4, v42, v4
	v_add3_u32 v16, v16, v2, v7
	v_bfe_u32 v2, v36, 21, 1
	v_add_u32_e32 v2, -1, v2
	v_cmp_eq_u64_e32 vcc, v[4:5], v[20:21]
	v_cndmask_b32_e32 v2, 0, v2, vcc
	v_add_u32_e32 v2, v2, v36
	v_and_b32_e32 v2, 0x1fffff, v2
	v_add_co_u32_e32 v4, vcc, v2, v36
	v_add_u32_e32 v7, 14, v16
	v_addc_co_u32_e32 v5, vcc, 0, v37, vcc
	v_cmp_ne_u32_e32 vcc, 0, v7
                                        ; implicit-def: $vgpr2
	s_and_saveexec_b64 s[28:29], vcc
	s_xor_b64 s[28:29], exec, s[28:29]
; %bb.6856:                             ;   in Loop: Header=BB4_6192 Depth=3
	v_add_u32_e32 v2, 15, v16
	v_cmp_lt_u64_e32 vcc, s[56:57], v[4:5]
	v_cndmask_b32_e32 v2, v7, v2, vcc
	v_cndmask_b32_e64 v7, 0, 1, vcc
	v_lshrrev_b64 v[4:5], v7, v[4:5]
; %bb.6857:                             ;   in Loop: Header=BB4_6192 Depth=3
	s_andn2_saveexec_b64 s[28:29], s[28:29]
; %bb.6858:                             ;   in Loop: Header=BB4_6192 Depth=3
	v_bfe_u32 v2, v4, 23, 1
; %bb.6859:                             ;   in Loop: Header=BB4_6192 Depth=3
	s_or_b64 exec, exec, s[28:29]
	v_lshrrev_b64 v[4:5], 21, v[4:5]
	v_cmp_gt_i32_e32 vcc, 32, v2
	v_cndmask_b32_e32 v5, 0, v5, vcc
	v_cndmask_b32_e32 v4, 3, v4, vcc
	v_cmp_eq_u32_e32 vcc, 0, v2
	v_min_i32_e32 v2, 31, v2
	v_cmp_eq_u64_e64 s[28:29], 0, v[4:5]
	v_lshlrev_b32_e32 v2, 2, v2
	v_and_or_b32 v2, v4, 3, v2
	s_and_b64 s[28:29], vcc, s[28:29]
	v_cndmask_b32_e64 v2, v2, 0, s[28:29]
	v_or_b32_e32 v2, v2, v0
.LBB4_6860:                             ;   in Loop: Header=BB4_6192 Depth=3
	s_or_b64 exec, exec, s[70:71]
.LBB4_6861:                             ;   in Loop: Header=BB4_6192 Depth=3
	s_or_b64 exec, exec, s[68:69]
                                        ; implicit-def: $vgpr5
.LBB4_6862:                             ;   in Loop: Header=BB4_6192 Depth=3
	s_andn2_saveexec_b64 s[28:29], s[30:31]
; %bb.6863:                             ;   in Loop: Header=BB4_6192 Depth=3
	v_or_b32_sdwa v0, v5, s39 dst_sel:DWORD dst_unused:UNUSED_PAD src0_sel:BYTE_3 src1_sel:DWORD
	v_cmp_eq_u64_e32 vcc, 0, v[42:43]
	v_cndmask_b32_e32 v2, v0, v2, vcc
; %bb.6864:                             ;   in Loop: Header=BB4_6192 Depth=3
	s_or_b64 exec, exec, s[28:29]
	v_lshrrev_b32_e32 v16, 16, v23
	v_lshrrev_b32_e32 v4, 16, v19
	v_cmp_ne_u16_sdwa s[28:29], v16, v43 src0_sel:BYTE_0 src1_sel:DWORD
	s_and_b64 vcc, exec, s[66:67]
	s_cbranch_vccz .LBB4_6882
; %bb.6865:                             ;   in Loop: Header=BB4_6192 Depth=3
	v_mov_b32_e32 v5, 0
	v_mov_b32_e32 v0, 0
	s_and_saveexec_b64 s[30:31], s[28:29]
	s_cbranch_execz .LBB4_6873
; %bb.6866:                             ;   in Loop: Header=BB4_6192 Depth=3
	v_cmp_ne_u16_sdwa vcc, v16, s97 src0_sel:BYTE_0 src1_sel:DWORD
	v_bfrev_b32_e32 v0, 1
	s_and_saveexec_b64 s[68:69], vcc
	s_cbranch_execz .LBB4_6872
; %bb.6867:                             ;   in Loop: Header=BB4_6192 Depth=3
	v_and_b32_e32 v0, 0x7c0000, v23
	v_bfe_u32 v7, v23, 16, 2
	v_cmp_ne_u32_e32 vcc, s36, v0
                                        ; implicit-def: $vgpr0
	s_and_saveexec_b64 s[70:71], vcc
	s_xor_b64 s[70:71], exec, s[70:71]
	s_cbranch_execz .LBB4_6869
; %bb.6868:                             ;   in Loop: Header=BB4_6192 Depth=3
	v_ffbh_u32_e32 v17, v7
	v_min_u32_e32 v17, 32, v17
	v_subrev_u32_e32 v20, 29, v17
	v_bfe_u32 v0, v23, 18, 5
	v_lshlrev_b64 v[20:21], v20, v[16:17]
	v_sub_u32_e32 v17, 30, v17
	v_and_b32_e32 v20, 3, v20
	v_cmp_eq_u32_e32 vcc, 0, v0
	v_cndmask_b32_e32 v0, v0, v17, vcc
	v_cndmask_b32_e32 v7, v7, v20, vcc
	v_bfrev_b32_e32 v20, 28
	v_lshlrev_b32_e32 v17, 24, v16
	v_lshl_add_u32 v0, v0, 23, v20
	v_and_or_b32 v0, v17, s96, v0
	v_lshl_or_b32 v0, v7, 21, v0
                                        ; implicit-def: $vgpr7
.LBB4_6869:                             ;   in Loop: Header=BB4_6192 Depth=3
	s_andn2_saveexec_b64 s[70:71], s[70:71]
; %bb.6870:                             ;   in Loop: Header=BB4_6192 Depth=3
	v_mov_b32_e32 v0, -1
	v_cmp_gt_i16_sdwa vcc, sext(v16), v0 src0_sel:BYTE_0 src1_sel:DWORD
	v_cndmask_b32_e32 v0, v6, v1, vcc
	v_cmp_eq_u32_e32 vcc, 0, v7
	v_mov_b32_e32 v7, 0x7f800001
	v_cndmask_b32_e32 v0, v7, v0, vcc
; %bb.6871:                             ;   in Loop: Header=BB4_6192 Depth=3
	s_or_b64 exec, exec, s[70:71]
.LBB4_6872:                             ;   in Loop: Header=BB4_6192 Depth=3
	s_or_b64 exec, exec, s[68:69]
.LBB4_6873:                             ;   in Loop: Header=BB4_6192 Depth=3
	s_or_b64 exec, exec, s[30:31]
	v_cmp_ne_u16_sdwa vcc, v4, v43 src0_sel:BYTE_0 src1_sel:DWORD
	s_and_saveexec_b64 s[30:31], vcc
	s_cbranch_execz .LBB4_6881
; %bb.6874:                             ;   in Loop: Header=BB4_6192 Depth=3
	v_cmp_ne_u16_sdwa vcc, v4, s97 src0_sel:BYTE_0 src1_sel:DWORD
	v_bfrev_b32_e32 v5, 1
	s_and_saveexec_b64 s[68:69], vcc
	s_cbranch_execz .LBB4_6880
; %bb.6875:                             ;   in Loop: Header=BB4_6192 Depth=3
	v_and_b32_e32 v5, 0x7c0000, v19
	v_bfe_u32 v7, v19, 16, 2
	v_cmp_ne_u32_e32 vcc, s36, v5
                                        ; implicit-def: $vgpr5
	s_and_saveexec_b64 s[70:71], vcc
	s_xor_b64 s[70:71], exec, s[70:71]
	s_cbranch_execz .LBB4_6877
; %bb.6876:                             ;   in Loop: Header=BB4_6192 Depth=3
	v_ffbh_u32_e32 v17, v7
	v_min_u32_e32 v17, 32, v17
	v_bfe_u32 v5, v19, 18, 5
	v_subrev_u32_e32 v20, 29, v17
	v_lshlrev_b64 v[20:21], v20, v[4:5]
	v_sub_u32_e32 v17, 30, v17
	v_and_b32_e32 v20, 3, v20
	v_cmp_eq_u32_e32 vcc, 0, v5
	v_cndmask_b32_e32 v5, v5, v17, vcc
	v_cndmask_b32_e32 v7, v7, v20, vcc
	v_bfrev_b32_e32 v20, 28
	v_lshlrev_b32_e32 v17, 24, v4
	v_lshl_add_u32 v5, v5, 23, v20
	v_and_or_b32 v5, v17, s96, v5
	v_lshl_or_b32 v5, v7, 21, v5
                                        ; implicit-def: $vgpr7
.LBB4_6877:                             ;   in Loop: Header=BB4_6192 Depth=3
	s_andn2_saveexec_b64 s[70:71], s[70:71]
; %bb.6878:                             ;   in Loop: Header=BB4_6192 Depth=3
	v_mov_b32_e32 v5, -1
	v_cmp_gt_i16_sdwa vcc, sext(v4), v5 src0_sel:BYTE_0 src1_sel:DWORD
	v_cndmask_b32_e32 v5, v6, v1, vcc
	v_cmp_eq_u32_e32 vcc, 0, v7
	v_mov_b32_e32 v7, 0x7f800001
	v_cndmask_b32_e32 v5, v7, v5, vcc
; %bb.6879:                             ;   in Loop: Header=BB4_6192 Depth=3
	s_or_b64 exec, exec, s[70:71]
.LBB4_6880:                             ;   in Loop: Header=BB4_6192 Depth=3
	s_or_b64 exec, exec, s[68:69]
.LBB4_6881:                             ;   in Loop: Header=BB4_6192 Depth=3
	s_or_b64 exec, exec, s[30:31]
	v_max_f32_e32 v5, v5, v5
	v_max_f32_e32 v0, v0, v0
	;; [unrolled: 1-line block ×3, first 2 shown]
	s_branch .LBB4_6900
.LBB4_6882:                             ;   in Loop: Header=BB4_6192 Depth=3
                                        ; implicit-def: $vgpr5
	s_cbranch_execz .LBB4_6900
; %bb.6883:                             ;   in Loop: Header=BB4_6192 Depth=3
	v_mov_b32_e32 v5, 0
	v_mov_b32_e32 v0, 0
	s_and_saveexec_b64 s[30:31], s[28:29]
	s_cbranch_execz .LBB4_6891
; %bb.6884:                             ;   in Loop: Header=BB4_6192 Depth=3
	v_cmp_ne_u16_sdwa vcc, v16, s97 src0_sel:BYTE_0 src1_sel:DWORD
	v_bfrev_b32_e32 v0, 1
	s_and_saveexec_b64 s[28:29], vcc
	s_cbranch_execz .LBB4_6890
; %bb.6885:                             ;   in Loop: Header=BB4_6192 Depth=3
	v_and_b32_e32 v0, 0x7c0000, v23
	v_bfe_u32 v7, v23, 16, 2
	v_cmp_ne_u32_e32 vcc, s36, v0
                                        ; implicit-def: $vgpr0
	s_and_saveexec_b64 s[68:69], vcc
	s_xor_b64 s[68:69], exec, s[68:69]
	s_cbranch_execz .LBB4_6887
; %bb.6886:                             ;   in Loop: Header=BB4_6192 Depth=3
	v_ffbh_u32_e32 v17, v7
	v_min_u32_e32 v17, 32, v17
	v_bfe_u32 v0, v23, 18, 5
	v_subrev_u32_e32 v20, 29, v17
	v_lshlrev_b64 v[20:21], v20, v[16:17]
	v_sub_u32_e32 v17, 30, v17
	v_cmp_eq_u32_e32 vcc, 0, v0
	v_cndmask_b32_e32 v0, v0, v17, vcc
	v_bfrev_b32_e32 v17, 28
	v_and_b32_e32 v20, 3, v20
	v_lshlrev_b32_e32 v16, 24, v16
	v_lshl_add_u32 v0, v0, 23, v17
	v_cndmask_b32_e32 v7, v7, v20, vcc
	v_and_or_b32 v0, v16, s96, v0
	v_lshl_or_b32 v0, v7, 21, v0
                                        ; implicit-def: $vgpr7
                                        ; implicit-def: $vgpr16
.LBB4_6887:                             ;   in Loop: Header=BB4_6192 Depth=3
	s_andn2_saveexec_b64 s[68:69], s[68:69]
; %bb.6888:                             ;   in Loop: Header=BB4_6192 Depth=3
	v_mov_b32_e32 v0, -1
	v_cmp_gt_i16_sdwa vcc, sext(v16), v0 src0_sel:BYTE_0 src1_sel:DWORD
	v_cndmask_b32_e32 v0, v6, v1, vcc
	v_cmp_eq_u32_e32 vcc, 0, v7
	v_mov_b32_e32 v7, 0x7f800001
	v_cndmask_b32_e32 v0, v7, v0, vcc
; %bb.6889:                             ;   in Loop: Header=BB4_6192 Depth=3
	s_or_b64 exec, exec, s[68:69]
.LBB4_6890:                             ;   in Loop: Header=BB4_6192 Depth=3
	s_or_b64 exec, exec, s[28:29]
.LBB4_6891:                             ;   in Loop: Header=BB4_6192 Depth=3
	s_or_b64 exec, exec, s[30:31]
	v_cmp_ne_u16_sdwa vcc, v4, v43 src0_sel:BYTE_0 src1_sel:DWORD
	s_and_saveexec_b64 s[28:29], vcc
	s_cbranch_execz .LBB4_6899
; %bb.6892:                             ;   in Loop: Header=BB4_6192 Depth=3
	v_cmp_ne_u16_sdwa vcc, v4, s97 src0_sel:BYTE_0 src1_sel:DWORD
	v_bfrev_b32_e32 v5, 1
	s_and_saveexec_b64 s[30:31], vcc
	s_cbranch_execz .LBB4_6898
; %bb.6893:                             ;   in Loop: Header=BB4_6192 Depth=3
	v_and_b32_e32 v5, 0x7c0000, v19
	v_bfe_u32 v7, v19, 16, 2
	v_cmp_ne_u32_e32 vcc, s36, v5
                                        ; implicit-def: $vgpr5
	s_and_saveexec_b64 s[68:69], vcc
	s_xor_b64 s[68:69], exec, s[68:69]
	s_cbranch_execz .LBB4_6895
; %bb.6894:                             ;   in Loop: Header=BB4_6192 Depth=3
	v_ffbh_u32_e32 v16, v7
	v_min_u32_e32 v20, 32, v16
	v_bfe_u32 v5, v19, 18, 5
	v_subrev_u32_e32 v16, 29, v20
	v_lshlrev_b64 v[16:17], v16, v[4:5]
	v_sub_u32_e32 v17, 30, v20
	v_and_b32_e32 v16, 3, v16
	v_cmp_eq_u32_e32 vcc, 0, v5
	v_cndmask_b32_e32 v5, v5, v17, vcc
	v_cndmask_b32_e32 v7, v7, v16, vcc
	v_bfrev_b32_e32 v16, 28
	v_lshlrev_b32_e32 v4, 24, v4
	v_lshl_add_u32 v5, v5, 23, v16
	v_and_or_b32 v4, v4, s96, v5
	v_lshl_or_b32 v5, v7, 21, v4
                                        ; implicit-def: $vgpr7
                                        ; implicit-def: $vgpr4
.LBB4_6895:                             ;   in Loop: Header=BB4_6192 Depth=3
	s_andn2_saveexec_b64 s[68:69], s[68:69]
; %bb.6896:                             ;   in Loop: Header=BB4_6192 Depth=3
	v_mov_b32_e32 v5, -1
	v_cmp_gt_i16_sdwa vcc, sext(v4), v5 src0_sel:BYTE_0 src1_sel:DWORD
	v_cndmask_b32_e32 v4, v6, v1, vcc
	v_cmp_eq_u32_e32 vcc, 0, v7
	v_mov_b32_e32 v5, 0x7f800001
	v_cndmask_b32_e32 v5, v5, v4, vcc
; %bb.6897:                             ;   in Loop: Header=BB4_6192 Depth=3
	s_or_b64 exec, exec, s[68:69]
.LBB4_6898:                             ;   in Loop: Header=BB4_6192 Depth=3
	s_or_b64 exec, exec, s[30:31]
.LBB4_6899:                             ;   in Loop: Header=BB4_6192 Depth=3
	s_or_b64 exec, exec, s[28:29]
	v_max_f32_e32 v4, v5, v5
	v_max_f32_e32 v0, v0, v0
	v_min_f32_e32 v5, v0, v4
.LBB4_6900:                             ;   in Loop: Header=BB4_6192 Depth=3
	v_and_b32_sdwa v0, v5, s97 dst_sel:DWORD dst_unused:UNUSED_PAD src0_sel:BYTE_3 src1_sel:DWORD
	v_and_b32_e32 v16, 0x7f800000, v5
	v_mov_b32_e32 v17, v43
	v_and_b32_e32 v42, 0x7fffff, v5
	v_or_b32_e32 v20, 0x7b, v0
	v_cmp_ne_u64_e32 vcc, s[52:53], v[16:17]
	s_and_saveexec_b64 s[28:29], vcc
	s_xor_b64 s[30:31], exec, s[28:29]
	s_cbranch_execz .LBB4_6910
; %bb.6901:                             ;   in Loop: Header=BB4_6192 Depth=3
	v_and_b32_e32 v16, 0x7fffffff, v5
	v_mov_b32_e32 v17, v43
	v_cmp_gt_u64_e32 vcc, s[54:55], v[16:17]
	s_and_saveexec_b64 s[68:69], vcc
	s_cbranch_execz .LBB4_6909
; %bb.6902:                             ;   in Loop: Header=BB4_6192 Depth=3
	v_cmp_ne_u32_e32 vcc, 0, v5
	v_mov_b32_e32 v20, 0
	s_and_saveexec_b64 s[70:71], vcc
	s_cbranch_execz .LBB4_6908
; %bb.6903:                             ;   in Loop: Header=BB4_6192 Depth=3
	v_bfe_u32 v4, v5, 23, 8
	v_sub_u32_e32 v7, 0x71, v4
	v_cmp_gt_u32_e32 vcc, s38, v4
	v_add_u32_e32 v5, 0xffffff81, v4
	v_cndmask_b32_e32 v7, 0, v7, vcc
	v_cmp_eq_u32_e32 vcc, 0, v4
	v_mov_b32_e32 v4, 0xffffff82
	v_cndmask_b32_e32 v17, v5, v4, vcc
	v_mov_b32_e32 v4, 0x70
	v_or_b32_e32 v16, 0x800000, v42
	v_cndmask_b32_e32 v7, v7, v4, vcc
	v_cndmask_b32_e32 v42, v16, v42, vcc
	v_add_u32_e32 v4, 21, v7
	v_lshlrev_b64 v[4:5], v4, -1
	v_add_u32_e32 v16, 20, v7
	v_lshrrev_b64 v[36:37], v7, v[42:43]
	v_not_b32_e32 v5, v5
	v_not_b32_e32 v4, v4
	v_lshlrev_b64 v[20:21], v16, 1
	v_lshrrev_b32_e32 v16, 23, v36
	v_and_b32_e32 v5, 0, v5
	v_and_b32_e32 v4, v42, v4
	v_add3_u32 v17, v7, v17, v16
	v_bfe_u32 v7, v36, 21, 1
	v_add_u32_e32 v7, -1, v7
	v_cmp_eq_u64_e32 vcc, v[4:5], v[20:21]
	v_cndmask_b32_e32 v4, 0, v7, vcc
	v_add_u32_e32 v4, v4, v36
	v_and_b32_e32 v4, 0x1fffff, v4
	v_add_co_u32_e32 v4, vcc, v4, v36
	v_add_u32_e32 v16, 14, v17
	v_addc_co_u32_e32 v5, vcc, 0, v37, vcc
	v_cmp_ne_u32_e32 vcc, 0, v16
                                        ; implicit-def: $vgpr7
	s_and_saveexec_b64 s[28:29], vcc
	s_xor_b64 s[28:29], exec, s[28:29]
; %bb.6904:                             ;   in Loop: Header=BB4_6192 Depth=3
	v_add_u32_e32 v7, 15, v17
	v_cmp_lt_u64_e32 vcc, s[56:57], v[4:5]
	v_cndmask_b32_e32 v7, v16, v7, vcc
	v_cndmask_b32_e64 v16, 0, 1, vcc
	v_lshrrev_b64 v[4:5], v16, v[4:5]
; %bb.6905:                             ;   in Loop: Header=BB4_6192 Depth=3
	s_andn2_saveexec_b64 s[28:29], s[28:29]
; %bb.6906:                             ;   in Loop: Header=BB4_6192 Depth=3
	v_bfe_u32 v7, v4, 23, 1
; %bb.6907:                             ;   in Loop: Header=BB4_6192 Depth=3
	s_or_b64 exec, exec, s[28:29]
	v_lshrrev_b64 v[4:5], 21, v[4:5]
	v_cmp_gt_i32_e32 vcc, 32, v7
	v_cndmask_b32_e32 v5, 0, v5, vcc
	v_cndmask_b32_e32 v4, 3, v4, vcc
	v_cmp_eq_u64_e64 s[28:29], 0, v[4:5]
	v_min_i32_e32 v5, 31, v7
	v_cmp_eq_u32_e32 vcc, 0, v7
	v_lshlrev_b32_e32 v5, 2, v5
	v_and_or_b32 v4, v4, 3, v5
	s_and_b64 s[28:29], vcc, s[28:29]
	v_cndmask_b32_e64 v4, v4, 0, s[28:29]
	v_or_b32_e32 v20, v4, v0
.LBB4_6908:                             ;   in Loop: Header=BB4_6192 Depth=3
	s_or_b64 exec, exec, s[70:71]
.LBB4_6909:                             ;   in Loop: Header=BB4_6192 Depth=3
	s_or_b64 exec, exec, s[68:69]
                                        ; implicit-def: $vgpr5
.LBB4_6910:                             ;   in Loop: Header=BB4_6192 Depth=3
	s_andn2_saveexec_b64 s[28:29], s[30:31]
; %bb.6911:                             ;   in Loop: Header=BB4_6192 Depth=3
	v_or_b32_sdwa v0, v5, s39 dst_sel:DWORD dst_unused:UNUSED_PAD src0_sel:BYTE_3 src1_sel:DWORD
	v_cmp_eq_u64_e32 vcc, 0, v[42:43]
	v_cndmask_b32_e32 v20, v0, v20, vcc
; %bb.6912:                             ;   in Loop: Header=BB4_6192 Depth=3
	s_or_b64 exec, exec, s[28:29]
	v_lshrrev_b32_e32 v16, 24, v23
	v_lshrrev_b32_e32 v4, 24, v19
	v_cmp_lt_u64_e64 s[28:29], s[42:43], v[22:23]
	s_and_b64 vcc, exec, s[66:67]
	s_cbranch_vccz .LBB4_6930
; %bb.6913:                             ;   in Loop: Header=BB4_6192 Depth=3
	v_mov_b32_e32 v5, 0
	v_mov_b32_e32 v0, 0
	s_and_saveexec_b64 s[30:31], s[28:29]
	s_cbranch_execz .LBB4_6921
; %bb.6914:                             ;   in Loop: Header=BB4_6192 Depth=3
	v_cmp_ne_u32_e32 vcc, s97, v16
	v_bfrev_b32_e32 v0, 1
	s_and_saveexec_b64 s[68:69], vcc
	s_cbranch_execz .LBB4_6920
; %bb.6915:                             ;   in Loop: Header=BB4_6192 Depth=3
	v_and_b32_e32 v0, 0x7c000000, v23
	v_bfe_u32 v7, v23, 24, 2
	v_cmp_ne_u32_e32 vcc, s37, v0
                                        ; implicit-def: $vgpr0
	s_and_saveexec_b64 s[70:71], vcc
	s_xor_b64 s[70:71], exec, s[70:71]
	s_cbranch_execz .LBB4_6917
; %bb.6916:                             ;   in Loop: Header=BB4_6192 Depth=3
	v_ffbh_u32_e32 v17, v7
	v_min_u32_e32 v17, 32, v17
	v_bfe_u32 v0, v23, 26, 5
	v_subrev_u32_e32 v21, 29, v17
	v_lshlrev_b64 v[36:37], v21, v[16:17]
	v_sub_u32_e32 v17, 30, v17
	v_cmp_eq_u32_e32 vcc, 0, v0
	v_cndmask_b32_e32 v0, v0, v17, vcc
	v_bfrev_b32_e32 v17, 28
	v_and_b32_e32 v21, 3, v36
	v_lshl_add_u32 v0, v0, 23, v17
	v_cndmask_b32_e32 v7, v7, v21, vcc
	v_and_or_b32 v0, v23, s96, v0
	v_lshl_or_b32 v0, v7, 21, v0
                                        ; implicit-def: $vgpr7
.LBB4_6917:                             ;   in Loop: Header=BB4_6192 Depth=3
	s_andn2_saveexec_b64 s[70:71], s[70:71]
; %bb.6918:                             ;   in Loop: Header=BB4_6192 Depth=3
	v_cmp_lt_i64_e32 vcc, -1, v[22:23]
	v_cndmask_b32_e32 v0, v6, v1, vcc
	v_cmp_eq_u32_e32 vcc, 0, v7
	v_mov_b32_e32 v7, 0x7f800001
	v_cndmask_b32_e32 v0, v7, v0, vcc
; %bb.6919:                             ;   in Loop: Header=BB4_6192 Depth=3
	s_or_b64 exec, exec, s[70:71]
.LBB4_6920:                             ;   in Loop: Header=BB4_6192 Depth=3
	s_or_b64 exec, exec, s[68:69]
.LBB4_6921:                             ;   in Loop: Header=BB4_6192 Depth=3
	s_or_b64 exec, exec, s[30:31]
	v_cmp_lt_u64_e32 vcc, s[42:43], v[18:19]
	s_and_saveexec_b64 s[30:31], vcc
	s_cbranch_execz .LBB4_6929
; %bb.6922:                             ;   in Loop: Header=BB4_6192 Depth=3
	v_cmp_ne_u32_e32 vcc, s97, v4
	v_bfrev_b32_e32 v5, 1
	s_and_saveexec_b64 s[68:69], vcc
	s_cbranch_execz .LBB4_6928
; %bb.6923:                             ;   in Loop: Header=BB4_6192 Depth=3
	v_and_b32_e32 v5, 0x7c000000, v19
	v_bfe_u32 v7, v19, 24, 2
	v_cmp_ne_u32_e32 vcc, s37, v5
                                        ; implicit-def: $vgpr5
	s_and_saveexec_b64 s[70:71], vcc
	s_xor_b64 s[70:71], exec, s[70:71]
	s_cbranch_execz .LBB4_6925
; %bb.6924:                             ;   in Loop: Header=BB4_6192 Depth=3
	v_ffbh_u32_e32 v17, v7
	v_bfe_u32 v5, v19, 26, 5
	v_min_u32_e32 v17, 32, v17
	v_subrev_u32_e32 v21, 29, v17
	v_sub_u32_e32 v17, 30, v17
	v_cmp_eq_u32_e32 vcc, 0, v5
	v_lshlrev_b64 v[36:37], v21, v[4:5]
	v_cndmask_b32_e32 v5, v5, v17, vcc
	v_bfrev_b32_e32 v17, 28
	v_and_b32_e32 v21, 3, v36
	v_lshl_add_u32 v5, v5, 23, v17
	v_cndmask_b32_e32 v7, v7, v21, vcc
	v_and_or_b32 v5, v19, s96, v5
	v_lshl_or_b32 v5, v7, 21, v5
                                        ; implicit-def: $vgpr7
.LBB4_6925:                             ;   in Loop: Header=BB4_6192 Depth=3
	s_andn2_saveexec_b64 s[70:71], s[70:71]
; %bb.6926:                             ;   in Loop: Header=BB4_6192 Depth=3
	v_cmp_lt_i64_e32 vcc, -1, v[18:19]
	v_cndmask_b32_e32 v5, v6, v1, vcc
	v_cmp_eq_u32_e32 vcc, 0, v7
	v_mov_b32_e32 v7, 0x7f800001
	v_cndmask_b32_e32 v5, v7, v5, vcc
; %bb.6927:                             ;   in Loop: Header=BB4_6192 Depth=3
	s_or_b64 exec, exec, s[70:71]
.LBB4_6928:                             ;   in Loop: Header=BB4_6192 Depth=3
	s_or_b64 exec, exec, s[68:69]
.LBB4_6929:                             ;   in Loop: Header=BB4_6192 Depth=3
	s_or_b64 exec, exec, s[30:31]
	v_max_f32_e32 v5, v5, v5
	v_max_f32_e32 v0, v0, v0
	;; [unrolled: 1-line block ×3, first 2 shown]
	s_branch .LBB4_6948
.LBB4_6930:                             ;   in Loop: Header=BB4_6192 Depth=3
                                        ; implicit-def: $vgpr5
	s_cbranch_execz .LBB4_6948
; %bb.6931:                             ;   in Loop: Header=BB4_6192 Depth=3
	v_mov_b32_e32 v5, 0
	v_mov_b32_e32 v0, 0
	s_and_saveexec_b64 s[30:31], s[28:29]
	s_cbranch_execz .LBB4_6939
; %bb.6932:                             ;   in Loop: Header=BB4_6192 Depth=3
	v_cmp_ne_u32_e32 vcc, s97, v16
	v_bfrev_b32_e32 v0, 1
	s_and_saveexec_b64 s[28:29], vcc
	s_cbranch_execz .LBB4_6938
; %bb.6933:                             ;   in Loop: Header=BB4_6192 Depth=3
	v_and_b32_e32 v0, 0x7c000000, v23
	v_bfe_u32 v7, v23, 24, 2
	v_cmp_ne_u32_e32 vcc, s37, v0
                                        ; implicit-def: $vgpr0
	s_and_saveexec_b64 s[68:69], vcc
	s_xor_b64 s[68:69], exec, s[68:69]
	s_cbranch_execz .LBB4_6935
; %bb.6934:                             ;   in Loop: Header=BB4_6192 Depth=3
	v_ffbh_u32_e32 v17, v7
	v_min_u32_e32 v21, 32, v17
	v_subrev_u32_e32 v17, 29, v21
	v_bfe_u32 v0, v23, 26, 5
	v_lshlrev_b64 v[16:17], v17, v[16:17]
	v_sub_u32_e32 v17, 30, v21
	v_and_b32_e32 v16, 3, v16
	v_cmp_eq_u32_e32 vcc, 0, v0
	v_cndmask_b32_e32 v0, v0, v17, vcc
	v_cndmask_b32_e32 v7, v7, v16, vcc
	v_bfrev_b32_e32 v16, 28
	v_lshl_add_u32 v0, v0, 23, v16
	v_and_or_b32 v0, v23, s96, v0
	v_lshl_or_b32 v0, v7, 21, v0
                                        ; implicit-def: $vgpr7
                                        ; implicit-def: $vgpr22_vgpr23
.LBB4_6935:                             ;   in Loop: Header=BB4_6192 Depth=3
	s_andn2_saveexec_b64 s[68:69], s[68:69]
; %bb.6936:                             ;   in Loop: Header=BB4_6192 Depth=3
	v_cmp_lt_i64_e32 vcc, -1, v[22:23]
	v_cndmask_b32_e32 v0, v6, v1, vcc
	v_cmp_eq_u32_e32 vcc, 0, v7
	v_mov_b32_e32 v7, 0x7f800001
	v_cndmask_b32_e32 v0, v7, v0, vcc
; %bb.6937:                             ;   in Loop: Header=BB4_6192 Depth=3
	s_or_b64 exec, exec, s[68:69]
.LBB4_6938:                             ;   in Loop: Header=BB4_6192 Depth=3
	s_or_b64 exec, exec, s[28:29]
.LBB4_6939:                             ;   in Loop: Header=BB4_6192 Depth=3
	s_or_b64 exec, exec, s[30:31]
	v_cmp_lt_u64_e32 vcc, s[42:43], v[18:19]
	s_and_saveexec_b64 s[28:29], vcc
	s_cbranch_execz .LBB4_6947
; %bb.6940:                             ;   in Loop: Header=BB4_6192 Depth=3
	v_cmp_ne_u32_e32 vcc, s97, v4
	v_bfrev_b32_e32 v5, 1
	s_and_saveexec_b64 s[30:31], vcc
	s_cbranch_execz .LBB4_6946
; %bb.6941:                             ;   in Loop: Header=BB4_6192 Depth=3
	v_and_b32_e32 v5, 0x7c000000, v19
	v_bfe_u32 v7, v19, 24, 2
	v_cmp_ne_u32_e32 vcc, s37, v5
                                        ; implicit-def: $vgpr5
	s_and_saveexec_b64 s[68:69], vcc
	s_xor_b64 s[68:69], exec, s[68:69]
	s_cbranch_execz .LBB4_6943
; %bb.6942:                             ;   in Loop: Header=BB4_6192 Depth=3
	v_ffbh_u32_e32 v5, v7
	v_min_u32_e32 v17, 32, v5
	v_subrev_u32_e32 v5, 29, v17
	v_bfe_u32 v16, v19, 26, 5
	v_lshlrev_b64 v[4:5], v5, v[4:5]
	v_sub_u32_e32 v5, 30, v17
	v_and_b32_e32 v4, 3, v4
	v_cmp_eq_u32_e32 vcc, 0, v16
	v_cndmask_b32_e32 v5, v16, v5, vcc
	v_cndmask_b32_e32 v4, v7, v4, vcc
	v_bfrev_b32_e32 v7, 28
	v_lshl_add_u32 v5, v5, 23, v7
	v_and_or_b32 v5, v19, s96, v5
	v_lshl_or_b32 v5, v4, 21, v5
                                        ; implicit-def: $vgpr7
                                        ; implicit-def: $vgpr18_vgpr19
.LBB4_6943:                             ;   in Loop: Header=BB4_6192 Depth=3
	s_andn2_saveexec_b64 s[68:69], s[68:69]
; %bb.6944:                             ;   in Loop: Header=BB4_6192 Depth=3
	v_cmp_lt_i64_e32 vcc, -1, v[18:19]
	v_cndmask_b32_e32 v4, v6, v1, vcc
	v_cmp_eq_u32_e32 vcc, 0, v7
	v_mov_b32_e32 v5, 0x7f800001
	v_cndmask_b32_e32 v5, v5, v4, vcc
; %bb.6945:                             ;   in Loop: Header=BB4_6192 Depth=3
	s_or_b64 exec, exec, s[68:69]
.LBB4_6946:                             ;   in Loop: Header=BB4_6192 Depth=3
	s_or_b64 exec, exec, s[30:31]
.LBB4_6947:                             ;   in Loop: Header=BB4_6192 Depth=3
	s_or_b64 exec, exec, s[28:29]
	v_max_f32_e32 v4, v5, v5
	v_max_f32_e32 v0, v0, v0
	v_min_f32_e32 v5, v0, v4
.LBB4_6948:                             ;   in Loop: Header=BB4_6192 Depth=3
	v_and_b32_sdwa v0, v5, s97 dst_sel:DWORD dst_unused:UNUSED_PAD src0_sel:BYTE_3 src1_sel:DWORD
	v_and_b32_e32 v16, 0x7f800000, v5
	v_mov_b32_e32 v17, v43
	v_and_b32_e32 v42, 0x7fffff, v5
	v_or_b32_e32 v21, 0x7b, v0
	v_cmp_ne_u64_e32 vcc, s[52:53], v[16:17]
	s_and_saveexec_b64 s[28:29], vcc
	s_xor_b64 s[30:31], exec, s[28:29]
	s_cbranch_execz .LBB4_6958
; %bb.6949:                             ;   in Loop: Header=BB4_6192 Depth=3
	v_and_b32_e32 v16, 0x7fffffff, v5
	v_mov_b32_e32 v17, v43
	v_cmp_gt_u64_e32 vcc, s[54:55], v[16:17]
	s_and_saveexec_b64 s[68:69], vcc
	s_cbranch_execz .LBB4_6957
; %bb.6950:                             ;   in Loop: Header=BB4_6192 Depth=3
	v_cmp_ne_u32_e32 vcc, 0, v5
	v_mov_b32_e32 v21, 0
	s_and_saveexec_b64 s[70:71], vcc
	s_cbranch_execz .LBB4_6956
; %bb.6951:                             ;   in Loop: Header=BB4_6192 Depth=3
	v_bfe_u32 v4, v5, 23, 8
	v_sub_u32_e32 v7, 0x71, v4
	v_cmp_gt_u32_e32 vcc, s38, v4
	v_add_u32_e32 v5, 0xffffff81, v4
	v_cndmask_b32_e32 v7, 0, v7, vcc
	v_cmp_eq_u32_e32 vcc, 0, v4
	v_mov_b32_e32 v4, 0xffffff82
	v_cndmask_b32_e32 v17, v5, v4, vcc
	v_mov_b32_e32 v4, 0x70
	v_or_b32_e32 v16, 0x800000, v42
	v_cndmask_b32_e32 v7, v7, v4, vcc
	v_cndmask_b32_e32 v42, v16, v42, vcc
	v_add_u32_e32 v4, 21, v7
	v_lshlrev_b64 v[4:5], v4, -1
	v_add_u32_e32 v16, 20, v7
	v_lshrrev_b64 v[22:23], v7, v[42:43]
	v_not_b32_e32 v5, v5
	v_not_b32_e32 v4, v4
	v_lshlrev_b64 v[18:19], v16, 1
	v_lshrrev_b32_e32 v16, 23, v22
	v_and_b32_e32 v5, 0, v5
	v_and_b32_e32 v4, v42, v4
	v_add3_u32 v17, v7, v17, v16
	v_bfe_u32 v7, v22, 21, 1
	v_add_u32_e32 v7, -1, v7
	v_cmp_eq_u64_e32 vcc, v[4:5], v[18:19]
	v_cndmask_b32_e32 v4, 0, v7, vcc
	v_add_u32_e32 v4, v4, v22
	v_and_b32_e32 v4, 0x1fffff, v4
	v_add_co_u32_e32 v4, vcc, v4, v22
	v_add_u32_e32 v16, 14, v17
	v_addc_co_u32_e32 v5, vcc, 0, v23, vcc
	v_cmp_ne_u32_e32 vcc, 0, v16
                                        ; implicit-def: $vgpr7
	s_and_saveexec_b64 s[28:29], vcc
	s_xor_b64 s[28:29], exec, s[28:29]
; %bb.6952:                             ;   in Loop: Header=BB4_6192 Depth=3
	v_add_u32_e32 v7, 15, v17
	v_cmp_lt_u64_e32 vcc, s[56:57], v[4:5]
	v_cndmask_b32_e32 v7, v16, v7, vcc
	v_cndmask_b32_e64 v16, 0, 1, vcc
	v_lshrrev_b64 v[4:5], v16, v[4:5]
; %bb.6953:                             ;   in Loop: Header=BB4_6192 Depth=3
	s_andn2_saveexec_b64 s[28:29], s[28:29]
; %bb.6954:                             ;   in Loop: Header=BB4_6192 Depth=3
	v_bfe_u32 v7, v4, 23, 1
; %bb.6955:                             ;   in Loop: Header=BB4_6192 Depth=3
	s_or_b64 exec, exec, s[28:29]
	v_lshrrev_b64 v[4:5], 21, v[4:5]
	v_cmp_gt_i32_e32 vcc, 32, v7
	v_cndmask_b32_e32 v5, 0, v5, vcc
	v_cndmask_b32_e32 v4, 3, v4, vcc
	v_cmp_eq_u64_e64 s[28:29], 0, v[4:5]
	v_min_i32_e32 v5, 31, v7
	v_lshlrev_b32_e32 v5, 2, v5
	v_cmp_eq_u32_e32 vcc, 0, v7
	v_and_b32_e32 v5, 0xfc, v5
	v_and_or_b32 v4, v4, 3, v5
	s_and_b64 s[28:29], vcc, s[28:29]
	v_cndmask_b32_e64 v4, v4, 0, s[28:29]
	v_or_b32_e32 v21, v4, v0
.LBB4_6956:                             ;   in Loop: Header=BB4_6192 Depth=3
	s_or_b64 exec, exec, s[70:71]
.LBB4_6957:                             ;   in Loop: Header=BB4_6192 Depth=3
	s_or_b64 exec, exec, s[68:69]
                                        ; implicit-def: $vgpr5
.LBB4_6958:                             ;   in Loop: Header=BB4_6192 Depth=3
	s_andn2_saveexec_b64 s[28:29], s[30:31]
; %bb.6959:                             ;   in Loop: Header=BB4_6192 Depth=3
	v_or_b32_sdwa v0, v5, s39 dst_sel:DWORD dst_unused:UNUSED_PAD src0_sel:BYTE_3 src1_sel:DWORD
	v_cmp_eq_u64_e32 vcc, 0, v[42:43]
	v_cndmask_b32_e32 v21, v0, v21, vcc
; %bb.6960:                             ;   in Loop: Header=BB4_6192 Depth=3
	s_or_b64 exec, exec, s[28:29]
	v_cndmask_b32_e64 v0, 0, 1, s[66:67]
	v_cmp_ne_u32_e64 s[28:29], 1, v0
	s_andn2_b64 vcc, exec, s[66:67]
	v_cmp_ne_u16_sdwa s[30:31], v12, v43 src0_sel:BYTE_0 src1_sel:DWORD
	s_cbranch_vccnz .LBB4_6978
; %bb.6961:                             ;   in Loop: Header=BB4_6192 Depth=3
	v_mov_b32_e32 v4, 0
	v_mov_b32_e32 v0, 0
	s_and_saveexec_b64 s[68:69], s[30:31]
	s_cbranch_execz .LBB4_6969
; %bb.6962:                             ;   in Loop: Header=BB4_6192 Depth=3
	v_cmp_ne_u16_sdwa vcc, sext(v12), s94 src0_sel:BYTE_0 src1_sel:DWORD
	v_bfrev_b32_e32 v0, 1
	s_and_saveexec_b64 s[70:71], vcc
	s_cbranch_execz .LBB4_6968
; %bb.6963:                             ;   in Loop: Header=BB4_6192 Depth=3
	v_and_b32_e32 v0, 0x7c, v12
	v_and_b32_e32 v5, 3, v12
	v_cmp_ne_u32_e32 vcc, s95, v0
                                        ; implicit-def: $vgpr0
	s_and_saveexec_b64 s[72:73], vcc
	s_xor_b64 s[72:73], exec, s[72:73]
	s_cbranch_execz .LBB4_6965
; %bb.6964:                             ;   in Loop: Header=BB4_6192 Depth=3
	v_ffbh_u32_e32 v7, v5
	v_min_u32_e32 v7, 32, v7
	v_subrev_u32_e32 v16, 29, v7
	v_bfe_u32 v0, v12, 2, 5
	v_lshlrev_b64 v[16:17], v16, v[12:13]
	v_sub_u32_e32 v7, 30, v7
	v_and_b32_e32 v16, 3, v16
	v_cmp_eq_u32_e32 vcc, 0, v0
	v_cndmask_b32_e32 v0, v0, v7, vcc
	v_cndmask_b32_e32 v5, v5, v16, vcc
	v_bfrev_b32_e32 v16, 28
	v_lshlrev_b32_e32 v7, 24, v12
	v_lshl_add_u32 v0, v0, 23, v16
	v_and_or_b32 v0, v7, s96, v0
	v_lshl_or_b32 v0, v5, 21, v0
                                        ; implicit-def: $vgpr5
.LBB4_6965:                             ;   in Loop: Header=BB4_6192 Depth=3
	s_andn2_saveexec_b64 s[72:73], s[72:73]
; %bb.6966:                             ;   in Loop: Header=BB4_6192 Depth=3
	v_mov_b32_e32 v0, -1
	v_cmp_gt_i16_sdwa vcc, sext(v12), v0 src0_sel:BYTE_0 src1_sel:DWORD
	v_cndmask_b32_e32 v0, v6, v1, vcc
	v_cmp_eq_u32_e32 vcc, 0, v5
	v_mov_b32_e32 v5, 0x7f800001
	v_cndmask_b32_e32 v0, v5, v0, vcc
; %bb.6967:                             ;   in Loop: Header=BB4_6192 Depth=3
	s_or_b64 exec, exec, s[72:73]
.LBB4_6968:                             ;   in Loop: Header=BB4_6192 Depth=3
	s_or_b64 exec, exec, s[70:71]
.LBB4_6969:                             ;   in Loop: Header=BB4_6192 Depth=3
	s_or_b64 exec, exec, s[68:69]
	v_cmp_ne_u16_sdwa vcc, sext(v8), v43 src0_sel:BYTE_0 src1_sel:DWORD
	s_and_saveexec_b64 s[68:69], vcc
	s_cbranch_execz .LBB4_6977
; %bb.6970:                             ;   in Loop: Header=BB4_6192 Depth=3
	v_cmp_ne_u16_sdwa vcc, sext(v8), s94 src0_sel:BYTE_0 src1_sel:DWORD
	v_bfrev_b32_e32 v4, 1
	s_and_saveexec_b64 s[70:71], vcc
	s_cbranch_execz .LBB4_6976
; %bb.6971:                             ;   in Loop: Header=BB4_6192 Depth=3
	v_and_b32_e32 v4, 0x7c, v8
	v_and_b32_e32 v5, 3, v8
	v_cmp_ne_u32_e32 vcc, s95, v4
                                        ; implicit-def: $vgpr4
	s_and_saveexec_b64 s[72:73], vcc
	s_xor_b64 s[72:73], exec, s[72:73]
	s_cbranch_execz .LBB4_6973
; %bb.6972:                             ;   in Loop: Header=BB4_6192 Depth=3
	v_ffbh_u32_e32 v7, v5
	v_min_u32_e32 v7, 32, v7
	v_subrev_u32_e32 v16, 29, v7
	v_bfe_u32 v4, v8, 2, 5
	v_lshlrev_b64 v[16:17], v16, v[8:9]
	v_sub_u32_e32 v7, 30, v7
	v_and_b32_e32 v16, 3, v16
	v_cmp_eq_u32_e32 vcc, 0, v4
	v_cndmask_b32_e32 v4, v4, v7, vcc
	v_cndmask_b32_e32 v5, v5, v16, vcc
	v_bfrev_b32_e32 v16, 28
	v_lshlrev_b32_e32 v7, 24, v8
	v_lshl_add_u32 v4, v4, 23, v16
	v_and_or_b32 v4, v7, s96, v4
	v_lshl_or_b32 v4, v5, 21, v4
                                        ; implicit-def: $vgpr5
.LBB4_6973:                             ;   in Loop: Header=BB4_6192 Depth=3
	s_andn2_saveexec_b64 s[72:73], s[72:73]
; %bb.6974:                             ;   in Loop: Header=BB4_6192 Depth=3
	v_mov_b32_e32 v4, -1
	v_cmp_gt_i16_sdwa vcc, sext(v8), v4 src0_sel:BYTE_0 src1_sel:DWORD
	v_cndmask_b32_e32 v4, v6, v1, vcc
	v_cmp_eq_u32_e32 vcc, 0, v5
	v_mov_b32_e32 v5, 0x7f800001
	v_cndmask_b32_e32 v4, v5, v4, vcc
; %bb.6975:                             ;   in Loop: Header=BB4_6192 Depth=3
	s_or_b64 exec, exec, s[72:73]
.LBB4_6976:                             ;   in Loop: Header=BB4_6192 Depth=3
	s_or_b64 exec, exec, s[70:71]
.LBB4_6977:                             ;   in Loop: Header=BB4_6192 Depth=3
	s_or_b64 exec, exec, s[68:69]
	v_max_f32_e32 v4, v4, v4
	v_max_f32_e32 v0, v0, v0
	;; [unrolled: 1-line block ×3, first 2 shown]
	s_branch .LBB4_6996
.LBB4_6978:                             ;   in Loop: Header=BB4_6192 Depth=3
                                        ; implicit-def: $vgpr4
	s_cbranch_execz .LBB4_6996
; %bb.6979:                             ;   in Loop: Header=BB4_6192 Depth=3
	v_mov_b32_e32 v4, 0
	v_mov_b32_e32 v0, 0
	s_and_saveexec_b64 s[68:69], s[30:31]
	s_cbranch_execz .LBB4_6987
; %bb.6980:                             ;   in Loop: Header=BB4_6192 Depth=3
	v_cmp_ne_u16_sdwa vcc, sext(v12), s94 src0_sel:BYTE_0 src1_sel:DWORD
	v_bfrev_b32_e32 v0, 1
	s_and_saveexec_b64 s[30:31], vcc
	s_cbranch_execz .LBB4_6986
; %bb.6981:                             ;   in Loop: Header=BB4_6192 Depth=3
	v_and_b32_e32 v0, 0x7c, v12
	v_and_b32_e32 v5, 3, v12
	v_cmp_ne_u32_e32 vcc, s95, v0
                                        ; implicit-def: $vgpr0
	s_and_saveexec_b64 s[70:71], vcc
	s_xor_b64 s[70:71], exec, s[70:71]
	s_cbranch_execz .LBB4_6983
; %bb.6982:                             ;   in Loop: Header=BB4_6192 Depth=3
	v_ffbh_u32_e32 v7, v5
	v_min_u32_e32 v7, 32, v7
	v_subrev_u32_e32 v16, 29, v7
	v_bfe_u32 v0, v12, 2, 5
	v_lshlrev_b64 v[16:17], v16, v[12:13]
	v_sub_u32_e32 v7, 30, v7
	v_and_b32_e32 v16, 3, v16
	v_cmp_eq_u32_e32 vcc, 0, v0
	v_cndmask_b32_e32 v0, v0, v7, vcc
	v_cndmask_b32_e32 v5, v5, v16, vcc
	v_bfrev_b32_e32 v16, 28
	v_lshlrev_b32_e32 v7, 24, v12
	v_lshl_add_u32 v0, v0, 23, v16
	v_and_or_b32 v0, v7, s96, v0
	v_lshl_or_b32 v0, v5, 21, v0
                                        ; implicit-def: $vgpr5
.LBB4_6983:                             ;   in Loop: Header=BB4_6192 Depth=3
	s_andn2_saveexec_b64 s[70:71], s[70:71]
; %bb.6984:                             ;   in Loop: Header=BB4_6192 Depth=3
	v_mov_b32_e32 v0, -1
	v_cmp_gt_i16_sdwa vcc, sext(v12), v0 src0_sel:BYTE_0 src1_sel:DWORD
	v_cndmask_b32_e32 v0, v6, v1, vcc
	v_cmp_eq_u32_e32 vcc, 0, v5
	v_mov_b32_e32 v5, 0x7f800001
	v_cndmask_b32_e32 v0, v5, v0, vcc
; %bb.6985:                             ;   in Loop: Header=BB4_6192 Depth=3
	s_or_b64 exec, exec, s[70:71]
.LBB4_6986:                             ;   in Loop: Header=BB4_6192 Depth=3
	s_or_b64 exec, exec, s[30:31]
.LBB4_6987:                             ;   in Loop: Header=BB4_6192 Depth=3
	s_or_b64 exec, exec, s[68:69]
	v_cmp_ne_u16_sdwa vcc, sext(v8), v43 src0_sel:BYTE_0 src1_sel:DWORD
	s_and_saveexec_b64 s[30:31], vcc
	s_cbranch_execz .LBB4_6995
; %bb.6988:                             ;   in Loop: Header=BB4_6192 Depth=3
	v_cmp_ne_u16_sdwa vcc, sext(v8), s94 src0_sel:BYTE_0 src1_sel:DWORD
	v_bfrev_b32_e32 v4, 1
	s_and_saveexec_b64 s[68:69], vcc
	s_cbranch_execz .LBB4_6994
; %bb.6989:                             ;   in Loop: Header=BB4_6192 Depth=3
	v_and_b32_e32 v4, 0x7c, v8
	v_and_b32_e32 v5, 3, v8
	v_cmp_ne_u32_e32 vcc, s95, v4
                                        ; implicit-def: $vgpr4
	s_and_saveexec_b64 s[70:71], vcc
	s_xor_b64 s[70:71], exec, s[70:71]
	s_cbranch_execz .LBB4_6991
; %bb.6990:                             ;   in Loop: Header=BB4_6192 Depth=3
	v_ffbh_u32_e32 v7, v5
	v_min_u32_e32 v7, 32, v7
	v_subrev_u32_e32 v16, 29, v7
	v_bfe_u32 v4, v8, 2, 5
	v_lshlrev_b64 v[16:17], v16, v[8:9]
	v_sub_u32_e32 v7, 30, v7
	v_and_b32_e32 v16, 3, v16
	v_cmp_eq_u32_e32 vcc, 0, v4
	v_cndmask_b32_e32 v4, v4, v7, vcc
	v_cndmask_b32_e32 v5, v5, v16, vcc
	v_bfrev_b32_e32 v16, 28
	v_lshlrev_b32_e32 v7, 24, v8
	v_lshl_add_u32 v4, v4, 23, v16
	v_and_or_b32 v4, v7, s96, v4
	v_lshl_or_b32 v4, v5, 21, v4
                                        ; implicit-def: $vgpr5
.LBB4_6991:                             ;   in Loop: Header=BB4_6192 Depth=3
	s_andn2_saveexec_b64 s[70:71], s[70:71]
; %bb.6992:                             ;   in Loop: Header=BB4_6192 Depth=3
	v_mov_b32_e32 v4, -1
	v_cmp_gt_i16_sdwa vcc, sext(v8), v4 src0_sel:BYTE_0 src1_sel:DWORD
	v_cndmask_b32_e32 v4, v6, v1, vcc
	v_cmp_eq_u32_e32 vcc, 0, v5
	v_mov_b32_e32 v5, 0x7f800001
	v_cndmask_b32_e32 v4, v5, v4, vcc
; %bb.6993:                             ;   in Loop: Header=BB4_6192 Depth=3
	s_or_b64 exec, exec, s[70:71]
.LBB4_6994:                             ;   in Loop: Header=BB4_6192 Depth=3
	s_or_b64 exec, exec, s[68:69]
.LBB4_6995:                             ;   in Loop: Header=BB4_6192 Depth=3
	s_or_b64 exec, exec, s[30:31]
	v_max_f32_e32 v4, v4, v4
	v_max_f32_e32 v0, v0, v0
	v_min_f32_e32 v4, v0, v4
.LBB4_6996:                             ;   in Loop: Header=BB4_6192 Depth=3
	v_and_b32_sdwa v0, v4, s97 dst_sel:DWORD dst_unused:UNUSED_PAD src0_sel:BYTE_3 src1_sel:DWORD
	v_and_b32_e32 v16, 0x7f800000, v4
	v_mov_b32_e32 v17, v43
	v_and_b32_e32 v42, 0x7fffff, v4
	v_or_b32_e32 v22, 0x7b, v0
	v_cmp_ne_u64_e32 vcc, s[52:53], v[16:17]
	s_and_saveexec_b64 s[30:31], vcc
	s_xor_b64 s[68:69], exec, s[30:31]
	s_cbranch_execz .LBB4_7006
; %bb.6997:                             ;   in Loop: Header=BB4_6192 Depth=3
	v_and_b32_e32 v16, 0x7fffffff, v4
	v_mov_b32_e32 v17, v43
	v_cmp_gt_u64_e32 vcc, s[54:55], v[16:17]
	s_and_saveexec_b64 s[70:71], vcc
	s_cbranch_execz .LBB4_7005
; %bb.6998:                             ;   in Loop: Header=BB4_6192 Depth=3
	v_cmp_ne_u32_e32 vcc, 0, v4
	v_mov_b32_e32 v22, 0
	s_and_saveexec_b64 s[72:73], vcc
	s_cbranch_execz .LBB4_7004
; %bb.6999:                             ;   in Loop: Header=BB4_6192 Depth=3
	v_bfe_u32 v4, v4, 23, 8
	v_cmp_eq_u32_e32 vcc, 0, v4
	v_add_u32_e32 v5, 0xffffff81, v4
	v_cmp_gt_u32_e64 s[30:31], s38, v4
	v_sub_u32_e32 v4, 0x71, v4
	v_mov_b32_e32 v16, 0xffffff82
	v_cndmask_b32_e64 v4, 0, v4, s[30:31]
	v_cndmask_b32_e32 v18, v5, v16, vcc
	v_mov_b32_e32 v5, 0x70
	v_cndmask_b32_e32 v19, v4, v5, vcc
	v_add_u32_e32 v4, 21, v19
	v_or_b32_e32 v7, 0x800000, v42
	v_lshlrev_b64 v[4:5], v4, -1
	v_cndmask_b32_e32 v42, v7, v42, vcc
	v_not_b32_e32 v5, v5
	v_not_b32_e32 v4, v4
	v_add_u32_e32 v7, 20, v19
	v_and_b32_e32 v5, 0, v5
	v_and_b32_e32 v4, v42, v4
	v_lshlrev_b64 v[16:17], v7, 1
	v_cmp_eq_u64_e32 vcc, v[4:5], v[16:17]
	v_lshrrev_b64 v[4:5], v19, v[42:43]
	v_lshrrev_b32_e32 v7, 23, v4
	v_add3_u32 v17, v19, v18, v7
	v_bfe_u32 v7, v4, 21, 1
	v_add_u32_e32 v7, -1, v7
	v_cndmask_b32_e32 v7, 0, v7, vcc
	v_add_u32_e32 v7, v7, v4
	v_and_b32_e32 v7, 0x1fffff, v7
	v_add_co_u32_e32 v4, vcc, v7, v4
	v_add_u32_e32 v16, 14, v17
	v_addc_co_u32_e32 v5, vcc, 0, v5, vcc
	v_cmp_ne_u32_e32 vcc, 0, v16
                                        ; implicit-def: $vgpr7
	s_and_saveexec_b64 s[30:31], vcc
	s_xor_b64 s[30:31], exec, s[30:31]
; %bb.7000:                             ;   in Loop: Header=BB4_6192 Depth=3
	v_add_u32_e32 v7, 15, v17
	v_cmp_lt_u64_e32 vcc, s[56:57], v[4:5]
	v_cndmask_b32_e32 v7, v16, v7, vcc
	v_cndmask_b32_e64 v16, 0, 1, vcc
	v_lshrrev_b64 v[4:5], v16, v[4:5]
; %bb.7001:                             ;   in Loop: Header=BB4_6192 Depth=3
	s_andn2_saveexec_b64 vcc, s[30:31]
; %bb.7002:                             ;   in Loop: Header=BB4_6192 Depth=3
	v_bfe_u32 v7, v4, 23, 1
; %bb.7003:                             ;   in Loop: Header=BB4_6192 Depth=3
	s_or_b64 exec, exec, vcc
	v_lshrrev_b64 v[4:5], 21, v[4:5]
	v_cmp_gt_i32_e32 vcc, 32, v7
	v_cndmask_b32_e32 v5, 0, v5, vcc
	v_cndmask_b32_e32 v4, 3, v4, vcc
	v_cmp_eq_u64_e64 s[30:31], 0, v[4:5]
	v_min_i32_e32 v5, 31, v7
	v_cmp_eq_u32_e32 vcc, 0, v7
	v_lshlrev_b32_e32 v5, 2, v5
	v_and_or_b32 v4, v4, 3, v5
	s_and_b64 vcc, vcc, s[30:31]
	v_cndmask_b32_e64 v4, v4, 0, vcc
	v_or_b32_e32 v22, v4, v0
.LBB4_7004:                             ;   in Loop: Header=BB4_6192 Depth=3
	s_or_b64 exec, exec, s[72:73]
.LBB4_7005:                             ;   in Loop: Header=BB4_6192 Depth=3
	s_or_b64 exec, exec, s[70:71]
                                        ; implicit-def: $vgpr4
.LBB4_7006:                             ;   in Loop: Header=BB4_6192 Depth=3
	s_andn2_saveexec_b64 s[30:31], s[68:69]
; %bb.7007:                             ;   in Loop: Header=BB4_6192 Depth=3
	v_or_b32_sdwa v0, v4, s39 dst_sel:DWORD dst_unused:UNUSED_PAD src0_sel:BYTE_3 src1_sel:DWORD
	v_cmp_eq_u64_e32 vcc, 0, v[42:43]
	v_cndmask_b32_e32 v22, v0, v22, vcc
; %bb.7008:                             ;   in Loop: Header=BB4_6192 Depth=3
	s_or_b64 exec, exec, s[30:31]
	v_lshrrev_b16_e32 v42, 8, v12
	v_lshrrev_b16_e32 v4, 8, v8
	s_and_b64 vcc, exec, s[28:29]
	v_cmp_ne_u16_e64 s[30:31], 0, v42
	s_cbranch_vccnz .LBB4_7026
; %bb.7009:                             ;   in Loop: Header=BB4_6192 Depth=3
	v_mov_b32_e32 v5, 0
	v_mov_b32_e32 v0, 0
	s_and_saveexec_b64 s[68:69], s[30:31]
	s_cbranch_execz .LBB4_7017
; %bb.7010:                             ;   in Loop: Header=BB4_6192 Depth=3
	v_cmp_ne_u16_e32 vcc, s97, v42
	v_bfrev_b32_e32 v0, 1
	s_and_saveexec_b64 s[70:71], vcc
	s_cbranch_execz .LBB4_7016
; %bb.7011:                             ;   in Loop: Header=BB4_6192 Depth=3
	v_and_b32_e32 v0, 0x7c, v42
	v_and_b32_e32 v7, 3, v42
	v_cmp_ne_u32_e32 vcc, s95, v0
                                        ; implicit-def: $vgpr0
	s_and_saveexec_b64 s[72:73], vcc
	s_xor_b64 s[72:73], exec, s[72:73]
	s_cbranch_execz .LBB4_7013
; %bb.7012:                             ;   in Loop: Header=BB4_6192 Depth=3
	v_ffbh_u32_e32 v16, v7
	v_min_u32_e32 v18, 32, v16
	v_subrev_u32_e32 v16, 29, v18
	v_bfe_u32 v0, v42, 2, 5
	v_lshlrev_b64 v[16:17], v16, v[42:43]
	v_sub_u32_e32 v17, 30, v18
	v_cmp_eq_u32_e32 vcc, 0, v0
	v_and_b32_e32 v16, 3, v16
	v_cndmask_b32_e32 v0, v0, v17, vcc
	v_bfrev_b32_e32 v17, 28
	v_cndmask_b32_e32 v7, v7, v16, vcc
	v_lshlrev_b32_e32 v16, 16, v12
	v_lshl_add_u32 v0, v0, 23, v17
	v_and_or_b32 v0, v16, s96, v0
	v_lshl_or_b32 v0, v7, 21, v0
                                        ; implicit-def: $vgpr7
.LBB4_7013:                             ;   in Loop: Header=BB4_6192 Depth=3
	s_andn2_saveexec_b64 s[72:73], s[72:73]
; %bb.7014:                             ;   in Loop: Header=BB4_6192 Depth=3
	v_cmp_lt_i16_e32 vcc, -1, v12
	v_cndmask_b32_e32 v0, v6, v1, vcc
	v_cmp_eq_u32_e32 vcc, 0, v7
	v_mov_b32_e32 v7, 0x7f800001
	v_cndmask_b32_e32 v0, v7, v0, vcc
; %bb.7015:                             ;   in Loop: Header=BB4_6192 Depth=3
	s_or_b64 exec, exec, s[72:73]
.LBB4_7016:                             ;   in Loop: Header=BB4_6192 Depth=3
	s_or_b64 exec, exec, s[70:71]
.LBB4_7017:                             ;   in Loop: Header=BB4_6192 Depth=3
	s_or_b64 exec, exec, s[68:69]
	v_cmp_ne_u16_e32 vcc, 0, v4
	s_and_saveexec_b64 s[68:69], vcc
	s_cbranch_execz .LBB4_7025
; %bb.7018:                             ;   in Loop: Header=BB4_6192 Depth=3
	v_cmp_ne_u16_e32 vcc, s97, v4
	v_bfrev_b32_e32 v5, 1
	s_and_saveexec_b64 s[70:71], vcc
	s_cbranch_execz .LBB4_7024
; %bb.7019:                             ;   in Loop: Header=BB4_6192 Depth=3
	v_and_b32_e32 v5, 0x7c, v4
	v_and_b32_e32 v7, 3, v4
	v_cmp_ne_u32_e32 vcc, s95, v5
                                        ; implicit-def: $vgpr5
	s_and_saveexec_b64 s[72:73], vcc
	s_xor_b64 s[72:73], exec, s[72:73]
	s_cbranch_execz .LBB4_7021
; %bb.7020:                             ;   in Loop: Header=BB4_6192 Depth=3
	v_ffbh_u32_e32 v16, v7
	v_min_u32_e32 v19, 32, v16
	v_mov_b32_e32 v5, v43
	v_bfe_u32 v18, v4, 2, 5
	v_subrev_u32_e32 v16, 29, v19
	v_lshlrev_b64 v[16:17], v16, v[4:5]
	v_sub_u32_e32 v5, 30, v19
	v_cmp_eq_u32_e32 vcc, 0, v18
	v_and_b32_e32 v16, 3, v16
	v_cndmask_b32_e32 v5, v18, v5, vcc
	v_bfrev_b32_e32 v17, 28
	v_cndmask_b32_e32 v7, v7, v16, vcc
	v_lshlrev_b32_e32 v16, 16, v8
	v_lshl_add_u32 v5, v5, 23, v17
	v_and_or_b32 v5, v16, s96, v5
	v_lshl_or_b32 v5, v7, 21, v5
                                        ; implicit-def: $vgpr7
.LBB4_7021:                             ;   in Loop: Header=BB4_6192 Depth=3
	s_andn2_saveexec_b64 s[72:73], s[72:73]
; %bb.7022:                             ;   in Loop: Header=BB4_6192 Depth=3
	v_cmp_lt_i16_e32 vcc, -1, v8
	v_cndmask_b32_e32 v5, v6, v1, vcc
	v_cmp_eq_u32_e32 vcc, 0, v7
	v_mov_b32_e32 v7, 0x7f800001
	v_cndmask_b32_e32 v5, v7, v5, vcc
; %bb.7023:                             ;   in Loop: Header=BB4_6192 Depth=3
	s_or_b64 exec, exec, s[72:73]
.LBB4_7024:                             ;   in Loop: Header=BB4_6192 Depth=3
	s_or_b64 exec, exec, s[70:71]
.LBB4_7025:                             ;   in Loop: Header=BB4_6192 Depth=3
	s_or_b64 exec, exec, s[68:69]
	v_max_f32_e32 v5, v5, v5
	v_max_f32_e32 v0, v0, v0
	;; [unrolled: 1-line block ×3, first 2 shown]
	s_branch .LBB4_7044
.LBB4_7026:                             ;   in Loop: Header=BB4_6192 Depth=3
                                        ; implicit-def: $vgpr5
	s_cbranch_execz .LBB4_7044
; %bb.7027:                             ;   in Loop: Header=BB4_6192 Depth=3
	v_mov_b32_e32 v5, 0
	v_mov_b32_e32 v0, 0
	s_and_saveexec_b64 s[68:69], s[30:31]
	s_cbranch_execz .LBB4_7035
; %bb.7028:                             ;   in Loop: Header=BB4_6192 Depth=3
	v_cmp_ne_u16_e32 vcc, s97, v42
	v_bfrev_b32_e32 v0, 1
	s_and_saveexec_b64 s[30:31], vcc
	s_cbranch_execz .LBB4_7034
; %bb.7029:                             ;   in Loop: Header=BB4_6192 Depth=3
	v_and_b32_e32 v0, 0x7c, v42
	v_and_b32_e32 v7, 3, v42
	v_cmp_ne_u32_e32 vcc, s95, v0
                                        ; implicit-def: $vgpr0
	s_and_saveexec_b64 s[70:71], vcc
	s_xor_b64 s[70:71], exec, s[70:71]
	s_cbranch_execz .LBB4_7031
; %bb.7030:                             ;   in Loop: Header=BB4_6192 Depth=3
	v_ffbh_u32_e32 v16, v7
	v_min_u32_e32 v18, 32, v16
	v_subrev_u32_e32 v16, 29, v18
	v_bfe_u32 v0, v42, 2, 5
	v_lshlrev_b64 v[16:17], v16, v[42:43]
	v_sub_u32_e32 v17, 30, v18
	v_cmp_eq_u32_e32 vcc, 0, v0
	v_and_b32_e32 v16, 3, v16
	v_cndmask_b32_e32 v0, v0, v17, vcc
	v_bfrev_b32_e32 v17, 28
	v_cndmask_b32_e32 v7, v7, v16, vcc
	v_lshlrev_b32_e32 v16, 16, v12
	v_lshl_add_u32 v0, v0, 23, v17
	v_and_or_b32 v0, v16, s96, v0
	v_lshl_or_b32 v0, v7, 21, v0
                                        ; implicit-def: $vgpr7
.LBB4_7031:                             ;   in Loop: Header=BB4_6192 Depth=3
	s_andn2_saveexec_b64 s[70:71], s[70:71]
; %bb.7032:                             ;   in Loop: Header=BB4_6192 Depth=3
	v_cmp_lt_i16_e32 vcc, -1, v12
	v_cndmask_b32_e32 v0, v6, v1, vcc
	v_cmp_eq_u32_e32 vcc, 0, v7
	v_mov_b32_e32 v7, 0x7f800001
	v_cndmask_b32_e32 v0, v7, v0, vcc
; %bb.7033:                             ;   in Loop: Header=BB4_6192 Depth=3
	s_or_b64 exec, exec, s[70:71]
.LBB4_7034:                             ;   in Loop: Header=BB4_6192 Depth=3
	s_or_b64 exec, exec, s[30:31]
.LBB4_7035:                             ;   in Loop: Header=BB4_6192 Depth=3
	s_or_b64 exec, exec, s[68:69]
	v_cmp_ne_u16_e32 vcc, 0, v4
	s_and_saveexec_b64 s[30:31], vcc
	s_cbranch_execz .LBB4_7043
; %bb.7036:                             ;   in Loop: Header=BB4_6192 Depth=3
	v_cmp_ne_u16_e32 vcc, s97, v4
	v_bfrev_b32_e32 v5, 1
	s_and_saveexec_b64 s[68:69], vcc
	s_cbranch_execz .LBB4_7042
; %bb.7037:                             ;   in Loop: Header=BB4_6192 Depth=3
	v_and_b32_e32 v5, 0x7c, v4
	v_and_b32_e32 v7, 3, v4
	v_cmp_ne_u32_e32 vcc, s95, v5
                                        ; implicit-def: $vgpr5
	s_and_saveexec_b64 s[70:71], vcc
	s_xor_b64 s[70:71], exec, s[70:71]
	s_cbranch_execz .LBB4_7039
; %bb.7038:                             ;   in Loop: Header=BB4_6192 Depth=3
	v_ffbh_u32_e32 v17, v7
	v_min_u32_e32 v17, 32, v17
	v_mov_b32_e32 v5, v43
	v_subrev_u32_e32 v18, 29, v17
	v_bfe_u32 v16, v4, 2, 5
	v_lshlrev_b64 v[4:5], v18, v[4:5]
	v_sub_u32_e32 v5, 30, v17
	v_cmp_eq_u32_e32 vcc, 0, v16
	v_and_b32_e32 v4, 3, v4
	v_cndmask_b32_e32 v5, v16, v5, vcc
	v_bfrev_b32_e32 v16, 28
	v_cndmask_b32_e32 v4, v7, v4, vcc
	v_lshlrev_b32_e32 v7, 16, v8
	v_lshl_add_u32 v5, v5, 23, v16
	v_and_or_b32 v5, v7, s96, v5
	v_lshl_or_b32 v5, v4, 21, v5
                                        ; implicit-def: $vgpr7
.LBB4_7039:                             ;   in Loop: Header=BB4_6192 Depth=3
	s_andn2_saveexec_b64 s[70:71], s[70:71]
; %bb.7040:                             ;   in Loop: Header=BB4_6192 Depth=3
	v_cmp_lt_i16_e32 vcc, -1, v8
	v_cndmask_b32_e32 v4, v6, v1, vcc
	v_cmp_eq_u32_e32 vcc, 0, v7
	v_mov_b32_e32 v5, 0x7f800001
	v_cndmask_b32_e32 v5, v5, v4, vcc
; %bb.7041:                             ;   in Loop: Header=BB4_6192 Depth=3
	s_or_b64 exec, exec, s[70:71]
.LBB4_7042:                             ;   in Loop: Header=BB4_6192 Depth=3
	s_or_b64 exec, exec, s[68:69]
.LBB4_7043:                             ;   in Loop: Header=BB4_6192 Depth=3
	s_or_b64 exec, exec, s[30:31]
	v_max_f32_e32 v4, v5, v5
	v_max_f32_e32 v0, v0, v0
	v_min_f32_e32 v5, v0, v4
.LBB4_7044:                             ;   in Loop: Header=BB4_6192 Depth=3
	v_and_b32_sdwa v0, v5, s97 dst_sel:DWORD dst_unused:UNUSED_PAD src0_sel:BYTE_3 src1_sel:DWORD
	v_and_b32_e32 v16, 0x7f800000, v5
	v_mov_b32_e32 v17, v43
	v_and_b32_e32 v42, 0x7fffff, v5
	v_or_b32_e32 v23, 0x7b, v0
	v_cmp_ne_u64_e32 vcc, s[52:53], v[16:17]
	s_and_saveexec_b64 s[30:31], vcc
	s_xor_b64 s[68:69], exec, s[30:31]
	s_cbranch_execz .LBB4_7054
; %bb.7045:                             ;   in Loop: Header=BB4_6192 Depth=3
	v_and_b32_e32 v16, 0x7fffffff, v5
	v_mov_b32_e32 v17, v43
	v_cmp_gt_u64_e32 vcc, s[54:55], v[16:17]
	s_and_saveexec_b64 s[70:71], vcc
	s_cbranch_execz .LBB4_7053
; %bb.7046:                             ;   in Loop: Header=BB4_6192 Depth=3
	v_cmp_ne_u32_e32 vcc, 0, v5
	v_mov_b32_e32 v23, 0
	s_and_saveexec_b64 s[72:73], vcc
	s_cbranch_execz .LBB4_7052
; %bb.7047:                             ;   in Loop: Header=BB4_6192 Depth=3
	v_bfe_u32 v4, v5, 23, 8
	v_cmp_eq_u32_e32 vcc, 0, v4
	v_add_u32_e32 v5, 0xffffff81, v4
	v_cmp_gt_u32_e64 s[30:31], s38, v4
	v_sub_u32_e32 v4, 0x71, v4
	v_mov_b32_e32 v16, 0xffffff82
	v_cndmask_b32_e64 v4, 0, v4, s[30:31]
	v_cndmask_b32_e32 v18, v5, v16, vcc
	v_mov_b32_e32 v5, 0x70
	v_cndmask_b32_e32 v19, v4, v5, vcc
	v_add_u32_e32 v4, 21, v19
	v_or_b32_e32 v7, 0x800000, v42
	v_lshlrev_b64 v[4:5], v4, -1
	v_cndmask_b32_e32 v42, v7, v42, vcc
	v_not_b32_e32 v5, v5
	v_not_b32_e32 v4, v4
	v_add_u32_e32 v7, 20, v19
	v_and_b32_e32 v5, 0, v5
	v_and_b32_e32 v4, v42, v4
	v_lshlrev_b64 v[16:17], v7, 1
	v_cmp_eq_u64_e32 vcc, v[4:5], v[16:17]
	v_lshrrev_b64 v[4:5], v19, v[42:43]
	v_lshrrev_b32_e32 v7, 23, v4
	v_add3_u32 v17, v19, v18, v7
	v_bfe_u32 v7, v4, 21, 1
	v_add_u32_e32 v7, -1, v7
	v_cndmask_b32_e32 v7, 0, v7, vcc
	v_add_u32_e32 v7, v7, v4
	v_and_b32_e32 v7, 0x1fffff, v7
	v_add_co_u32_e32 v4, vcc, v7, v4
	v_add_u32_e32 v16, 14, v17
	v_addc_co_u32_e32 v5, vcc, 0, v5, vcc
	v_cmp_ne_u32_e32 vcc, 0, v16
                                        ; implicit-def: $vgpr7
	s_and_saveexec_b64 s[30:31], vcc
	s_xor_b64 s[30:31], exec, s[30:31]
; %bb.7048:                             ;   in Loop: Header=BB4_6192 Depth=3
	v_add_u32_e32 v7, 15, v17
	v_cmp_lt_u64_e32 vcc, s[56:57], v[4:5]
	v_cndmask_b32_e32 v7, v16, v7, vcc
	v_cndmask_b32_e64 v16, 0, 1, vcc
	v_lshrrev_b64 v[4:5], v16, v[4:5]
; %bb.7049:                             ;   in Loop: Header=BB4_6192 Depth=3
	s_andn2_saveexec_b64 vcc, s[30:31]
; %bb.7050:                             ;   in Loop: Header=BB4_6192 Depth=3
	v_bfe_u32 v7, v4, 23, 1
; %bb.7051:                             ;   in Loop: Header=BB4_6192 Depth=3
	s_or_b64 exec, exec, vcc
	v_lshrrev_b64 v[4:5], 21, v[4:5]
	v_cmp_gt_i32_e32 vcc, 32, v7
	v_cndmask_b32_e32 v5, 0, v5, vcc
	v_cndmask_b32_e32 v4, 3, v4, vcc
	v_cmp_eq_u64_e64 s[30:31], 0, v[4:5]
	v_min_i32_e32 v5, 31, v7
	v_cmp_eq_u32_e32 vcc, 0, v7
	v_lshlrev_b32_e32 v5, 2, v5
	v_and_or_b32 v4, v4, 3, v5
	s_and_b64 vcc, vcc, s[30:31]
	v_cndmask_b32_e64 v4, v4, 0, vcc
	v_or_b32_e32 v23, v4, v0
.LBB4_7052:                             ;   in Loop: Header=BB4_6192 Depth=3
	s_or_b64 exec, exec, s[72:73]
.LBB4_7053:                             ;   in Loop: Header=BB4_6192 Depth=3
	s_or_b64 exec, exec, s[70:71]
                                        ; implicit-def: $vgpr5
.LBB4_7054:                             ;   in Loop: Header=BB4_6192 Depth=3
	s_andn2_saveexec_b64 s[30:31], s[68:69]
; %bb.7055:                             ;   in Loop: Header=BB4_6192 Depth=3
	v_or_b32_sdwa v0, v5, s39 dst_sel:DWORD dst_unused:UNUSED_PAD src0_sel:BYTE_3 src1_sel:DWORD
	v_cmp_eq_u64_e32 vcc, 0, v[42:43]
	v_cndmask_b32_e32 v23, v0, v23, vcc
; %bb.7056:                             ;   in Loop: Header=BB4_6192 Depth=3
	s_or_b64 exec, exec, s[30:31]
	v_lshrrev_b32_e32 v16, 16, v12
	v_lshrrev_b32_e32 v4, 16, v8
	s_and_b64 vcc, exec, s[28:29]
	v_cmp_ne_u16_sdwa s[30:31], v16, v43 src0_sel:BYTE_0 src1_sel:DWORD
	s_cbranch_vccnz .LBB4_7074
; %bb.7057:                             ;   in Loop: Header=BB4_6192 Depth=3
	v_mov_b32_e32 v5, 0
	v_mov_b32_e32 v0, 0
	s_and_saveexec_b64 s[68:69], s[30:31]
	s_cbranch_execz .LBB4_7065
; %bb.7058:                             ;   in Loop: Header=BB4_6192 Depth=3
	v_cmp_ne_u16_sdwa vcc, v16, s97 src0_sel:BYTE_0 src1_sel:DWORD
	v_bfrev_b32_e32 v0, 1
	s_and_saveexec_b64 s[70:71], vcc
	s_cbranch_execz .LBB4_7064
; %bb.7059:                             ;   in Loop: Header=BB4_6192 Depth=3
	v_and_b32_e32 v0, 0x7c0000, v12
	v_bfe_u32 v7, v12, 16, 2
	v_cmp_ne_u32_e32 vcc, s36, v0
                                        ; implicit-def: $vgpr0
	s_and_saveexec_b64 s[72:73], vcc
	s_xor_b64 s[72:73], exec, s[72:73]
	s_cbranch_execz .LBB4_7061
; %bb.7060:                             ;   in Loop: Header=BB4_6192 Depth=3
	v_ffbh_u32_e32 v17, v7
	v_min_u32_e32 v17, 32, v17
	v_subrev_u32_e32 v18, 29, v17
	v_bfe_u32 v0, v12, 18, 5
	v_lshlrev_b64 v[18:19], v18, v[16:17]
	v_sub_u32_e32 v17, 30, v17
	v_and_b32_e32 v18, 3, v18
	v_cmp_eq_u32_e32 vcc, 0, v0
	v_cndmask_b32_e32 v0, v0, v17, vcc
	v_cndmask_b32_e32 v7, v7, v18, vcc
	v_bfrev_b32_e32 v18, 28
	v_lshlrev_b32_e32 v17, 24, v16
	v_lshl_add_u32 v0, v0, 23, v18
	v_and_or_b32 v0, v17, s96, v0
	v_lshl_or_b32 v0, v7, 21, v0
                                        ; implicit-def: $vgpr7
.LBB4_7061:                             ;   in Loop: Header=BB4_6192 Depth=3
	s_andn2_saveexec_b64 s[72:73], s[72:73]
; %bb.7062:                             ;   in Loop: Header=BB4_6192 Depth=3
	v_mov_b32_e32 v0, -1
	v_cmp_gt_i16_sdwa vcc, sext(v16), v0 src0_sel:BYTE_0 src1_sel:DWORD
	v_cndmask_b32_e32 v0, v6, v1, vcc
	v_cmp_eq_u32_e32 vcc, 0, v7
	v_mov_b32_e32 v7, 0x7f800001
	v_cndmask_b32_e32 v0, v7, v0, vcc
; %bb.7063:                             ;   in Loop: Header=BB4_6192 Depth=3
	s_or_b64 exec, exec, s[72:73]
.LBB4_7064:                             ;   in Loop: Header=BB4_6192 Depth=3
	s_or_b64 exec, exec, s[70:71]
.LBB4_7065:                             ;   in Loop: Header=BB4_6192 Depth=3
	s_or_b64 exec, exec, s[68:69]
	v_cmp_ne_u16_sdwa vcc, v4, v43 src0_sel:BYTE_0 src1_sel:DWORD
	s_and_saveexec_b64 s[68:69], vcc
	s_cbranch_execz .LBB4_7073
; %bb.7066:                             ;   in Loop: Header=BB4_6192 Depth=3
	v_cmp_ne_u16_sdwa vcc, v4, s97 src0_sel:BYTE_0 src1_sel:DWORD
	v_bfrev_b32_e32 v5, 1
	s_and_saveexec_b64 s[70:71], vcc
	s_cbranch_execz .LBB4_7072
; %bb.7067:                             ;   in Loop: Header=BB4_6192 Depth=3
	v_and_b32_e32 v5, 0x7c0000, v8
	v_bfe_u32 v7, v8, 16, 2
	v_cmp_ne_u32_e32 vcc, s36, v5
                                        ; implicit-def: $vgpr5
	s_and_saveexec_b64 s[72:73], vcc
	s_xor_b64 s[72:73], exec, s[72:73]
	s_cbranch_execz .LBB4_7069
; %bb.7068:                             ;   in Loop: Header=BB4_6192 Depth=3
	v_ffbh_u32_e32 v17, v7
	v_min_u32_e32 v17, 32, v17
	v_bfe_u32 v5, v8, 18, 5
	v_subrev_u32_e32 v18, 29, v17
	v_lshlrev_b64 v[18:19], v18, v[4:5]
	v_sub_u32_e32 v17, 30, v17
	v_and_b32_e32 v18, 3, v18
	v_cmp_eq_u32_e32 vcc, 0, v5
	v_cndmask_b32_e32 v5, v5, v17, vcc
	v_cndmask_b32_e32 v7, v7, v18, vcc
	v_bfrev_b32_e32 v18, 28
	v_lshlrev_b32_e32 v17, 24, v4
	v_lshl_add_u32 v5, v5, 23, v18
	v_and_or_b32 v5, v17, s96, v5
	v_lshl_or_b32 v5, v7, 21, v5
                                        ; implicit-def: $vgpr7
.LBB4_7069:                             ;   in Loop: Header=BB4_6192 Depth=3
	s_andn2_saveexec_b64 s[72:73], s[72:73]
; %bb.7070:                             ;   in Loop: Header=BB4_6192 Depth=3
	v_mov_b32_e32 v5, -1
	v_cmp_gt_i16_sdwa vcc, sext(v4), v5 src0_sel:BYTE_0 src1_sel:DWORD
	v_cndmask_b32_e32 v5, v6, v1, vcc
	v_cmp_eq_u32_e32 vcc, 0, v7
	v_mov_b32_e32 v7, 0x7f800001
	v_cndmask_b32_e32 v5, v7, v5, vcc
; %bb.7071:                             ;   in Loop: Header=BB4_6192 Depth=3
	s_or_b64 exec, exec, s[72:73]
.LBB4_7072:                             ;   in Loop: Header=BB4_6192 Depth=3
	s_or_b64 exec, exec, s[70:71]
.LBB4_7073:                             ;   in Loop: Header=BB4_6192 Depth=3
	s_or_b64 exec, exec, s[68:69]
	v_max_f32_e32 v5, v5, v5
	v_max_f32_e32 v0, v0, v0
	v_max_f32_e32 v5, v0, v5
	s_branch .LBB4_7092
.LBB4_7074:                             ;   in Loop: Header=BB4_6192 Depth=3
                                        ; implicit-def: $vgpr5
	s_cbranch_execz .LBB4_7092
; %bb.7075:                             ;   in Loop: Header=BB4_6192 Depth=3
	v_mov_b32_e32 v5, 0
	v_mov_b32_e32 v0, 0
	s_and_saveexec_b64 s[68:69], s[30:31]
	s_cbranch_execz .LBB4_7083
; %bb.7076:                             ;   in Loop: Header=BB4_6192 Depth=3
	v_cmp_ne_u16_sdwa vcc, v16, s97 src0_sel:BYTE_0 src1_sel:DWORD
	v_bfrev_b32_e32 v0, 1
	s_and_saveexec_b64 s[30:31], vcc
	s_cbranch_execz .LBB4_7082
; %bb.7077:                             ;   in Loop: Header=BB4_6192 Depth=3
	v_and_b32_e32 v0, 0x7c0000, v12
	v_bfe_u32 v7, v12, 16, 2
	v_cmp_ne_u32_e32 vcc, s36, v0
                                        ; implicit-def: $vgpr0
	s_and_saveexec_b64 s[70:71], vcc
	s_xor_b64 s[70:71], exec, s[70:71]
	s_cbranch_execz .LBB4_7079
; %bb.7078:                             ;   in Loop: Header=BB4_6192 Depth=3
	v_ffbh_u32_e32 v17, v7
	v_min_u32_e32 v17, 32, v17
	v_bfe_u32 v0, v12, 18, 5
	v_subrev_u32_e32 v18, 29, v17
	v_lshlrev_b64 v[18:19], v18, v[16:17]
	v_sub_u32_e32 v17, 30, v17
	v_cmp_eq_u32_e32 vcc, 0, v0
	v_cndmask_b32_e32 v0, v0, v17, vcc
	v_bfrev_b32_e32 v17, 28
	v_and_b32_e32 v18, 3, v18
	v_lshlrev_b32_e32 v16, 24, v16
	v_lshl_add_u32 v0, v0, 23, v17
	v_cndmask_b32_e32 v7, v7, v18, vcc
	v_and_or_b32 v0, v16, s96, v0
	v_lshl_or_b32 v0, v7, 21, v0
                                        ; implicit-def: $vgpr7
                                        ; implicit-def: $vgpr16
.LBB4_7079:                             ;   in Loop: Header=BB4_6192 Depth=3
	s_andn2_saveexec_b64 s[70:71], s[70:71]
; %bb.7080:                             ;   in Loop: Header=BB4_6192 Depth=3
	v_mov_b32_e32 v0, -1
	v_cmp_gt_i16_sdwa vcc, sext(v16), v0 src0_sel:BYTE_0 src1_sel:DWORD
	v_cndmask_b32_e32 v0, v6, v1, vcc
	v_cmp_eq_u32_e32 vcc, 0, v7
	v_mov_b32_e32 v7, 0x7f800001
	v_cndmask_b32_e32 v0, v7, v0, vcc
; %bb.7081:                             ;   in Loop: Header=BB4_6192 Depth=3
	s_or_b64 exec, exec, s[70:71]
.LBB4_7082:                             ;   in Loop: Header=BB4_6192 Depth=3
	s_or_b64 exec, exec, s[30:31]
.LBB4_7083:                             ;   in Loop: Header=BB4_6192 Depth=3
	s_or_b64 exec, exec, s[68:69]
	v_cmp_ne_u16_sdwa vcc, v4, v43 src0_sel:BYTE_0 src1_sel:DWORD
	s_and_saveexec_b64 s[30:31], vcc
	s_cbranch_execz .LBB4_7091
; %bb.7084:                             ;   in Loop: Header=BB4_6192 Depth=3
	v_cmp_ne_u16_sdwa vcc, v4, s97 src0_sel:BYTE_0 src1_sel:DWORD
	v_bfrev_b32_e32 v5, 1
	s_and_saveexec_b64 s[68:69], vcc
	s_cbranch_execz .LBB4_7090
; %bb.7085:                             ;   in Loop: Header=BB4_6192 Depth=3
	v_and_b32_e32 v5, 0x7c0000, v8
	v_bfe_u32 v7, v8, 16, 2
	v_cmp_ne_u32_e32 vcc, s36, v5
                                        ; implicit-def: $vgpr5
	s_and_saveexec_b64 s[70:71], vcc
	s_xor_b64 s[70:71], exec, s[70:71]
	s_cbranch_execz .LBB4_7087
; %bb.7086:                             ;   in Loop: Header=BB4_6192 Depth=3
	v_ffbh_u32_e32 v16, v7
	v_min_u32_e32 v18, 32, v16
	v_bfe_u32 v5, v8, 18, 5
	v_subrev_u32_e32 v16, 29, v18
	v_lshlrev_b64 v[16:17], v16, v[4:5]
	v_sub_u32_e32 v17, 30, v18
	v_and_b32_e32 v16, 3, v16
	v_cmp_eq_u32_e32 vcc, 0, v5
	v_cndmask_b32_e32 v5, v5, v17, vcc
	v_cndmask_b32_e32 v7, v7, v16, vcc
	v_bfrev_b32_e32 v16, 28
	v_lshlrev_b32_e32 v4, 24, v4
	v_lshl_add_u32 v5, v5, 23, v16
	v_and_or_b32 v4, v4, s96, v5
	v_lshl_or_b32 v5, v7, 21, v4
                                        ; implicit-def: $vgpr7
                                        ; implicit-def: $vgpr4
.LBB4_7087:                             ;   in Loop: Header=BB4_6192 Depth=3
	s_andn2_saveexec_b64 s[70:71], s[70:71]
; %bb.7088:                             ;   in Loop: Header=BB4_6192 Depth=3
	v_mov_b32_e32 v5, -1
	v_cmp_gt_i16_sdwa vcc, sext(v4), v5 src0_sel:BYTE_0 src1_sel:DWORD
	v_cndmask_b32_e32 v4, v6, v1, vcc
	v_cmp_eq_u32_e32 vcc, 0, v7
	v_mov_b32_e32 v5, 0x7f800001
	v_cndmask_b32_e32 v5, v5, v4, vcc
; %bb.7089:                             ;   in Loop: Header=BB4_6192 Depth=3
	s_or_b64 exec, exec, s[70:71]
.LBB4_7090:                             ;   in Loop: Header=BB4_6192 Depth=3
	s_or_b64 exec, exec, s[68:69]
.LBB4_7091:                             ;   in Loop: Header=BB4_6192 Depth=3
	s_or_b64 exec, exec, s[30:31]
	v_max_f32_e32 v4, v5, v5
	v_max_f32_e32 v0, v0, v0
	v_min_f32_e32 v5, v0, v4
.LBB4_7092:                             ;   in Loop: Header=BB4_6192 Depth=3
	v_and_b32_sdwa v0, v5, s97 dst_sel:DWORD dst_unused:UNUSED_PAD src0_sel:BYTE_3 src1_sel:DWORD
	v_and_b32_e32 v16, 0x7f800000, v5
	v_mov_b32_e32 v17, v43
	v_and_b32_e32 v42, 0x7fffff, v5
	v_or_b32_e32 v7, 0x7b, v0
	v_cmp_ne_u64_e32 vcc, s[52:53], v[16:17]
	s_and_saveexec_b64 s[30:31], vcc
	s_xor_b64 s[68:69], exec, s[30:31]
	s_cbranch_execz .LBB4_7102
; %bb.7093:                             ;   in Loop: Header=BB4_6192 Depth=3
	v_and_b32_e32 v16, 0x7fffffff, v5
	v_mov_b32_e32 v17, v43
	v_cmp_gt_u64_e32 vcc, s[54:55], v[16:17]
	s_and_saveexec_b64 s[70:71], vcc
	s_cbranch_execz .LBB4_7101
; %bb.7094:                             ;   in Loop: Header=BB4_6192 Depth=3
	v_cmp_ne_u32_e32 vcc, 0, v5
	v_mov_b32_e32 v7, 0
	s_and_saveexec_b64 s[72:73], vcc
	s_cbranch_execz .LBB4_7100
; %bb.7095:                             ;   in Loop: Header=BB4_6192 Depth=3
	v_bfe_u32 v4, v5, 23, 8
	v_cmp_eq_u32_e32 vcc, 0, v4
	v_add_u32_e32 v5, 0xffffff81, v4
	v_cmp_gt_u32_e64 s[30:31], s38, v4
	v_sub_u32_e32 v4, 0x71, v4
	v_mov_b32_e32 v16, 0xffffff82
	v_cndmask_b32_e64 v4, 0, v4, s[30:31]
	v_cndmask_b32_e32 v18, v5, v16, vcc
	v_mov_b32_e32 v5, 0x70
	v_cndmask_b32_e32 v19, v4, v5, vcc
	v_add_u32_e32 v4, 21, v19
	v_or_b32_e32 v7, 0x800000, v42
	v_lshlrev_b64 v[4:5], v4, -1
	v_cndmask_b32_e32 v42, v7, v42, vcc
	v_not_b32_e32 v5, v5
	v_not_b32_e32 v4, v4
	v_add_u32_e32 v7, 20, v19
	v_and_b32_e32 v5, 0, v5
	v_and_b32_e32 v4, v42, v4
	v_lshlrev_b64 v[16:17], v7, 1
	v_cmp_eq_u64_e32 vcc, v[4:5], v[16:17]
	v_lshrrev_b64 v[4:5], v19, v[42:43]
	v_lshrrev_b32_e32 v7, 23, v4
	v_add3_u32 v17, v19, v18, v7
	v_bfe_u32 v7, v4, 21, 1
	v_add_u32_e32 v7, -1, v7
	v_cndmask_b32_e32 v7, 0, v7, vcc
	v_add_u32_e32 v7, v7, v4
	v_and_b32_e32 v7, 0x1fffff, v7
	v_add_co_u32_e32 v4, vcc, v7, v4
	v_add_u32_e32 v16, 14, v17
	v_addc_co_u32_e32 v5, vcc, 0, v5, vcc
	v_cmp_ne_u32_e32 vcc, 0, v16
                                        ; implicit-def: $vgpr7
	s_and_saveexec_b64 s[30:31], vcc
	s_xor_b64 s[30:31], exec, s[30:31]
; %bb.7096:                             ;   in Loop: Header=BB4_6192 Depth=3
	v_add_u32_e32 v7, 15, v17
	v_cmp_lt_u64_e32 vcc, s[56:57], v[4:5]
	v_cndmask_b32_e32 v7, v16, v7, vcc
	v_cndmask_b32_e64 v16, 0, 1, vcc
	v_lshrrev_b64 v[4:5], v16, v[4:5]
; %bb.7097:                             ;   in Loop: Header=BB4_6192 Depth=3
	s_andn2_saveexec_b64 vcc, s[30:31]
; %bb.7098:                             ;   in Loop: Header=BB4_6192 Depth=3
	v_bfe_u32 v7, v4, 23, 1
; %bb.7099:                             ;   in Loop: Header=BB4_6192 Depth=3
	s_or_b64 exec, exec, vcc
	v_lshrrev_b64 v[4:5], 21, v[4:5]
	v_cmp_gt_i32_e32 vcc, 32, v7
	v_cndmask_b32_e32 v5, 0, v5, vcc
	v_cndmask_b32_e32 v4, 3, v4, vcc
	v_cmp_eq_u64_e64 s[30:31], 0, v[4:5]
	v_min_i32_e32 v5, 31, v7
	v_cmp_eq_u32_e32 vcc, 0, v7
	v_lshlrev_b32_e32 v5, 2, v5
	v_and_or_b32 v4, v4, 3, v5
	s_and_b64 vcc, vcc, s[30:31]
	v_cndmask_b32_e64 v4, v4, 0, vcc
	v_or_b32_e32 v7, v4, v0
.LBB4_7100:                             ;   in Loop: Header=BB4_6192 Depth=3
	s_or_b64 exec, exec, s[72:73]
.LBB4_7101:                             ;   in Loop: Header=BB4_6192 Depth=3
	s_or_b64 exec, exec, s[70:71]
                                        ; implicit-def: $vgpr5
.LBB4_7102:                             ;   in Loop: Header=BB4_6192 Depth=3
	s_andn2_saveexec_b64 s[30:31], s[68:69]
; %bb.7103:                             ;   in Loop: Header=BB4_6192 Depth=3
	v_or_b32_sdwa v0, v5, s39 dst_sel:DWORD dst_unused:UNUSED_PAD src0_sel:BYTE_3 src1_sel:DWORD
	v_cmp_eq_u64_e32 vcc, 0, v[42:43]
	v_cndmask_b32_e32 v7, v0, v7, vcc
; %bb.7104:                             ;   in Loop: Header=BB4_6192 Depth=3
	s_or_b64 exec, exec, s[30:31]
	v_lshrrev_b32_e32 v16, 24, v12
	v_lshrrev_b32_e32 v4, 24, v8
	s_and_b64 vcc, exec, s[28:29]
	v_cmp_lt_u32_e64 s[30:31], s43, v12
	s_cbranch_vccnz .LBB4_7122
; %bb.7105:                             ;   in Loop: Header=BB4_6192 Depth=3
	v_mov_b32_e32 v5, 0
	v_mov_b32_e32 v0, 0
	s_and_saveexec_b64 s[68:69], s[30:31]
	s_cbranch_execz .LBB4_7113
; %bb.7106:                             ;   in Loop: Header=BB4_6192 Depth=3
	v_cmp_ne_u32_e32 vcc, s97, v16
	v_bfrev_b32_e32 v0, 1
	s_and_saveexec_b64 s[70:71], vcc
	s_cbranch_execz .LBB4_7112
; %bb.7107:                             ;   in Loop: Header=BB4_6192 Depth=3
	v_and_b32_e32 v0, 0x7c000000, v12
	v_bfe_u32 v17, v12, 24, 2
	v_cmp_ne_u32_e32 vcc, s37, v0
                                        ; implicit-def: $vgpr0
	s_and_saveexec_b64 s[72:73], vcc
	s_xor_b64 s[72:73], exec, s[72:73]
	s_cbranch_execz .LBB4_7109
; %bb.7108:                             ;   in Loop: Header=BB4_6192 Depth=3
	v_ffbh_u32_e32 v18, v17
	v_min_u32_e32 v30, 32, v18
	v_subrev_u32_e32 v18, 29, v30
	v_bfe_u32 v0, v12, 26, 5
	v_lshlrev_b64 v[18:19], v18, v[16:17]
	v_sub_u32_e32 v19, 30, v30
	v_and_b32_e32 v18, 3, v18
	v_cmp_eq_u32_e32 vcc, 0, v0
	v_cndmask_b32_e32 v0, v0, v19, vcc
	v_cndmask_b32_e32 v17, v17, v18, vcc
	v_bfrev_b32_e32 v18, 28
	v_lshl_add_u32 v0, v0, 23, v18
	v_and_or_b32 v0, v12, s96, v0
	v_lshl_or_b32 v0, v17, 21, v0
                                        ; implicit-def: $vgpr17
.LBB4_7109:                             ;   in Loop: Header=BB4_6192 Depth=3
	s_andn2_saveexec_b64 s[72:73], s[72:73]
; %bb.7110:                             ;   in Loop: Header=BB4_6192 Depth=3
	v_cmp_lt_i32_e32 vcc, -1, v12
	v_cndmask_b32_e32 v0, v6, v1, vcc
	v_cmp_eq_u32_e32 vcc, 0, v17
	v_mov_b32_e32 v17, 0x7f800001
	v_cndmask_b32_e32 v0, v17, v0, vcc
; %bb.7111:                             ;   in Loop: Header=BB4_6192 Depth=3
	s_or_b64 exec, exec, s[72:73]
.LBB4_7112:                             ;   in Loop: Header=BB4_6192 Depth=3
	s_or_b64 exec, exec, s[70:71]
.LBB4_7113:                             ;   in Loop: Header=BB4_6192 Depth=3
	s_or_b64 exec, exec, s[68:69]
	v_cmp_lt_u32_e32 vcc, s43, v8
	s_and_saveexec_b64 s[68:69], vcc
	s_cbranch_execz .LBB4_7121
; %bb.7114:                             ;   in Loop: Header=BB4_6192 Depth=3
	v_cmp_ne_u32_e32 vcc, s97, v4
	v_bfrev_b32_e32 v5, 1
	s_and_saveexec_b64 s[70:71], vcc
	s_cbranch_execz .LBB4_7120
; %bb.7115:                             ;   in Loop: Header=BB4_6192 Depth=3
	v_and_b32_e32 v5, 0x7c000000, v8
	v_bfe_u32 v17, v8, 24, 2
	v_cmp_ne_u32_e32 vcc, s37, v5
                                        ; implicit-def: $vgpr5
	s_and_saveexec_b64 s[72:73], vcc
	s_xor_b64 s[72:73], exec, s[72:73]
	s_cbranch_execz .LBB4_7117
; %bb.7116:                             ;   in Loop: Header=BB4_6192 Depth=3
	v_ffbh_u32_e32 v18, v17
	v_min_u32_e32 v30, 32, v18
	v_bfe_u32 v5, v8, 26, 5
	v_subrev_u32_e32 v18, 29, v30
	v_lshlrev_b64 v[18:19], v18, v[4:5]
	v_sub_u32_e32 v19, 30, v30
	v_and_b32_e32 v18, 3, v18
	v_cmp_eq_u32_e32 vcc, 0, v5
	v_cndmask_b32_e32 v5, v5, v19, vcc
	v_cndmask_b32_e32 v17, v17, v18, vcc
	v_bfrev_b32_e32 v18, 28
	v_lshl_add_u32 v5, v5, 23, v18
	v_and_or_b32 v5, v8, s96, v5
	v_lshl_or_b32 v5, v17, 21, v5
                                        ; implicit-def: $vgpr17
.LBB4_7117:                             ;   in Loop: Header=BB4_6192 Depth=3
	s_andn2_saveexec_b64 s[72:73], s[72:73]
; %bb.7118:                             ;   in Loop: Header=BB4_6192 Depth=3
	v_cmp_lt_i32_e32 vcc, -1, v8
	v_cndmask_b32_e32 v5, v6, v1, vcc
	v_cmp_eq_u32_e32 vcc, 0, v17
	v_mov_b32_e32 v17, 0x7f800001
	v_cndmask_b32_e32 v5, v17, v5, vcc
; %bb.7119:                             ;   in Loop: Header=BB4_6192 Depth=3
	s_or_b64 exec, exec, s[72:73]
.LBB4_7120:                             ;   in Loop: Header=BB4_6192 Depth=3
	s_or_b64 exec, exec, s[70:71]
.LBB4_7121:                             ;   in Loop: Header=BB4_6192 Depth=3
	s_or_b64 exec, exec, s[68:69]
	v_max_f32_e32 v5, v5, v5
	v_max_f32_e32 v0, v0, v0
	;; [unrolled: 1-line block ×3, first 2 shown]
	s_branch .LBB4_7140
.LBB4_7122:                             ;   in Loop: Header=BB4_6192 Depth=3
                                        ; implicit-def: $vgpr5
	s_cbranch_execz .LBB4_7140
; %bb.7123:                             ;   in Loop: Header=BB4_6192 Depth=3
	v_mov_b32_e32 v5, 0
	v_mov_b32_e32 v0, 0
	s_and_saveexec_b64 s[68:69], s[30:31]
	s_cbranch_execz .LBB4_7131
; %bb.7124:                             ;   in Loop: Header=BB4_6192 Depth=3
	v_cmp_ne_u32_e32 vcc, s97, v16
	v_bfrev_b32_e32 v0, 1
	s_and_saveexec_b64 s[30:31], vcc
	s_cbranch_execz .LBB4_7130
; %bb.7125:                             ;   in Loop: Header=BB4_6192 Depth=3
	v_and_b32_e32 v0, 0x7c000000, v12
	v_bfe_u32 v17, v12, 24, 2
	v_cmp_ne_u32_e32 vcc, s37, v0
                                        ; implicit-def: $vgpr0
	s_and_saveexec_b64 s[70:71], vcc
	s_xor_b64 s[70:71], exec, s[70:71]
	s_cbranch_execz .LBB4_7127
; %bb.7126:                             ;   in Loop: Header=BB4_6192 Depth=3
	v_ffbh_u32_e32 v18, v17
	v_min_u32_e32 v30, 32, v18
	v_subrev_u32_e32 v18, 29, v30
	v_bfe_u32 v0, v12, 26, 5
	v_lshlrev_b64 v[18:19], v18, v[16:17]
	v_sub_u32_e32 v16, 30, v30
	v_and_b32_e32 v18, 3, v18
	v_cmp_eq_u32_e32 vcc, 0, v0
	v_cndmask_b32_e32 v0, v0, v16, vcc
	v_cndmask_b32_e32 v16, v17, v18, vcc
	v_bfrev_b32_e32 v17, 28
	v_lshl_add_u32 v0, v0, 23, v17
	v_and_or_b32 v0, v12, s96, v0
	v_lshl_or_b32 v0, v16, 21, v0
                                        ; implicit-def: $vgpr17
.LBB4_7127:                             ;   in Loop: Header=BB4_6192 Depth=3
	s_andn2_saveexec_b64 s[70:71], s[70:71]
; %bb.7128:                             ;   in Loop: Header=BB4_6192 Depth=3
	v_cmp_lt_i32_e32 vcc, -1, v12
	v_cndmask_b32_e32 v0, v6, v1, vcc
	v_cmp_eq_u32_e32 vcc, 0, v17
	v_mov_b32_e32 v16, 0x7f800001
	v_cndmask_b32_e32 v0, v16, v0, vcc
; %bb.7129:                             ;   in Loop: Header=BB4_6192 Depth=3
	s_or_b64 exec, exec, s[70:71]
.LBB4_7130:                             ;   in Loop: Header=BB4_6192 Depth=3
	s_or_b64 exec, exec, s[30:31]
.LBB4_7131:                             ;   in Loop: Header=BB4_6192 Depth=3
	s_or_b64 exec, exec, s[68:69]
	v_cmp_lt_u32_e32 vcc, s43, v8
	s_and_saveexec_b64 s[30:31], vcc
	s_cbranch_execz .LBB4_7139
; %bb.7132:                             ;   in Loop: Header=BB4_6192 Depth=3
	v_cmp_ne_u32_e32 vcc, s97, v4
	v_bfrev_b32_e32 v5, 1
	s_and_saveexec_b64 s[68:69], vcc
	s_cbranch_execz .LBB4_7138
; %bb.7133:                             ;   in Loop: Header=BB4_6192 Depth=3
	v_and_b32_e32 v5, 0x7c000000, v8
	v_bfe_u32 v16, v8, 24, 2
	v_cmp_ne_u32_e32 vcc, s37, v5
                                        ; implicit-def: $vgpr5
	s_and_saveexec_b64 s[70:71], vcc
	s_xor_b64 s[70:71], exec, s[70:71]
	s_cbranch_execz .LBB4_7135
; %bb.7134:                             ;   in Loop: Header=BB4_6192 Depth=3
	v_ffbh_u32_e32 v5, v16
	v_min_u32_e32 v18, 32, v5
	v_subrev_u32_e32 v5, 29, v18
	v_bfe_u32 v17, v8, 26, 5
	v_lshlrev_b64 v[4:5], v5, v[4:5]
	v_sub_u32_e32 v5, 30, v18
	v_and_b32_e32 v4, 3, v4
	v_cmp_eq_u32_e32 vcc, 0, v17
	v_cndmask_b32_e32 v5, v17, v5, vcc
	v_cndmask_b32_e32 v4, v16, v4, vcc
	v_bfrev_b32_e32 v16, 28
	v_lshl_add_u32 v5, v5, 23, v16
	v_and_or_b32 v5, v8, s96, v5
	v_lshl_or_b32 v5, v4, 21, v5
                                        ; implicit-def: $vgpr16
.LBB4_7135:                             ;   in Loop: Header=BB4_6192 Depth=3
	s_andn2_saveexec_b64 s[70:71], s[70:71]
; %bb.7136:                             ;   in Loop: Header=BB4_6192 Depth=3
	v_cmp_lt_i32_e32 vcc, -1, v8
	v_cndmask_b32_e32 v4, v6, v1, vcc
	v_cmp_eq_u32_e32 vcc, 0, v16
	v_mov_b32_e32 v5, 0x7f800001
	v_cndmask_b32_e32 v5, v5, v4, vcc
; %bb.7137:                             ;   in Loop: Header=BB4_6192 Depth=3
	s_or_b64 exec, exec, s[70:71]
.LBB4_7138:                             ;   in Loop: Header=BB4_6192 Depth=3
	s_or_b64 exec, exec, s[68:69]
.LBB4_7139:                             ;   in Loop: Header=BB4_6192 Depth=3
	s_or_b64 exec, exec, s[30:31]
	v_max_f32_e32 v4, v5, v5
	v_max_f32_e32 v0, v0, v0
	v_min_f32_e32 v5, v0, v4
.LBB4_7140:                             ;   in Loop: Header=BB4_6192 Depth=3
	v_and_b32_sdwa v0, v5, s97 dst_sel:DWORD dst_unused:UNUSED_PAD src0_sel:BYTE_3 src1_sel:DWORD
	v_and_b32_e32 v16, 0x7f800000, v5
	v_mov_b32_e32 v17, v43
	v_and_b32_e32 v42, 0x7fffff, v5
	v_or_b32_e32 v30, 0x7b, v0
	v_cmp_ne_u64_e32 vcc, s[52:53], v[16:17]
	s_and_saveexec_b64 s[30:31], vcc
	s_xor_b64 s[68:69], exec, s[30:31]
	s_cbranch_execz .LBB4_7150
; %bb.7141:                             ;   in Loop: Header=BB4_6192 Depth=3
	v_and_b32_e32 v16, 0x7fffffff, v5
	v_mov_b32_e32 v17, v43
	v_cmp_gt_u64_e32 vcc, s[54:55], v[16:17]
	s_and_saveexec_b64 s[70:71], vcc
	s_cbranch_execz .LBB4_7149
; %bb.7142:                             ;   in Loop: Header=BB4_6192 Depth=3
	v_cmp_ne_u32_e32 vcc, 0, v5
	v_mov_b32_e32 v30, 0
	s_and_saveexec_b64 s[72:73], vcc
	s_cbranch_execz .LBB4_7148
; %bb.7143:                             ;   in Loop: Header=BB4_6192 Depth=3
	v_bfe_u32 v4, v5, 23, 8
	v_cmp_eq_u32_e32 vcc, 0, v4
	v_add_u32_e32 v5, 0xffffff81, v4
	v_cmp_gt_u32_e64 s[30:31], s38, v4
	v_sub_u32_e32 v4, 0x71, v4
	v_mov_b32_e32 v17, 0xffffff82
	v_cndmask_b32_e64 v4, 0, v4, s[30:31]
	v_cndmask_b32_e32 v18, v5, v17, vcc
	v_mov_b32_e32 v5, 0x70
	v_cndmask_b32_e32 v19, v4, v5, vcc
	v_add_u32_e32 v4, 21, v19
	v_or_b32_e32 v16, 0x800000, v42
	v_lshlrev_b64 v[4:5], v4, -1
	v_cndmask_b32_e32 v42, v16, v42, vcc
	v_not_b32_e32 v5, v5
	v_not_b32_e32 v4, v4
	v_add_u32_e32 v16, 20, v19
	v_and_b32_e32 v5, 0, v5
	v_and_b32_e32 v4, v42, v4
	v_lshlrev_b64 v[16:17], v16, 1
	v_cmp_eq_u64_e32 vcc, v[4:5], v[16:17]
	v_lshrrev_b64 v[4:5], v19, v[42:43]
	v_lshrrev_b32_e32 v16, 23, v4
	v_add3_u32 v18, v19, v18, v16
	v_bfe_u32 v16, v4, 21, 1
	v_add_u32_e32 v16, -1, v16
	v_cndmask_b32_e32 v16, 0, v16, vcc
	v_add_u32_e32 v16, v16, v4
	v_and_b32_e32 v16, 0x1fffff, v16
	v_add_co_u32_e32 v4, vcc, v16, v4
	v_add_u32_e32 v17, 14, v18
	v_addc_co_u32_e32 v5, vcc, 0, v5, vcc
	v_cmp_ne_u32_e32 vcc, 0, v17
                                        ; implicit-def: $vgpr16
	s_and_saveexec_b64 s[30:31], vcc
	s_xor_b64 s[30:31], exec, s[30:31]
; %bb.7144:                             ;   in Loop: Header=BB4_6192 Depth=3
	v_add_u32_e32 v16, 15, v18
	v_cmp_lt_u64_e32 vcc, s[56:57], v[4:5]
	v_cndmask_b32_e32 v16, v17, v16, vcc
	v_cndmask_b32_e64 v17, 0, 1, vcc
	v_lshrrev_b64 v[4:5], v17, v[4:5]
; %bb.7145:                             ;   in Loop: Header=BB4_6192 Depth=3
	s_andn2_saveexec_b64 vcc, s[30:31]
; %bb.7146:                             ;   in Loop: Header=BB4_6192 Depth=3
	v_bfe_u32 v16, v4, 23, 1
; %bb.7147:                             ;   in Loop: Header=BB4_6192 Depth=3
	s_or_b64 exec, exec, vcc
	v_lshrrev_b64 v[4:5], 21, v[4:5]
	v_cmp_gt_i32_e32 vcc, 32, v16
	v_cndmask_b32_e32 v5, 0, v5, vcc
	v_cndmask_b32_e32 v4, 3, v4, vcc
	v_cmp_eq_u64_e64 s[30:31], 0, v[4:5]
	v_min_i32_e32 v5, 31, v16
	v_cmp_eq_u32_e32 vcc, 0, v16
	v_lshlrev_b32_e32 v5, 2, v5
	v_and_or_b32 v4, v4, 3, v5
	s_and_b64 vcc, vcc, s[30:31]
	v_cndmask_b32_e64 v4, v4, 0, vcc
	v_or_b32_e32 v30, v4, v0
.LBB4_7148:                             ;   in Loop: Header=BB4_6192 Depth=3
	s_or_b64 exec, exec, s[72:73]
.LBB4_7149:                             ;   in Loop: Header=BB4_6192 Depth=3
	s_or_b64 exec, exec, s[70:71]
                                        ; implicit-def: $vgpr5
.LBB4_7150:                             ;   in Loop: Header=BB4_6192 Depth=3
	s_andn2_saveexec_b64 s[30:31], s[68:69]
; %bb.7151:                             ;   in Loop: Header=BB4_6192 Depth=3
	v_or_b32_sdwa v0, v5, s39 dst_sel:DWORD dst_unused:UNUSED_PAD src0_sel:BYTE_3 src1_sel:DWORD
	v_cmp_eq_u64_e32 vcc, 0, v[42:43]
	v_cndmask_b32_e32 v30, v0, v30, vcc
; %bb.7152:                             ;   in Loop: Header=BB4_6192 Depth=3
	s_or_b64 exec, exec, s[30:31]
	v_mov_b32_e32 v42, v13
	v_mov_b32_e32 v4, v9
	;; [unrolled: 1-line block ×3, first 2 shown]
	s_and_b64 vcc, exec, s[28:29]
	v_cmp_ne_u16_sdwa s[30:31], v13, v43 src0_sel:BYTE_0 src1_sel:DWORD
	s_cbranch_vccnz .LBB4_7170
; %bb.7153:                             ;   in Loop: Header=BB4_6192 Depth=3
	v_mov_b32_e32 v16, 0
	v_mov_b32_e32 v0, 0
	s_and_saveexec_b64 s[68:69], s[30:31]
	s_cbranch_execz .LBB4_7161
; %bb.7154:                             ;   in Loop: Header=BB4_6192 Depth=3
	v_cmp_ne_u16_sdwa vcc, v13, s97 src0_sel:BYTE_0 src1_sel:DWORD
	v_bfrev_b32_e32 v0, 1
	s_and_saveexec_b64 s[70:71], vcc
	s_cbranch_execz .LBB4_7160
; %bb.7155:                             ;   in Loop: Header=BB4_6192 Depth=3
	v_and_b32_e32 v0, 0x7c, v13
	v_and_b32_e32 v17, 3, v13
	v_cmp_ne_u32_e32 vcc, s95, v0
                                        ; implicit-def: $vgpr0
	s_and_saveexec_b64 s[72:73], vcc
	s_xor_b64 s[72:73], exec, s[72:73]
	s_cbranch_execz .LBB4_7157
; %bb.7156:                             ;   in Loop: Header=BB4_6192 Depth=3
	v_ffbh_u32_e32 v18, v17
	v_min_u32_e32 v32, 32, v18
	v_subrev_u32_e32 v18, 29, v32
	v_bfe_u32 v0, v13, 2, 5
	v_lshlrev_b64 v[18:19], v18, v[42:43]
	v_sub_u32_e32 v19, 30, v32
	v_cmp_eq_u32_e32 vcc, 0, v0
	v_and_b32_e32 v18, 3, v18
	v_cndmask_b32_e32 v0, v0, v19, vcc
	v_bfrev_b32_e32 v19, 28
	v_cndmask_b32_e32 v17, v17, v18, vcc
	v_lshlrev_b32_e32 v18, 24, v13
	v_lshl_add_u32 v0, v0, 23, v19
	v_and_or_b32 v0, v18, s96, v0
	v_lshl_or_b32 v0, v17, 21, v0
                                        ; implicit-def: $vgpr17
.LBB4_7157:                             ;   in Loop: Header=BB4_6192 Depth=3
	s_andn2_saveexec_b64 s[72:73], s[72:73]
; %bb.7158:                             ;   in Loop: Header=BB4_6192 Depth=3
	v_mov_b32_e32 v0, -1
	v_cmp_gt_i16_sdwa vcc, sext(v13), v0 src0_sel:BYTE_0 src1_sel:DWORD
	v_cndmask_b32_e32 v0, v6, v1, vcc
	v_cmp_eq_u32_e32 vcc, 0, v17
	v_mov_b32_e32 v17, 0x7f800001
	v_cndmask_b32_e32 v0, v17, v0, vcc
; %bb.7159:                             ;   in Loop: Header=BB4_6192 Depth=3
	s_or_b64 exec, exec, s[72:73]
.LBB4_7160:                             ;   in Loop: Header=BB4_6192 Depth=3
	s_or_b64 exec, exec, s[70:71]
.LBB4_7161:                             ;   in Loop: Header=BB4_6192 Depth=3
	s_or_b64 exec, exec, s[68:69]
	v_cmp_ne_u16_sdwa vcc, v9, v43 src0_sel:BYTE_0 src1_sel:DWORD
	s_and_saveexec_b64 s[68:69], vcc
	s_cbranch_execz .LBB4_7169
; %bb.7162:                             ;   in Loop: Header=BB4_6192 Depth=3
	v_cmp_ne_u16_sdwa vcc, v9, s97 src0_sel:BYTE_0 src1_sel:DWORD
	v_bfrev_b32_e32 v16, 1
	s_and_saveexec_b64 s[70:71], vcc
	s_cbranch_execz .LBB4_7168
; %bb.7163:                             ;   in Loop: Header=BB4_6192 Depth=3
	v_and_b32_e32 v16, 0x7c, v9
	v_and_b32_e32 v17, 3, v9
	v_cmp_ne_u32_e32 vcc, s95, v16
                                        ; implicit-def: $vgpr16
	s_and_saveexec_b64 s[72:73], vcc
	s_xor_b64 s[72:73], exec, s[72:73]
	s_cbranch_execz .LBB4_7165
; %bb.7164:                             ;   in Loop: Header=BB4_6192 Depth=3
	v_ffbh_u32_e32 v18, v17
	v_min_u32_e32 v32, 32, v18
	v_subrev_u32_e32 v18, 29, v32
	v_bfe_u32 v16, v9, 2, 5
	v_lshlrev_b64 v[18:19], v18, v[4:5]
	v_sub_u32_e32 v19, 30, v32
	v_cmp_eq_u32_e32 vcc, 0, v16
	v_and_b32_e32 v18, 3, v18
	v_cndmask_b32_e32 v16, v16, v19, vcc
	v_bfrev_b32_e32 v19, 28
	v_cndmask_b32_e32 v17, v17, v18, vcc
	v_lshlrev_b32_e32 v18, 24, v9
	v_lshl_add_u32 v16, v16, 23, v19
	v_and_or_b32 v16, v18, s96, v16
	v_lshl_or_b32 v16, v17, 21, v16
                                        ; implicit-def: $vgpr17
.LBB4_7165:                             ;   in Loop: Header=BB4_6192 Depth=3
	s_andn2_saveexec_b64 s[72:73], s[72:73]
; %bb.7166:                             ;   in Loop: Header=BB4_6192 Depth=3
	v_mov_b32_e32 v16, -1
	v_cmp_gt_i16_sdwa vcc, sext(v9), v16 src0_sel:BYTE_0 src1_sel:DWORD
	v_cndmask_b32_e32 v16, v6, v1, vcc
	v_cmp_eq_u32_e32 vcc, 0, v17
	v_mov_b32_e32 v17, 0x7f800001
	v_cndmask_b32_e32 v16, v17, v16, vcc
; %bb.7167:                             ;   in Loop: Header=BB4_6192 Depth=3
	s_or_b64 exec, exec, s[72:73]
.LBB4_7168:                             ;   in Loop: Header=BB4_6192 Depth=3
	s_or_b64 exec, exec, s[70:71]
.LBB4_7169:                             ;   in Loop: Header=BB4_6192 Depth=3
	s_or_b64 exec, exec, s[68:69]
	v_max_f32_e32 v16, v16, v16
	v_max_f32_e32 v0, v0, v0
	;; [unrolled: 1-line block ×3, first 2 shown]
	s_branch .LBB4_7188
.LBB4_7170:                             ;   in Loop: Header=BB4_6192 Depth=3
                                        ; implicit-def: $vgpr18
	s_cbranch_execz .LBB4_7188
; %bb.7171:                             ;   in Loop: Header=BB4_6192 Depth=3
	v_mov_b32_e32 v16, 0
	v_mov_b32_e32 v0, 0
	s_and_saveexec_b64 s[68:69], s[30:31]
	s_cbranch_execz .LBB4_7179
; %bb.7172:                             ;   in Loop: Header=BB4_6192 Depth=3
	v_cmp_ne_u16_sdwa vcc, v13, s97 src0_sel:BYTE_0 src1_sel:DWORD
	v_bfrev_b32_e32 v0, 1
	s_and_saveexec_b64 s[30:31], vcc
	s_cbranch_execz .LBB4_7178
; %bb.7173:                             ;   in Loop: Header=BB4_6192 Depth=3
	v_and_b32_e32 v0, 0x7c, v13
	v_and_b32_e32 v17, 3, v13
	v_cmp_ne_u32_e32 vcc, s95, v0
                                        ; implicit-def: $vgpr0
	s_and_saveexec_b64 s[70:71], vcc
	s_xor_b64 s[70:71], exec, s[70:71]
	s_cbranch_execz .LBB4_7175
; %bb.7174:                             ;   in Loop: Header=BB4_6192 Depth=3
	v_ffbh_u32_e32 v18, v17
	v_min_u32_e32 v32, 32, v18
	v_subrev_u32_e32 v18, 29, v32
	v_bfe_u32 v0, v13, 2, 5
	v_lshlrev_b64 v[18:19], v18, v[42:43]
	v_sub_u32_e32 v19, 30, v32
	v_cmp_eq_u32_e32 vcc, 0, v0
	v_and_b32_e32 v18, 3, v18
	v_cndmask_b32_e32 v0, v0, v19, vcc
	v_bfrev_b32_e32 v19, 28
	v_cndmask_b32_e32 v17, v17, v18, vcc
	v_lshlrev_b32_e32 v18, 24, v13
	v_lshl_add_u32 v0, v0, 23, v19
	v_and_or_b32 v0, v18, s96, v0
	v_lshl_or_b32 v0, v17, 21, v0
                                        ; implicit-def: $vgpr17
.LBB4_7175:                             ;   in Loop: Header=BB4_6192 Depth=3
	s_andn2_saveexec_b64 s[70:71], s[70:71]
; %bb.7176:                             ;   in Loop: Header=BB4_6192 Depth=3
	v_mov_b32_e32 v0, -1
	v_cmp_gt_i16_sdwa vcc, sext(v13), v0 src0_sel:BYTE_0 src1_sel:DWORD
	v_cndmask_b32_e32 v0, v6, v1, vcc
	v_cmp_eq_u32_e32 vcc, 0, v17
	v_mov_b32_e32 v17, 0x7f800001
	v_cndmask_b32_e32 v0, v17, v0, vcc
; %bb.7177:                             ;   in Loop: Header=BB4_6192 Depth=3
	s_or_b64 exec, exec, s[70:71]
.LBB4_7178:                             ;   in Loop: Header=BB4_6192 Depth=3
	s_or_b64 exec, exec, s[30:31]
.LBB4_7179:                             ;   in Loop: Header=BB4_6192 Depth=3
	s_or_b64 exec, exec, s[68:69]
	v_cmp_ne_u16_sdwa vcc, v9, v43 src0_sel:BYTE_0 src1_sel:DWORD
	s_and_saveexec_b64 s[30:31], vcc
	s_cbranch_execz .LBB4_7187
; %bb.7180:                             ;   in Loop: Header=BB4_6192 Depth=3
	v_cmp_ne_u16_sdwa vcc, v9, s97 src0_sel:BYTE_0 src1_sel:DWORD
	v_bfrev_b32_e32 v16, 1
	s_and_saveexec_b64 s[68:69], vcc
	s_cbranch_execz .LBB4_7186
; %bb.7181:                             ;   in Loop: Header=BB4_6192 Depth=3
	v_and_b32_e32 v16, 0x7c, v9
	v_and_b32_e32 v17, 3, v9
	v_cmp_ne_u32_e32 vcc, s95, v16
                                        ; implicit-def: $vgpr16
	s_and_saveexec_b64 s[70:71], vcc
	s_xor_b64 s[70:71], exec, s[70:71]
	s_cbranch_execz .LBB4_7183
; %bb.7182:                             ;   in Loop: Header=BB4_6192 Depth=3
	v_ffbh_u32_e32 v18, v17
	v_min_u32_e32 v32, 32, v18
	v_subrev_u32_e32 v18, 29, v32
	v_bfe_u32 v16, v9, 2, 5
	v_lshlrev_b64 v[18:19], v18, v[4:5]
	v_sub_u32_e32 v5, 30, v32
	v_and_b32_e32 v18, 3, v18
	v_cmp_eq_u32_e32 vcc, 0, v16
	v_cndmask_b32_e32 v5, v16, v5, vcc
	v_cndmask_b32_e32 v16, v17, v18, vcc
	v_bfrev_b32_e32 v18, 28
	v_lshlrev_b32_e32 v17, 24, v9
	v_lshl_add_u32 v5, v5, 23, v18
	v_and_or_b32 v5, v17, s96, v5
	v_lshl_or_b32 v16, v16, 21, v5
                                        ; implicit-def: $vgpr17
.LBB4_7183:                             ;   in Loop: Header=BB4_6192 Depth=3
	s_andn2_saveexec_b64 s[70:71], s[70:71]
; %bb.7184:                             ;   in Loop: Header=BB4_6192 Depth=3
	v_mov_b32_e32 v5, -1
	v_cmp_gt_i16_sdwa vcc, sext(v9), v5 src0_sel:BYTE_0 src1_sel:DWORD
	v_cndmask_b32_e32 v5, v6, v1, vcc
	v_cmp_eq_u32_e32 vcc, 0, v17
	v_mov_b32_e32 v16, 0x7f800001
	v_cndmask_b32_e32 v16, v16, v5, vcc
; %bb.7185:                             ;   in Loop: Header=BB4_6192 Depth=3
	s_or_b64 exec, exec, s[70:71]
.LBB4_7186:                             ;   in Loop: Header=BB4_6192 Depth=3
	s_or_b64 exec, exec, s[68:69]
.LBB4_7187:                             ;   in Loop: Header=BB4_6192 Depth=3
	s_or_b64 exec, exec, s[30:31]
	v_max_f32_e32 v5, v16, v16
	v_max_f32_e32 v0, v0, v0
	v_min_f32_e32 v18, v0, v5
.LBB4_7188:                             ;   in Loop: Header=BB4_6192 Depth=3
	v_and_b32_sdwa v0, v18, s97 dst_sel:DWORD dst_unused:UNUSED_PAD src0_sel:BYTE_3 src1_sel:DWORD
	v_and_b32_e32 v36, 0x7f800000, v18
	v_mov_b32_e32 v37, v43
	v_and_b32_e32 v16, 0x7fffff, v18
	v_mov_b32_e32 v17, v43
	v_or_b32_e32 v60, 0x7b, v0
	v_cmp_ne_u64_e32 vcc, s[52:53], v[36:37]
	s_and_saveexec_b64 s[30:31], vcc
	s_xor_b64 s[68:69], exec, s[30:31]
	s_cbranch_execz .LBB4_7198
; %bb.7189:                             ;   in Loop: Header=BB4_6192 Depth=3
	v_and_b32_e32 v36, 0x7fffffff, v18
	v_mov_b32_e32 v37, v43
	v_cmp_gt_u64_e32 vcc, s[54:55], v[36:37]
	s_and_saveexec_b64 s[70:71], vcc
	s_cbranch_execz .LBB4_7197
; %bb.7190:                             ;   in Loop: Header=BB4_6192 Depth=3
	v_cmp_ne_u32_e32 vcc, 0, v18
	v_mov_b32_e32 v60, 0
	s_and_saveexec_b64 s[72:73], vcc
	s_cbranch_execz .LBB4_7196
; %bb.7191:                             ;   in Loop: Header=BB4_6192 Depth=3
	v_bfe_u32 v5, v18, 23, 8
	v_cmp_eq_u32_e32 vcc, 0, v5
	v_add_u32_e32 v18, 0xffffff81, v5
	v_cmp_gt_u32_e64 s[30:31], s38, v5
	v_sub_u32_e32 v5, 0x71, v5
	v_mov_b32_e32 v32, 0xffffff82
	v_cndmask_b32_e64 v5, 0, v5, s[30:31]
	v_cndmask_b32_e32 v32, v18, v32, vcc
	v_mov_b32_e32 v18, 0x70
	v_cndmask_b32_e32 v5, v5, v18, vcc
	v_or_b32_e32 v19, 0x800000, v16
	v_add_u32_e32 v18, 21, v5
	v_cndmask_b32_e32 v16, v19, v16, vcc
	v_lshlrev_b64 v[18:19], v18, -1
	v_not_b32_e32 v19, v19
	v_not_b32_e32 v18, v18
	v_add_u32_e32 v33, 20, v5
	v_and_b32_e32 v19, 0, v19
	v_and_b32_e32 v18, v16, v18
	v_lshlrev_b64 v[36:37], v33, 1
	v_lshrrev_b64 v[16:17], v5, v[16:17]
	v_cmp_eq_u64_e32 vcc, v[18:19], v[36:37]
	v_lshrrev_b32_e32 v18, 23, v16
	v_add3_u32 v19, v5, v32, v18
	v_bfe_u32 v5, v16, 21, 1
	v_add_u32_e32 v5, -1, v5
	v_cndmask_b32_e32 v5, 0, v5, vcc
	v_add_u32_e32 v5, v5, v16
	v_and_b32_e32 v5, 0x1fffff, v5
	v_add_co_u32_e32 v16, vcc, v5, v16
	v_add_u32_e32 v18, 14, v19
	v_addc_co_u32_e32 v17, vcc, 0, v17, vcc
	v_cmp_ne_u32_e32 vcc, 0, v18
                                        ; implicit-def: $vgpr5
	s_and_saveexec_b64 s[30:31], vcc
	s_xor_b64 s[30:31], exec, s[30:31]
; %bb.7192:                             ;   in Loop: Header=BB4_6192 Depth=3
	v_add_u32_e32 v5, 15, v19
	v_cmp_lt_u64_e32 vcc, s[56:57], v[16:17]
	v_cndmask_b32_e32 v5, v18, v5, vcc
	v_cndmask_b32_e64 v18, 0, 1, vcc
	v_lshrrev_b64 v[16:17], v18, v[16:17]
; %bb.7193:                             ;   in Loop: Header=BB4_6192 Depth=3
	s_andn2_saveexec_b64 vcc, s[30:31]
; %bb.7194:                             ;   in Loop: Header=BB4_6192 Depth=3
	v_bfe_u32 v5, v16, 23, 1
; %bb.7195:                             ;   in Loop: Header=BB4_6192 Depth=3
	s_or_b64 exec, exec, vcc
	v_lshrrev_b64 v[16:17], 21, v[16:17]
	v_cmp_gt_i32_e32 vcc, 32, v5
	v_cndmask_b32_e32 v17, 0, v17, vcc
	v_cndmask_b32_e32 v16, 3, v16, vcc
	v_cmp_eq_u32_e32 vcc, 0, v5
	v_min_i32_e32 v5, 31, v5
	v_cmp_eq_u64_e64 s[30:31], 0, v[16:17]
	v_lshlrev_b32_e32 v5, 2, v5
	v_and_or_b32 v5, v16, 3, v5
	s_and_b64 vcc, vcc, s[30:31]
	v_cndmask_b32_e64 v5, v5, 0, vcc
	v_or_b32_e32 v60, v5, v0
.LBB4_7196:                             ;   in Loop: Header=BB4_6192 Depth=3
	s_or_b64 exec, exec, s[72:73]
.LBB4_7197:                             ;   in Loop: Header=BB4_6192 Depth=3
	s_or_b64 exec, exec, s[70:71]
                                        ; implicit-def: $vgpr18
                                        ; implicit-def: $vgpr16_vgpr17
.LBB4_7198:                             ;   in Loop: Header=BB4_6192 Depth=3
	s_andn2_saveexec_b64 s[30:31], s[68:69]
; %bb.7199:                             ;   in Loop: Header=BB4_6192 Depth=3
	v_or_b32_sdwa v0, v18, s39 dst_sel:DWORD dst_unused:UNUSED_PAD src0_sel:BYTE_3 src1_sel:DWORD
	v_cmp_eq_u64_e32 vcc, 0, v[16:17]
	v_cndmask_b32_e32 v60, v0, v60, vcc
; %bb.7200:                             ;   in Loop: Header=BB4_6192 Depth=3
	s_or_b64 exec, exec, s[30:31]
	v_lshrrev_b16_e32 v18, 8, v42
	v_lshrrev_b16_e32 v16, 8, v4
	s_and_b64 vcc, exec, s[28:29]
	v_cmp_ne_u16_e64 s[30:31], 0, v18
	s_cbranch_vccnz .LBB4_7218
; %bb.7201:                             ;   in Loop: Header=BB4_6192 Depth=3
	v_mov_b32_e32 v5, 0
	v_mov_b32_e32 v0, 0
	s_and_saveexec_b64 s[68:69], s[30:31]
	s_cbranch_execz .LBB4_7209
; %bb.7202:                             ;   in Loop: Header=BB4_6192 Depth=3
	v_cmp_ne_u16_e32 vcc, s97, v18
	v_bfrev_b32_e32 v0, 1
	s_and_saveexec_b64 s[70:71], vcc
	s_cbranch_execz .LBB4_7208
; %bb.7203:                             ;   in Loop: Header=BB4_6192 Depth=3
	v_and_b32_e32 v0, 0x7c, v18
	v_and_b32_e32 v17, 3, v18
	v_cmp_ne_u32_e32 vcc, s95, v0
                                        ; implicit-def: $vgpr0
	s_and_saveexec_b64 s[72:73], vcc
	s_xor_b64 s[72:73], exec, s[72:73]
	s_cbranch_execz .LBB4_7205
; %bb.7204:                             ;   in Loop: Header=BB4_6192 Depth=3
	v_ffbh_u32_e32 v32, v17
	v_min_u32_e32 v32, 32, v32
	v_mov_b32_e32 v19, v43
	v_subrev_u32_e32 v33, 29, v32
	v_bfe_u32 v0, v18, 2, 5
	v_lshlrev_b64 v[36:37], v33, v[18:19]
	v_sub_u32_e32 v19, 30, v32
	v_and_b32_e32 v32, 3, v36
	v_cmp_eq_u32_e32 vcc, 0, v0
	v_cndmask_b32_e32 v0, v0, v19, vcc
	v_cndmask_b32_e32 v17, v17, v32, vcc
	v_bfrev_b32_e32 v32, 28
	v_lshlrev_b32_e32 v19, 16, v42
	v_lshl_add_u32 v0, v0, 23, v32
	v_and_or_b32 v0, v19, s96, v0
	v_lshl_or_b32 v0, v17, 21, v0
                                        ; implicit-def: $vgpr17
.LBB4_7205:                             ;   in Loop: Header=BB4_6192 Depth=3
	s_andn2_saveexec_b64 s[72:73], s[72:73]
; %bb.7206:                             ;   in Loop: Header=BB4_6192 Depth=3
	v_cmp_lt_i16_e32 vcc, -1, v42
	v_cndmask_b32_e32 v0, v6, v1, vcc
	v_cmp_eq_u32_e32 vcc, 0, v17
	v_mov_b32_e32 v17, 0x7f800001
	v_cndmask_b32_e32 v0, v17, v0, vcc
; %bb.7207:                             ;   in Loop: Header=BB4_6192 Depth=3
	s_or_b64 exec, exec, s[72:73]
.LBB4_7208:                             ;   in Loop: Header=BB4_6192 Depth=3
	s_or_b64 exec, exec, s[70:71]
.LBB4_7209:                             ;   in Loop: Header=BB4_6192 Depth=3
	s_or_b64 exec, exec, s[68:69]
	v_cmp_ne_u16_e32 vcc, 0, v16
	s_and_saveexec_b64 s[68:69], vcc
	s_cbranch_execz .LBB4_7217
; %bb.7210:                             ;   in Loop: Header=BB4_6192 Depth=3
	v_cmp_ne_u16_e32 vcc, s97, v16
	v_bfrev_b32_e32 v5, 1
	s_and_saveexec_b64 s[70:71], vcc
	s_cbranch_execz .LBB4_7216
; %bb.7211:                             ;   in Loop: Header=BB4_6192 Depth=3
	v_and_b32_e32 v5, 0x7c, v16
	v_and_b32_e32 v19, 3, v16
	v_cmp_ne_u32_e32 vcc, s95, v5
                                        ; implicit-def: $vgpr5
	s_and_saveexec_b64 s[72:73], vcc
	s_xor_b64 s[72:73], exec, s[72:73]
	s_cbranch_execz .LBB4_7213
; %bb.7212:                             ;   in Loop: Header=BB4_6192 Depth=3
	v_ffbh_u32_e32 v32, v19
	v_min_u32_e32 v32, 32, v32
	v_mov_b32_e32 v17, v43
	v_subrev_u32_e32 v33, 29, v32
	v_bfe_u32 v5, v16, 2, 5
	v_lshlrev_b64 v[36:37], v33, v[16:17]
	v_sub_u32_e32 v17, 30, v32
	v_and_b32_e32 v32, 3, v36
	v_cmp_eq_u32_e32 vcc, 0, v5
	v_cndmask_b32_e32 v5, v5, v17, vcc
	v_cndmask_b32_e32 v17, v19, v32, vcc
	v_bfrev_b32_e32 v32, 28
	v_lshlrev_b32_e32 v19, 16, v4
	v_lshl_add_u32 v5, v5, 23, v32
	v_and_or_b32 v5, v19, s96, v5
	v_lshl_or_b32 v5, v17, 21, v5
                                        ; implicit-def: $vgpr19
.LBB4_7213:                             ;   in Loop: Header=BB4_6192 Depth=3
	s_andn2_saveexec_b64 s[72:73], s[72:73]
; %bb.7214:                             ;   in Loop: Header=BB4_6192 Depth=3
	v_cmp_lt_i16_e32 vcc, -1, v4
	v_cndmask_b32_e32 v5, v6, v1, vcc
	v_cmp_eq_u32_e32 vcc, 0, v19
	v_mov_b32_e32 v17, 0x7f800001
	v_cndmask_b32_e32 v5, v17, v5, vcc
; %bb.7215:                             ;   in Loop: Header=BB4_6192 Depth=3
	s_or_b64 exec, exec, s[72:73]
.LBB4_7216:                             ;   in Loop: Header=BB4_6192 Depth=3
	s_or_b64 exec, exec, s[70:71]
.LBB4_7217:                             ;   in Loop: Header=BB4_6192 Depth=3
	s_or_b64 exec, exec, s[68:69]
	v_max_f32_e32 v5, v5, v5
	v_max_f32_e32 v0, v0, v0
	;; [unrolled: 1-line block ×3, first 2 shown]
	s_branch .LBB4_7236
.LBB4_7218:                             ;   in Loop: Header=BB4_6192 Depth=3
                                        ; implicit-def: $vgpr5
	s_cbranch_execz .LBB4_7236
; %bb.7219:                             ;   in Loop: Header=BB4_6192 Depth=3
	v_mov_b32_e32 v17, 0
	v_mov_b32_e32 v0, 0
	s_and_saveexec_b64 s[68:69], s[30:31]
	s_cbranch_execz .LBB4_7227
; %bb.7220:                             ;   in Loop: Header=BB4_6192 Depth=3
	v_cmp_ne_u16_e32 vcc, s97, v18
	v_bfrev_b32_e32 v0, 1
	s_and_saveexec_b64 s[30:31], vcc
	s_cbranch_execz .LBB4_7226
; %bb.7221:                             ;   in Loop: Header=BB4_6192 Depth=3
	v_and_b32_e32 v0, 0x7c, v18
	v_and_b32_e32 v5, 3, v18
	v_cmp_ne_u32_e32 vcc, s95, v0
                                        ; implicit-def: $vgpr0
	s_and_saveexec_b64 s[70:71], vcc
	s_xor_b64 s[70:71], exec, s[70:71]
	s_cbranch_execz .LBB4_7223
; %bb.7222:                             ;   in Loop: Header=BB4_6192 Depth=3
	v_ffbh_u32_e32 v32, v5
	v_min_u32_e32 v32, 32, v32
	v_mov_b32_e32 v19, v43
	v_subrev_u32_e32 v33, 29, v32
	v_bfe_u32 v0, v18, 2, 5
	v_lshlrev_b64 v[18:19], v33, v[18:19]
	v_sub_u32_e32 v19, 30, v32
	v_cmp_eq_u32_e32 vcc, 0, v0
	v_and_b32_e32 v18, 3, v18
	v_cndmask_b32_e32 v0, v0, v19, vcc
	v_bfrev_b32_e32 v19, 28
	v_cndmask_b32_e32 v5, v5, v18, vcc
	v_lshlrev_b32_e32 v18, 16, v42
	v_lshl_add_u32 v0, v0, 23, v19
	v_and_or_b32 v0, v18, s96, v0
	v_lshl_or_b32 v0, v5, 21, v0
                                        ; implicit-def: $vgpr5
.LBB4_7223:                             ;   in Loop: Header=BB4_6192 Depth=3
	s_andn2_saveexec_b64 s[70:71], s[70:71]
; %bb.7224:                             ;   in Loop: Header=BB4_6192 Depth=3
	v_cmp_lt_i16_e32 vcc, -1, v42
	v_cndmask_b32_e32 v0, v6, v1, vcc
	v_cmp_eq_u32_e32 vcc, 0, v5
	v_mov_b32_e32 v5, 0x7f800001
	v_cndmask_b32_e32 v0, v5, v0, vcc
; %bb.7225:                             ;   in Loop: Header=BB4_6192 Depth=3
	s_or_b64 exec, exec, s[70:71]
.LBB4_7226:                             ;   in Loop: Header=BB4_6192 Depth=3
	s_or_b64 exec, exec, s[30:31]
.LBB4_7227:                             ;   in Loop: Header=BB4_6192 Depth=3
	s_or_b64 exec, exec, s[68:69]
	v_cmp_ne_u16_e32 vcc, 0, v16
	s_and_saveexec_b64 s[30:31], vcc
	s_cbranch_execz .LBB4_7235
; %bb.7228:                             ;   in Loop: Header=BB4_6192 Depth=3
	v_cmp_ne_u16_e32 vcc, s97, v16
	v_bfrev_b32_e32 v17, 1
	s_and_saveexec_b64 s[68:69], vcc
	s_cbranch_execz .LBB4_7234
; %bb.7229:                             ;   in Loop: Header=BB4_6192 Depth=3
	v_and_b32_e32 v5, 0x7c, v16
	v_and_b32_e32 v18, 3, v16
	v_cmp_ne_u32_e32 vcc, s95, v5
                                        ; implicit-def: $vgpr17
	s_and_saveexec_b64 s[70:71], vcc
	s_xor_b64 s[70:71], exec, s[70:71]
	s_cbranch_execz .LBB4_7231
; %bb.7230:                             ;   in Loop: Header=BB4_6192 Depth=3
	v_ffbh_u32_e32 v19, v18
	v_min_u32_e32 v19, 32, v19
	v_mov_b32_e32 v17, v43
	v_subrev_u32_e32 v32, 29, v19
	v_bfe_u32 v5, v16, 2, 5
	v_lshlrev_b64 v[16:17], v32, v[16:17]
	v_sub_u32_e32 v17, 30, v19
	v_cmp_eq_u32_e32 vcc, 0, v5
	v_cndmask_b32_e32 v5, v5, v17, vcc
	v_bfrev_b32_e32 v17, 28
	v_and_b32_e32 v16, 3, v16
	v_lshlrev_b32_e32 v4, 16, v4
	v_lshl_add_u32 v5, v5, 23, v17
	v_cndmask_b32_e32 v16, v18, v16, vcc
	v_and_or_b32 v4, v4, s96, v5
	v_lshl_or_b32 v17, v16, 21, v4
                                        ; implicit-def: $vgpr18
                                        ; implicit-def: $vgpr4_vgpr5
.LBB4_7231:                             ;   in Loop: Header=BB4_6192 Depth=3
	s_andn2_saveexec_b64 s[70:71], s[70:71]
; %bb.7232:                             ;   in Loop: Header=BB4_6192 Depth=3
	v_cmp_lt_i16_e32 vcc, -1, v4
	v_cndmask_b32_e32 v4, v6, v1, vcc
	v_cmp_eq_u32_e32 vcc, 0, v18
	v_mov_b32_e32 v5, 0x7f800001
	v_cndmask_b32_e32 v17, v5, v4, vcc
; %bb.7233:                             ;   in Loop: Header=BB4_6192 Depth=3
	s_or_b64 exec, exec, s[70:71]
.LBB4_7234:                             ;   in Loop: Header=BB4_6192 Depth=3
	s_or_b64 exec, exec, s[68:69]
.LBB4_7235:                             ;   in Loop: Header=BB4_6192 Depth=3
	s_or_b64 exec, exec, s[30:31]
	v_max_f32_e32 v4, v17, v17
	v_max_f32_e32 v0, v0, v0
	v_min_f32_e32 v5, v0, v4
.LBB4_7236:                             ;   in Loop: Header=BB4_6192 Depth=3
	v_and_b32_sdwa v16, v5, s97 dst_sel:DWORD dst_unused:UNUSED_PAD src0_sel:BYTE_3 src1_sel:DWORD
	v_and_b32_e32 v18, 0x7f800000, v5
	v_mov_b32_e32 v19, v43
	v_and_b32_e32 v42, 0x7fffff, v5
	v_or_b32_e32 v0, 0x7b, v16
	v_cmp_ne_u64_e32 vcc, s[52:53], v[18:19]
	s_and_saveexec_b64 s[30:31], vcc
	s_xor_b64 s[68:69], exec, s[30:31]
	s_cbranch_execz .LBB4_7246
; %bb.7237:                             ;   in Loop: Header=BB4_6192 Depth=3
	v_and_b32_e32 v18, 0x7fffffff, v5
	v_mov_b32_e32 v19, v43
	v_cmp_gt_u64_e32 vcc, s[54:55], v[18:19]
	s_and_saveexec_b64 s[70:71], vcc
	s_cbranch_execz .LBB4_7245
; %bb.7238:                             ;   in Loop: Header=BB4_6192 Depth=3
	v_cmp_ne_u32_e32 vcc, 0, v5
	v_mov_b32_e32 v0, 0
	s_and_saveexec_b64 s[72:73], vcc
	s_cbranch_execz .LBB4_7244
; %bb.7239:                             ;   in Loop: Header=BB4_6192 Depth=3
	v_bfe_u32 v0, v5, 23, 8
	v_cmp_eq_u32_e32 vcc, 0, v0
	v_add_u32_e32 v4, 0xffffff81, v0
	v_cmp_gt_u32_e64 s[30:31], s38, v0
	v_sub_u32_e32 v0, 0x71, v0
	v_mov_b32_e32 v17, 0xffffff82
	v_cndmask_b32_e64 v0, 0, v0, s[30:31]
	v_cndmask_b32_e32 v17, v4, v17, vcc
	v_mov_b32_e32 v4, 0x70
	v_cndmask_b32_e32 v0, v0, v4, vcc
	v_or_b32_e32 v5, 0x800000, v42
	v_add_u32_e32 v4, 21, v0
	v_cndmask_b32_e32 v42, v5, v42, vcc
	v_lshlrev_b64 v[4:5], v4, -1
	v_not_b32_e32 v5, v5
	v_not_b32_e32 v4, v4
	v_add_u32_e32 v18, 20, v0
	v_and_b32_e32 v5, 0, v5
	v_and_b32_e32 v4, v42, v4
	v_lshlrev_b64 v[18:19], v18, 1
	v_cmp_eq_u64_e32 vcc, v[4:5], v[18:19]
	v_lshrrev_b64 v[4:5], v0, v[42:43]
	v_lshrrev_b32_e32 v18, 23, v4
	v_add3_u32 v18, v0, v17, v18
	v_bfe_u32 v0, v4, 21, 1
	v_add_u32_e32 v0, -1, v0
	v_cndmask_b32_e32 v0, 0, v0, vcc
	v_add_u32_e32 v0, v0, v4
	v_and_b32_e32 v0, 0x1fffff, v0
	v_add_co_u32_e32 v4, vcc, v0, v4
	v_add_u32_e32 v17, 14, v18
	v_addc_co_u32_e32 v5, vcc, 0, v5, vcc
	v_cmp_ne_u32_e32 vcc, 0, v17
                                        ; implicit-def: $vgpr0
	s_and_saveexec_b64 s[30:31], vcc
	s_xor_b64 s[30:31], exec, s[30:31]
; %bb.7240:                             ;   in Loop: Header=BB4_6192 Depth=3
	v_add_u32_e32 v0, 15, v18
	v_cmp_lt_u64_e32 vcc, s[56:57], v[4:5]
	v_cndmask_b32_e32 v0, v17, v0, vcc
	v_cndmask_b32_e64 v17, 0, 1, vcc
	v_lshrrev_b64 v[4:5], v17, v[4:5]
; %bb.7241:                             ;   in Loop: Header=BB4_6192 Depth=3
	s_andn2_saveexec_b64 vcc, s[30:31]
; %bb.7242:                             ;   in Loop: Header=BB4_6192 Depth=3
	v_bfe_u32 v0, v4, 23, 1
; %bb.7243:                             ;   in Loop: Header=BB4_6192 Depth=3
	s_or_b64 exec, exec, vcc
	v_lshrrev_b64 v[4:5], 21, v[4:5]
	v_cmp_gt_i32_e32 vcc, 32, v0
	v_cndmask_b32_e32 v5, 0, v5, vcc
	v_cndmask_b32_e32 v4, 3, v4, vcc
	v_cmp_eq_u32_e32 vcc, 0, v0
	v_min_i32_e32 v0, 31, v0
	v_cmp_eq_u64_e64 s[30:31], 0, v[4:5]
	v_lshlrev_b32_e32 v0, 2, v0
	v_and_or_b32 v0, v4, 3, v0
	s_and_b64 vcc, vcc, s[30:31]
	v_cndmask_b32_e64 v0, v0, 0, vcc
	v_or_b32_e32 v0, v0, v16
.LBB4_7244:                             ;   in Loop: Header=BB4_6192 Depth=3
	s_or_b64 exec, exec, s[72:73]
.LBB4_7245:                             ;   in Loop: Header=BB4_6192 Depth=3
	s_or_b64 exec, exec, s[70:71]
                                        ; implicit-def: $vgpr5
.LBB4_7246:                             ;   in Loop: Header=BB4_6192 Depth=3
	s_andn2_saveexec_b64 s[30:31], s[68:69]
; %bb.7247:                             ;   in Loop: Header=BB4_6192 Depth=3
	v_or_b32_sdwa v4, v5, s39 dst_sel:DWORD dst_unused:UNUSED_PAD src0_sel:BYTE_3 src1_sel:DWORD
	v_cmp_eq_u64_e32 vcc, 0, v[42:43]
	v_cndmask_b32_e32 v0, v4, v0, vcc
; %bb.7248:                             ;   in Loop: Header=BB4_6192 Depth=3
	s_or_b64 exec, exec, s[30:31]
	v_lshrrev_b32_e32 v16, 16, v13
	v_lshrrev_b32_e32 v4, 16, v9
	s_and_b64 vcc, exec, s[28:29]
	v_cmp_ne_u16_sdwa s[30:31], v16, v43 src0_sel:BYTE_0 src1_sel:DWORD
	s_cbranch_vccnz .LBB4_7266
; %bb.7249:                             ;   in Loop: Header=BB4_6192 Depth=3
	v_mov_b32_e32 v17, 0
	v_mov_b32_e32 v5, 0
	s_and_saveexec_b64 s[68:69], s[30:31]
	s_cbranch_execz .LBB4_7257
; %bb.7250:                             ;   in Loop: Header=BB4_6192 Depth=3
	v_cmp_ne_u16_sdwa vcc, v16, s97 src0_sel:BYTE_0 src1_sel:DWORD
	v_bfrev_b32_e32 v5, 1
	s_and_saveexec_b64 s[70:71], vcc
	s_cbranch_execz .LBB4_7256
; %bb.7251:                             ;   in Loop: Header=BB4_6192 Depth=3
	v_and_b32_e32 v5, 0x7c0000, v13
	v_bfe_u32 v18, v13, 16, 2
	v_cmp_ne_u32_e32 vcc, s36, v5
                                        ; implicit-def: $vgpr5
	s_and_saveexec_b64 s[72:73], vcc
	s_xor_b64 s[72:73], exec, s[72:73]
	s_cbranch_execz .LBB4_7253
; %bb.7252:                             ;   in Loop: Header=BB4_6192 Depth=3
	v_ffbh_u32_e32 v19, v18
	v_min_u32_e32 v19, 32, v19
	v_subrev_u32_e32 v32, 29, v19
	v_bfe_u32 v5, v13, 18, 5
	v_lshlrev_b64 v[36:37], v32, v[16:17]
	v_sub_u32_e32 v19, 30, v19
	v_and_b32_e32 v32, 3, v36
	v_cmp_eq_u32_e32 vcc, 0, v5
	v_cndmask_b32_e32 v5, v5, v19, vcc
	v_cndmask_b32_e32 v18, v18, v32, vcc
	v_bfrev_b32_e32 v32, 28
	v_lshlrev_b32_e32 v19, 24, v16
	v_lshl_add_u32 v5, v5, 23, v32
	v_and_or_b32 v5, v19, s96, v5
	v_lshl_or_b32 v5, v18, 21, v5
                                        ; implicit-def: $vgpr18
.LBB4_7253:                             ;   in Loop: Header=BB4_6192 Depth=3
	s_andn2_saveexec_b64 s[72:73], s[72:73]
; %bb.7254:                             ;   in Loop: Header=BB4_6192 Depth=3
	v_mov_b32_e32 v5, -1
	v_cmp_gt_i16_sdwa vcc, sext(v16), v5 src0_sel:BYTE_0 src1_sel:DWORD
	v_cndmask_b32_e32 v5, v6, v1, vcc
	v_cmp_eq_u32_e32 vcc, 0, v18
	v_mov_b32_e32 v18, 0x7f800001
	v_cndmask_b32_e32 v5, v18, v5, vcc
; %bb.7255:                             ;   in Loop: Header=BB4_6192 Depth=3
	s_or_b64 exec, exec, s[72:73]
.LBB4_7256:                             ;   in Loop: Header=BB4_6192 Depth=3
	s_or_b64 exec, exec, s[70:71]
.LBB4_7257:                             ;   in Loop: Header=BB4_6192 Depth=3
	s_or_b64 exec, exec, s[68:69]
	v_cmp_ne_u16_sdwa vcc, v4, v43 src0_sel:BYTE_0 src1_sel:DWORD
	s_and_saveexec_b64 s[68:69], vcc
	s_cbranch_execz .LBB4_7265
; %bb.7258:                             ;   in Loop: Header=BB4_6192 Depth=3
	v_cmp_ne_u16_sdwa vcc, v4, s97 src0_sel:BYTE_0 src1_sel:DWORD
	v_bfrev_b32_e32 v17, 1
	s_and_saveexec_b64 s[70:71], vcc
	s_cbranch_execz .LBB4_7264
; %bb.7259:                             ;   in Loop: Header=BB4_6192 Depth=3
	v_and_b32_e32 v17, 0x7c0000, v9
	v_bfe_u32 v18, v9, 16, 2
	v_cmp_ne_u32_e32 vcc, s36, v17
                                        ; implicit-def: $vgpr17
	s_and_saveexec_b64 s[72:73], vcc
	s_xor_b64 s[72:73], exec, s[72:73]
	s_cbranch_execz .LBB4_7261
; %bb.7260:                             ;   in Loop: Header=BB4_6192 Depth=3
	v_ffbh_u32_e32 v19, v18
	v_min_u32_e32 v19, 32, v19
	v_subrev_u32_e32 v32, 29, v19
	v_bfe_u32 v17, v9, 18, 5
	v_lshlrev_b64 v[36:37], v32, v[4:5]
	v_sub_u32_e32 v19, 30, v19
	v_and_b32_e32 v32, 3, v36
	v_cmp_eq_u32_e32 vcc, 0, v17
	v_cndmask_b32_e32 v17, v17, v19, vcc
	v_cndmask_b32_e32 v18, v18, v32, vcc
	v_bfrev_b32_e32 v32, 28
	v_lshlrev_b32_e32 v19, 24, v4
	v_lshl_add_u32 v17, v17, 23, v32
	v_and_or_b32 v17, v19, s96, v17
	v_lshl_or_b32 v17, v18, 21, v17
                                        ; implicit-def: $vgpr18
.LBB4_7261:                             ;   in Loop: Header=BB4_6192 Depth=3
	s_andn2_saveexec_b64 s[72:73], s[72:73]
; %bb.7262:                             ;   in Loop: Header=BB4_6192 Depth=3
	v_mov_b32_e32 v17, -1
	v_cmp_gt_i16_sdwa vcc, sext(v4), v17 src0_sel:BYTE_0 src1_sel:DWORD
	v_cndmask_b32_e32 v17, v6, v1, vcc
	v_cmp_eq_u32_e32 vcc, 0, v18
	v_mov_b32_e32 v18, 0x7f800001
	v_cndmask_b32_e32 v17, v18, v17, vcc
; %bb.7263:                             ;   in Loop: Header=BB4_6192 Depth=3
	s_or_b64 exec, exec, s[72:73]
.LBB4_7264:                             ;   in Loop: Header=BB4_6192 Depth=3
	s_or_b64 exec, exec, s[70:71]
.LBB4_7265:                             ;   in Loop: Header=BB4_6192 Depth=3
	s_or_b64 exec, exec, s[68:69]
	v_max_f32_e32 v17, v17, v17
	v_max_f32_e32 v5, v5, v5
	;; [unrolled: 1-line block ×3, first 2 shown]
	s_branch .LBB4_7284
.LBB4_7266:                             ;   in Loop: Header=BB4_6192 Depth=3
                                        ; implicit-def: $vgpr5
	s_cbranch_execz .LBB4_7284
; %bb.7267:                             ;   in Loop: Header=BB4_6192 Depth=3
	v_mov_b32_e32 v17, 0
	v_mov_b32_e32 v5, 0
	s_and_saveexec_b64 s[68:69], s[30:31]
	s_cbranch_execz .LBB4_7275
; %bb.7268:                             ;   in Loop: Header=BB4_6192 Depth=3
	v_cmp_ne_u16_sdwa vcc, v16, s97 src0_sel:BYTE_0 src1_sel:DWORD
	v_bfrev_b32_e32 v5, 1
	s_and_saveexec_b64 s[30:31], vcc
	s_cbranch_execz .LBB4_7274
; %bb.7269:                             ;   in Loop: Header=BB4_6192 Depth=3
	v_and_b32_e32 v5, 0x7c0000, v13
	v_bfe_u32 v18, v13, 16, 2
	v_cmp_ne_u32_e32 vcc, s36, v5
                                        ; implicit-def: $vgpr5
	s_and_saveexec_b64 s[70:71], vcc
	s_xor_b64 s[70:71], exec, s[70:71]
	s_cbranch_execz .LBB4_7271
; %bb.7270:                             ;   in Loop: Header=BB4_6192 Depth=3
	v_ffbh_u32_e32 v19, v18
	v_bfe_u32 v5, v13, 18, 5
	v_min_u32_e32 v19, 32, v19
	v_subrev_u32_e32 v32, 29, v19
	v_sub_u32_e32 v19, 30, v19
	v_cmp_eq_u32_e32 vcc, 0, v5
	v_lshlrev_b64 v[36:37], v32, v[16:17]
	v_cndmask_b32_e32 v5, v5, v19, vcc
	v_bfrev_b32_e32 v19, 28
	v_and_b32_e32 v32, 3, v36
	v_lshlrev_b32_e32 v16, 24, v16
	v_lshl_add_u32 v5, v5, 23, v19
	v_cndmask_b32_e32 v18, v18, v32, vcc
	v_and_or_b32 v5, v16, s96, v5
	v_lshl_or_b32 v5, v18, 21, v5
                                        ; implicit-def: $vgpr18
                                        ; implicit-def: $vgpr16
.LBB4_7271:                             ;   in Loop: Header=BB4_6192 Depth=3
	s_andn2_saveexec_b64 s[70:71], s[70:71]
; %bb.7272:                             ;   in Loop: Header=BB4_6192 Depth=3
	v_mov_b32_e32 v5, -1
	v_cmp_gt_i16_sdwa vcc, sext(v16), v5 src0_sel:BYTE_0 src1_sel:DWORD
	v_cndmask_b32_e32 v5, v6, v1, vcc
	v_cmp_eq_u32_e32 vcc, 0, v18
	v_mov_b32_e32 v16, 0x7f800001
	v_cndmask_b32_e32 v5, v16, v5, vcc
; %bb.7273:                             ;   in Loop: Header=BB4_6192 Depth=3
	s_or_b64 exec, exec, s[70:71]
.LBB4_7274:                             ;   in Loop: Header=BB4_6192 Depth=3
	s_or_b64 exec, exec, s[30:31]
.LBB4_7275:                             ;   in Loop: Header=BB4_6192 Depth=3
	s_or_b64 exec, exec, s[68:69]
	v_cmp_ne_u16_sdwa vcc, v4, v43 src0_sel:BYTE_0 src1_sel:DWORD
	s_and_saveexec_b64 s[30:31], vcc
	s_cbranch_execz .LBB4_7283
; %bb.7276:                             ;   in Loop: Header=BB4_6192 Depth=3
	v_cmp_ne_u16_sdwa vcc, v4, s97 src0_sel:BYTE_0 src1_sel:DWORD
	v_bfrev_b32_e32 v17, 1
	s_and_saveexec_b64 s[68:69], vcc
	s_cbranch_execz .LBB4_7282
; %bb.7277:                             ;   in Loop: Header=BB4_6192 Depth=3
	v_and_b32_e32 v17, 0x7c0000, v9
	v_bfe_u32 v16, v9, 16, 2
	v_cmp_ne_u32_e32 vcc, s36, v17
                                        ; implicit-def: $vgpr17
	s_and_saveexec_b64 s[70:71], vcc
	s_xor_b64 s[70:71], exec, s[70:71]
	s_cbranch_execz .LBB4_7279
; %bb.7278:                             ;   in Loop: Header=BB4_6192 Depth=3
	v_ffbh_u32_e32 v18, v16
	v_min_u32_e32 v32, 32, v18
	v_subrev_u32_e32 v18, 29, v32
	v_bfe_u32 v17, v9, 18, 5
	v_lshlrev_b64 v[18:19], v18, v[4:5]
	v_sub_u32_e32 v19, 30, v32
	v_and_b32_e32 v18, 3, v18
	v_cmp_eq_u32_e32 vcc, 0, v17
	v_cndmask_b32_e32 v17, v17, v19, vcc
	v_cndmask_b32_e32 v16, v16, v18, vcc
	v_bfrev_b32_e32 v18, 28
	v_lshlrev_b32_e32 v4, 24, v4
	v_lshl_add_u32 v17, v17, 23, v18
	v_and_or_b32 v4, v4, s96, v17
	v_lshl_or_b32 v17, v16, 21, v4
                                        ; implicit-def: $vgpr16
                                        ; implicit-def: $vgpr4
.LBB4_7279:                             ;   in Loop: Header=BB4_6192 Depth=3
	s_andn2_saveexec_b64 s[70:71], s[70:71]
; %bb.7280:                             ;   in Loop: Header=BB4_6192 Depth=3
	v_mov_b32_e32 v17, -1
	v_cmp_gt_i16_sdwa vcc, sext(v4), v17 src0_sel:BYTE_0 src1_sel:DWORD
	v_cndmask_b32_e32 v4, v6, v1, vcc
	v_cmp_eq_u32_e32 vcc, 0, v16
	v_mov_b32_e32 v16, 0x7f800001
	v_cndmask_b32_e32 v17, v16, v4, vcc
; %bb.7281:                             ;   in Loop: Header=BB4_6192 Depth=3
	s_or_b64 exec, exec, s[70:71]
.LBB4_7282:                             ;   in Loop: Header=BB4_6192 Depth=3
	s_or_b64 exec, exec, s[68:69]
.LBB4_7283:                             ;   in Loop: Header=BB4_6192 Depth=3
	s_or_b64 exec, exec, s[30:31]
	v_max_f32_e32 v4, v17, v17
	v_max_f32_e32 v5, v5, v5
	v_min_f32_e32 v5, v5, v4
.LBB4_7284:                             ;   in Loop: Header=BB4_6192 Depth=3
	v_and_b32_sdwa v16, v5, s97 dst_sel:DWORD dst_unused:UNUSED_PAD src0_sel:BYTE_3 src1_sel:DWORD
	v_and_b32_e32 v18, 0x7f800000, v5
	v_mov_b32_e32 v19, v43
	v_and_b32_e32 v42, 0x7fffff, v5
	v_or_b32_e32 v17, 0x7b, v16
	v_cmp_ne_u64_e32 vcc, s[52:53], v[18:19]
	s_and_saveexec_b64 s[30:31], vcc
	s_xor_b64 s[68:69], exec, s[30:31]
	s_cbranch_execz .LBB4_7294
; %bb.7285:                             ;   in Loop: Header=BB4_6192 Depth=3
	v_and_b32_e32 v18, 0x7fffffff, v5
	v_mov_b32_e32 v19, v43
	v_cmp_gt_u64_e32 vcc, s[54:55], v[18:19]
	s_and_saveexec_b64 s[70:71], vcc
	s_cbranch_execz .LBB4_7293
; %bb.7286:                             ;   in Loop: Header=BB4_6192 Depth=3
	v_cmp_ne_u32_e32 vcc, 0, v5
	v_mov_b32_e32 v17, 0
	s_and_saveexec_b64 s[72:73], vcc
	s_cbranch_execz .LBB4_7292
; %bb.7287:                             ;   in Loop: Header=BB4_6192 Depth=3
	v_bfe_u32 v4, v5, 23, 8
	v_cmp_eq_u32_e32 vcc, 0, v4
	v_add_u32_e32 v5, 0xffffff81, v4
	v_cmp_gt_u32_e64 s[30:31], s38, v4
	v_sub_u32_e32 v4, 0x71, v4
	v_mov_b32_e32 v18, 0xffffff82
	v_cndmask_b32_e64 v4, 0, v4, s[30:31]
	v_cndmask_b32_e32 v32, v5, v18, vcc
	v_mov_b32_e32 v5, 0x70
	v_cndmask_b32_e32 v33, v4, v5, vcc
	v_add_u32_e32 v4, 21, v33
	v_or_b32_e32 v17, 0x800000, v42
	v_lshlrev_b64 v[4:5], v4, -1
	v_cndmask_b32_e32 v42, v17, v42, vcc
	v_not_b32_e32 v5, v5
	v_not_b32_e32 v4, v4
	v_add_u32_e32 v17, 20, v33
	v_and_b32_e32 v5, 0, v5
	v_and_b32_e32 v4, v42, v4
	v_lshlrev_b64 v[18:19], v17, 1
	v_cmp_eq_u64_e32 vcc, v[4:5], v[18:19]
	v_lshrrev_b64 v[4:5], v33, v[42:43]
	v_lshrrev_b32_e32 v17, 23, v4
	v_add3_u32 v19, v33, v32, v17
	v_bfe_u32 v17, v4, 21, 1
	v_add_u32_e32 v17, -1, v17
	v_cndmask_b32_e32 v17, 0, v17, vcc
	v_add_u32_e32 v17, v17, v4
	v_and_b32_e32 v17, 0x1fffff, v17
	v_add_co_u32_e32 v4, vcc, v17, v4
	v_add_u32_e32 v18, 14, v19
	v_addc_co_u32_e32 v5, vcc, 0, v5, vcc
	v_cmp_ne_u32_e32 vcc, 0, v18
                                        ; implicit-def: $vgpr17
	s_and_saveexec_b64 s[30:31], vcc
	s_xor_b64 s[30:31], exec, s[30:31]
; %bb.7288:                             ;   in Loop: Header=BB4_6192 Depth=3
	v_add_u32_e32 v17, 15, v19
	v_cmp_lt_u64_e32 vcc, s[56:57], v[4:5]
	v_cndmask_b32_e32 v17, v18, v17, vcc
	v_cndmask_b32_e64 v18, 0, 1, vcc
	v_lshrrev_b64 v[4:5], v18, v[4:5]
; %bb.7289:                             ;   in Loop: Header=BB4_6192 Depth=3
	s_andn2_saveexec_b64 vcc, s[30:31]
; %bb.7290:                             ;   in Loop: Header=BB4_6192 Depth=3
	v_bfe_u32 v17, v4, 23, 1
; %bb.7291:                             ;   in Loop: Header=BB4_6192 Depth=3
	s_or_b64 exec, exec, vcc
	v_lshrrev_b64 v[4:5], 21, v[4:5]
	v_cmp_gt_i32_e32 vcc, 32, v17
	v_cndmask_b32_e32 v5, 0, v5, vcc
	v_cndmask_b32_e32 v4, 3, v4, vcc
	v_cmp_eq_u64_e64 s[30:31], 0, v[4:5]
	v_min_i32_e32 v5, 31, v17
	v_cmp_eq_u32_e32 vcc, 0, v17
	v_lshlrev_b32_e32 v5, 2, v5
	v_and_or_b32 v4, v4, 3, v5
	s_and_b64 vcc, vcc, s[30:31]
	v_cndmask_b32_e64 v4, v4, 0, vcc
	v_or_b32_e32 v17, v4, v16
.LBB4_7292:                             ;   in Loop: Header=BB4_6192 Depth=3
	s_or_b64 exec, exec, s[72:73]
.LBB4_7293:                             ;   in Loop: Header=BB4_6192 Depth=3
	s_or_b64 exec, exec, s[70:71]
                                        ; implicit-def: $vgpr5
.LBB4_7294:                             ;   in Loop: Header=BB4_6192 Depth=3
	s_andn2_saveexec_b64 s[30:31], s[68:69]
; %bb.7295:                             ;   in Loop: Header=BB4_6192 Depth=3
	v_or_b32_sdwa v4, v5, s39 dst_sel:DWORD dst_unused:UNUSED_PAD src0_sel:BYTE_3 src1_sel:DWORD
	v_cmp_eq_u64_e32 vcc, 0, v[42:43]
	v_cndmask_b32_e32 v17, v4, v17, vcc
; %bb.7296:                             ;   in Loop: Header=BB4_6192 Depth=3
	s_or_b64 exec, exec, s[30:31]
	v_lshrrev_b32_e32 v16, 24, v13
	v_lshrrev_b32_e32 v4, 24, v9
	s_and_b64 vcc, exec, s[28:29]
	v_cmp_lt_u64_e64 s[30:31], s[42:43], v[12:13]
	s_cbranch_vccnz .LBB4_7314
; %bb.7297:                             ;   in Loop: Header=BB4_6192 Depth=3
	v_mov_b32_e32 v18, 0
	v_mov_b32_e32 v5, 0
	s_and_saveexec_b64 s[68:69], s[30:31]
	s_cbranch_execz .LBB4_7305
; %bb.7298:                             ;   in Loop: Header=BB4_6192 Depth=3
	v_cmp_ne_u32_e32 vcc, s97, v16
	v_bfrev_b32_e32 v5, 1
	s_and_saveexec_b64 s[70:71], vcc
	s_cbranch_execz .LBB4_7304
; %bb.7299:                             ;   in Loop: Header=BB4_6192 Depth=3
	v_and_b32_e32 v5, 0x7c000000, v13
	v_bfe_u32 v19, v13, 24, 2
	v_cmp_ne_u32_e32 vcc, s37, v5
                                        ; implicit-def: $vgpr5
	s_and_saveexec_b64 s[72:73], vcc
	s_xor_b64 s[72:73], exec, s[72:73]
	s_cbranch_execz .LBB4_7301
; %bb.7300:                             ;   in Loop: Header=BB4_6192 Depth=3
	v_ffbh_u32_e32 v32, v19
	v_bfe_u32 v5, v13, 26, 5
	v_min_u32_e32 v32, 32, v32
	v_subrev_u32_e32 v33, 29, v32
	v_sub_u32_e32 v32, 30, v32
	v_cmp_eq_u32_e32 vcc, 0, v5
	v_lshlrev_b64 v[36:37], v33, v[16:17]
	v_cndmask_b32_e32 v5, v5, v32, vcc
	v_bfrev_b32_e32 v32, 28
	v_and_b32_e32 v33, 3, v36
	v_lshl_add_u32 v5, v5, 23, v32
	v_cndmask_b32_e32 v19, v19, v33, vcc
	v_and_or_b32 v5, v13, s96, v5
	v_lshl_or_b32 v5, v19, 21, v5
                                        ; implicit-def: $vgpr19
.LBB4_7301:                             ;   in Loop: Header=BB4_6192 Depth=3
	s_andn2_saveexec_b64 s[72:73], s[72:73]
; %bb.7302:                             ;   in Loop: Header=BB4_6192 Depth=3
	v_cmp_lt_i64_e32 vcc, -1, v[12:13]
	v_cndmask_b32_e32 v5, v6, v1, vcc
	v_cmp_eq_u32_e32 vcc, 0, v19
	v_mov_b32_e32 v19, 0x7f800001
	v_cndmask_b32_e32 v5, v19, v5, vcc
; %bb.7303:                             ;   in Loop: Header=BB4_6192 Depth=3
	s_or_b64 exec, exec, s[72:73]
.LBB4_7304:                             ;   in Loop: Header=BB4_6192 Depth=3
	s_or_b64 exec, exec, s[70:71]
.LBB4_7305:                             ;   in Loop: Header=BB4_6192 Depth=3
	s_or_b64 exec, exec, s[68:69]
	v_cmp_lt_u64_e32 vcc, s[42:43], v[8:9]
	s_and_saveexec_b64 s[68:69], vcc
	s_cbranch_execz .LBB4_7313
; %bb.7306:                             ;   in Loop: Header=BB4_6192 Depth=3
	v_cmp_ne_u32_e32 vcc, s97, v4
	v_bfrev_b32_e32 v18, 1
	s_and_saveexec_b64 s[70:71], vcc
	s_cbranch_execz .LBB4_7312
; %bb.7307:                             ;   in Loop: Header=BB4_6192 Depth=3
	v_and_b32_e32 v18, 0x7c000000, v9
	v_bfe_u32 v19, v9, 24, 2
	v_cmp_ne_u32_e32 vcc, s37, v18
                                        ; implicit-def: $vgpr18
	s_and_saveexec_b64 s[72:73], vcc
	s_xor_b64 s[72:73], exec, s[72:73]
	s_cbranch_execz .LBB4_7309
; %bb.7308:                             ;   in Loop: Header=BB4_6192 Depth=3
	v_ffbh_u32_e32 v32, v19
	v_bfe_u32 v18, v9, 26, 5
	v_min_u32_e32 v32, 32, v32
	v_subrev_u32_e32 v33, 29, v32
	v_sub_u32_e32 v32, 30, v32
	v_cmp_eq_u32_e32 vcc, 0, v18
	v_lshlrev_b64 v[36:37], v33, v[4:5]
	v_cndmask_b32_e32 v18, v18, v32, vcc
	v_bfrev_b32_e32 v32, 28
	v_and_b32_e32 v33, 3, v36
	v_lshl_add_u32 v18, v18, 23, v32
	v_cndmask_b32_e32 v19, v19, v33, vcc
	v_and_or_b32 v18, v9, s96, v18
	v_lshl_or_b32 v18, v19, 21, v18
                                        ; implicit-def: $vgpr19
.LBB4_7309:                             ;   in Loop: Header=BB4_6192 Depth=3
	s_andn2_saveexec_b64 s[72:73], s[72:73]
; %bb.7310:                             ;   in Loop: Header=BB4_6192 Depth=3
	v_cmp_lt_i64_e32 vcc, -1, v[8:9]
	v_cndmask_b32_e32 v18, v6, v1, vcc
	v_cmp_eq_u32_e32 vcc, 0, v19
	v_mov_b32_e32 v19, 0x7f800001
	v_cndmask_b32_e32 v18, v19, v18, vcc
; %bb.7311:                             ;   in Loop: Header=BB4_6192 Depth=3
	s_or_b64 exec, exec, s[72:73]
.LBB4_7312:                             ;   in Loop: Header=BB4_6192 Depth=3
	s_or_b64 exec, exec, s[70:71]
.LBB4_7313:                             ;   in Loop: Header=BB4_6192 Depth=3
	s_or_b64 exec, exec, s[68:69]
	v_max_f32_e32 v18, v18, v18
	v_max_f32_e32 v5, v5, v5
	;; [unrolled: 1-line block ×3, first 2 shown]
	s_branch .LBB4_7332
.LBB4_7314:                             ;   in Loop: Header=BB4_6192 Depth=3
                                        ; implicit-def: $vgpr5
	s_cbranch_execz .LBB4_7332
; %bb.7315:                             ;   in Loop: Header=BB4_6192 Depth=3
	v_mov_b32_e32 v18, 0
	v_mov_b32_e32 v5, 0
	s_and_saveexec_b64 s[68:69], s[30:31]
	s_cbranch_execz .LBB4_7323
; %bb.7316:                             ;   in Loop: Header=BB4_6192 Depth=3
	v_cmp_ne_u32_e32 vcc, s97, v16
	v_bfrev_b32_e32 v5, 1
	s_and_saveexec_b64 s[30:31], vcc
	s_cbranch_execz .LBB4_7322
; %bb.7317:                             ;   in Loop: Header=BB4_6192 Depth=3
	v_and_b32_e32 v5, 0x7c000000, v13
	v_bfe_u32 v19, v13, 24, 2
	v_cmp_ne_u32_e32 vcc, s37, v5
                                        ; implicit-def: $vgpr5
	s_and_saveexec_b64 s[70:71], vcc
	s_xor_b64 s[70:71], exec, s[70:71]
	s_cbranch_execz .LBB4_7319
; %bb.7318:                             ;   in Loop: Header=BB4_6192 Depth=3
	v_ffbh_u32_e32 v12, v19
	v_min_u32_e32 v12, 32, v12
	v_subrev_u32_e32 v32, 29, v12
	v_bfe_u32 v5, v13, 26, 5
	v_lshlrev_b64 v[36:37], v32, v[16:17]
	v_sub_u32_e32 v12, 30, v12
	v_and_b32_e32 v16, 3, v36
	v_cmp_eq_u32_e32 vcc, 0, v5
	v_cndmask_b32_e32 v5, v5, v12, vcc
	v_cndmask_b32_e32 v12, v19, v16, vcc
	v_bfrev_b32_e32 v16, 28
	v_lshl_add_u32 v5, v5, 23, v16
	v_and_or_b32 v5, v13, s96, v5
	v_lshl_or_b32 v5, v12, 21, v5
                                        ; implicit-def: $vgpr19
.LBB4_7319:                             ;   in Loop: Header=BB4_6192 Depth=3
	s_andn2_saveexec_b64 s[70:71], s[70:71]
; %bb.7320:                             ;   in Loop: Header=BB4_6192 Depth=3
	v_cmp_lt_i64_e32 vcc, -1, v[12:13]
	v_cndmask_b32_e32 v5, v6, v1, vcc
	v_cmp_eq_u32_e32 vcc, 0, v19
	v_mov_b32_e32 v12, 0x7f800001
	v_cndmask_b32_e32 v5, v12, v5, vcc
; %bb.7321:                             ;   in Loop: Header=BB4_6192 Depth=3
	s_or_b64 exec, exec, s[70:71]
.LBB4_7322:                             ;   in Loop: Header=BB4_6192 Depth=3
	s_or_b64 exec, exec, s[30:31]
.LBB4_7323:                             ;   in Loop: Header=BB4_6192 Depth=3
	s_or_b64 exec, exec, s[68:69]
	v_cmp_lt_u64_e32 vcc, s[42:43], v[8:9]
	s_and_saveexec_b64 s[30:31], vcc
	s_cbranch_execz .LBB4_7331
; %bb.7324:                             ;   in Loop: Header=BB4_6192 Depth=3
	v_cmp_ne_u32_e32 vcc, s97, v4
	v_bfrev_b32_e32 v18, 1
	s_and_saveexec_b64 s[68:69], vcc
	s_cbranch_execz .LBB4_7330
; %bb.7325:                             ;   in Loop: Header=BB4_6192 Depth=3
	v_and_b32_e32 v13, 0x7c000000, v9
	v_bfe_u32 v12, v9, 24, 2
	v_cmp_ne_u32_e32 vcc, s37, v13
                                        ; implicit-def: $vgpr18
	s_and_saveexec_b64 s[70:71], vcc
	s_xor_b64 s[70:71], exec, s[70:71]
	s_cbranch_execz .LBB4_7327
; %bb.7326:                             ;   in Loop: Header=BB4_6192 Depth=3
	v_ffbh_u32_e32 v13, v12
	v_min_u32_e32 v13, 32, v13
	v_subrev_u32_e32 v16, 29, v13
	v_bfe_u32 v8, v9, 26, 5
	v_lshlrev_b64 v[18:19], v16, v[4:5]
	v_sub_u32_e32 v4, 30, v13
	v_and_b32_e32 v13, 3, v18
	v_cmp_eq_u32_e32 vcc, 0, v8
	v_cndmask_b32_e32 v4, v8, v4, vcc
	v_cndmask_b32_e32 v8, v12, v13, vcc
	v_bfrev_b32_e32 v12, 28
	v_lshl_add_u32 v4, v4, 23, v12
	v_and_or_b32 v4, v9, s96, v4
	v_lshl_or_b32 v18, v8, 21, v4
                                        ; implicit-def: $vgpr12
.LBB4_7327:                             ;   in Loop: Header=BB4_6192 Depth=3
	s_andn2_saveexec_b64 s[70:71], s[70:71]
; %bb.7328:                             ;   in Loop: Header=BB4_6192 Depth=3
	v_cmp_lt_i64_e32 vcc, -1, v[8:9]
	v_cndmask_b32_e32 v4, v6, v1, vcc
	v_cmp_eq_u32_e32 vcc, 0, v12
	v_mov_b32_e32 v8, 0x7f800001
	v_cndmask_b32_e32 v18, v8, v4, vcc
; %bb.7329:                             ;   in Loop: Header=BB4_6192 Depth=3
	s_or_b64 exec, exec, s[70:71]
.LBB4_7330:                             ;   in Loop: Header=BB4_6192 Depth=3
	s_or_b64 exec, exec, s[68:69]
.LBB4_7331:                             ;   in Loop: Header=BB4_6192 Depth=3
	s_or_b64 exec, exec, s[30:31]
	v_max_f32_e32 v4, v18, v18
	v_max_f32_e32 v5, v5, v5
	v_min_f32_e32 v5, v5, v4
.LBB4_7332:                             ;   in Loop: Header=BB4_6192 Depth=3
	v_and_b32_sdwa v8, v5, s97 dst_sel:DWORD dst_unused:UNUSED_PAD src0_sel:BYTE_3 src1_sel:DWORD
	v_and_b32_e32 v12, 0x7f800000, v5
	v_mov_b32_e32 v13, v43
	v_and_b32_e32 v42, 0x7fffff, v5
	v_or_b32_e32 v16, 0x7b, v8
	v_cmp_ne_u64_e32 vcc, s[52:53], v[12:13]
	s_and_saveexec_b64 s[30:31], vcc
	s_xor_b64 s[68:69], exec, s[30:31]
	s_cbranch_execz .LBB4_7360
; %bb.7333:                             ;   in Loop: Header=BB4_6192 Depth=3
	v_and_b32_e32 v12, 0x7fffffff, v5
	v_mov_b32_e32 v13, v43
	v_cmp_gt_u64_e32 vcc, s[54:55], v[12:13]
	s_and_saveexec_b64 s[70:71], vcc
	s_cbranch_execz .LBB4_7341
; %bb.7334:                             ;   in Loop: Header=BB4_6192 Depth=3
	v_cmp_ne_u32_e32 vcc, 0, v5
	v_mov_b32_e32 v16, 0
	s_and_saveexec_b64 s[72:73], vcc
	s_cbranch_execz .LBB4_7340
; %bb.7335:                             ;   in Loop: Header=BB4_6192 Depth=3
	v_bfe_u32 v4, v5, 23, 8
	v_cmp_eq_u32_e32 vcc, 0, v4
	v_add_u32_e32 v5, 0xffffff81, v4
	v_cmp_gt_u32_e64 s[30:31], s38, v4
	v_sub_u32_e32 v4, 0x71, v4
	v_mov_b32_e32 v12, 0xffffff82
	v_cndmask_b32_e64 v4, 0, v4, s[30:31]
	v_cndmask_b32_e32 v16, v5, v12, vcc
	v_mov_b32_e32 v5, 0x70
	v_cndmask_b32_e32 v18, v4, v5, vcc
	v_add_u32_e32 v4, 21, v18
	v_or_b32_e32 v9, 0x800000, v42
	v_lshlrev_b64 v[4:5], v4, -1
	v_cndmask_b32_e32 v42, v9, v42, vcc
	v_not_b32_e32 v5, v5
	v_not_b32_e32 v4, v4
	v_add_u32_e32 v9, 20, v18
	v_and_b32_e32 v5, 0, v5
	v_and_b32_e32 v4, v42, v4
	v_lshlrev_b64 v[12:13], v9, 1
	v_cmp_eq_u64_e32 vcc, v[4:5], v[12:13]
	v_lshrrev_b64 v[4:5], v18, v[42:43]
	v_lshrrev_b32_e32 v9, 23, v4
	v_add3_u32 v13, v18, v16, v9
	v_bfe_u32 v9, v4, 21, 1
	v_add_u32_e32 v9, -1, v9
	v_cndmask_b32_e32 v9, 0, v9, vcc
	v_add_u32_e32 v9, v9, v4
	v_and_b32_e32 v9, 0x1fffff, v9
	v_add_co_u32_e32 v4, vcc, v9, v4
	v_add_u32_e32 v12, 14, v13
	v_addc_co_u32_e32 v5, vcc, 0, v5, vcc
	v_cmp_ne_u32_e32 vcc, 0, v12
                                        ; implicit-def: $vgpr9
	s_and_saveexec_b64 s[30:31], vcc
	s_xor_b64 s[30:31], exec, s[30:31]
; %bb.7336:                             ;   in Loop: Header=BB4_6192 Depth=3
	v_add_u32_e32 v9, 15, v13
	v_cmp_lt_u64_e32 vcc, s[56:57], v[4:5]
	v_cndmask_b32_e32 v9, v12, v9, vcc
	v_cndmask_b32_e64 v12, 0, 1, vcc
	v_lshrrev_b64 v[4:5], v12, v[4:5]
; %bb.7337:                             ;   in Loop: Header=BB4_6192 Depth=3
	s_andn2_saveexec_b64 vcc, s[30:31]
; %bb.7338:                             ;   in Loop: Header=BB4_6192 Depth=3
	v_bfe_u32 v9, v4, 23, 1
; %bb.7339:                             ;   in Loop: Header=BB4_6192 Depth=3
	s_or_b64 exec, exec, vcc
	v_lshrrev_b64 v[4:5], 21, v[4:5]
	v_cmp_gt_i32_e32 vcc, 32, v9
	v_cndmask_b32_e32 v5, 0, v5, vcc
	v_cndmask_b32_e32 v4, 3, v4, vcc
	v_cmp_eq_u64_e64 s[30:31], 0, v[4:5]
	v_min_i32_e32 v5, 31, v9
	v_lshlrev_b32_e32 v5, 2, v5
	v_cmp_eq_u32_e32 vcc, 0, v9
	v_and_b32_e32 v5, 0xfc, v5
	v_and_or_b32 v4, v4, 3, v5
	s_and_b64 vcc, vcc, s[30:31]
	v_cndmask_b32_e64 v4, v4, 0, vcc
	v_or_b32_e32 v16, v4, v8
.LBB4_7340:                             ;   in Loop: Header=BB4_6192 Depth=3
	s_or_b64 exec, exec, s[72:73]
.LBB4_7341:                             ;   in Loop: Header=BB4_6192 Depth=3
	s_or_b64 exec, exec, s[70:71]
                                        ; implicit-def: $vgpr5
	s_andn2_saveexec_b64 s[30:31], s[68:69]
	s_cbranch_execnz .LBB4_7361
.LBB4_7342:                             ;   in Loop: Header=BB4_6192 Depth=3
	s_or_b64 exec, exec, s[30:31]
	s_and_b64 vcc, exec, s[28:29]
	v_cmp_ne_u16_sdwa s[30:31], v14, v43 src0_sel:BYTE_0 src1_sel:DWORD
	s_cbranch_vccnz .LBB4_7362
.LBB4_7343:                             ;   in Loop: Header=BB4_6192 Depth=3
	v_mov_b32_e32 v5, 0
	v_mov_b32_e32 v4, 0
	s_and_saveexec_b64 s[68:69], s[30:31]
	s_cbranch_execz .LBB4_7351
; %bb.7344:                             ;   in Loop: Header=BB4_6192 Depth=3
	v_cmp_ne_u16_sdwa vcc, sext(v14), s94 src0_sel:BYTE_0 src1_sel:DWORD
	v_bfrev_b32_e32 v4, 1
	s_and_saveexec_b64 s[70:71], vcc
	s_cbranch_execz .LBB4_7350
; %bb.7345:                             ;   in Loop: Header=BB4_6192 Depth=3
	v_and_b32_e32 v4, 0x7c, v14
	v_and_b32_e32 v8, 3, v14
	v_cmp_ne_u32_e32 vcc, s95, v4
                                        ; implicit-def: $vgpr4
	s_and_saveexec_b64 s[72:73], vcc
	s_xor_b64 s[72:73], exec, s[72:73]
	s_cbranch_execz .LBB4_7347
; %bb.7346:                             ;   in Loop: Header=BB4_6192 Depth=3
	v_ffbh_u32_e32 v9, v8
	v_min_u32_e32 v9, 32, v9
	v_subrev_u32_e32 v12, 29, v9
	v_bfe_u32 v4, v14, 2, 5
	v_lshlrev_b64 v[12:13], v12, v[14:15]
	v_sub_u32_e32 v9, 30, v9
	v_and_b32_e32 v12, 3, v12
	v_cmp_eq_u32_e32 vcc, 0, v4
	v_cndmask_b32_e32 v4, v4, v9, vcc
	v_cndmask_b32_e32 v8, v8, v12, vcc
	v_bfrev_b32_e32 v12, 28
	v_lshlrev_b32_e32 v9, 24, v14
	v_lshl_add_u32 v4, v4, 23, v12
	v_and_or_b32 v4, v9, s96, v4
	v_lshl_or_b32 v4, v8, 21, v4
                                        ; implicit-def: $vgpr8
.LBB4_7347:                             ;   in Loop: Header=BB4_6192 Depth=3
	s_andn2_saveexec_b64 s[72:73], s[72:73]
; %bb.7348:                             ;   in Loop: Header=BB4_6192 Depth=3
	v_mov_b32_e32 v4, -1
	v_cmp_gt_i16_sdwa vcc, sext(v14), v4 src0_sel:BYTE_0 src1_sel:DWORD
	v_cndmask_b32_e32 v4, v6, v1, vcc
	v_cmp_eq_u32_e32 vcc, 0, v8
	v_mov_b32_e32 v8, 0x7f800001
	v_cndmask_b32_e32 v4, v8, v4, vcc
; %bb.7349:                             ;   in Loop: Header=BB4_6192 Depth=3
	s_or_b64 exec, exec, s[72:73]
.LBB4_7350:                             ;   in Loop: Header=BB4_6192 Depth=3
	s_or_b64 exec, exec, s[70:71]
.LBB4_7351:                             ;   in Loop: Header=BB4_6192 Depth=3
	s_or_b64 exec, exec, s[68:69]
	v_cmp_ne_u16_sdwa vcc, sext(v10), v43 src0_sel:BYTE_0 src1_sel:DWORD
	s_and_saveexec_b64 s[68:69], vcc
	s_cbranch_execz .LBB4_7359
; %bb.7352:                             ;   in Loop: Header=BB4_6192 Depth=3
	v_cmp_ne_u16_sdwa vcc, sext(v10), s94 src0_sel:BYTE_0 src1_sel:DWORD
	v_bfrev_b32_e32 v5, 1
	s_and_saveexec_b64 s[70:71], vcc
	s_cbranch_execz .LBB4_7358
; %bb.7353:                             ;   in Loop: Header=BB4_6192 Depth=3
	v_and_b32_e32 v5, 0x7c, v10
	v_and_b32_e32 v8, 3, v10
	v_cmp_ne_u32_e32 vcc, s95, v5
                                        ; implicit-def: $vgpr5
	s_and_saveexec_b64 s[72:73], vcc
	s_xor_b64 s[72:73], exec, s[72:73]
	s_cbranch_execz .LBB4_7355
; %bb.7354:                             ;   in Loop: Header=BB4_6192 Depth=3
	v_ffbh_u32_e32 v9, v8
	v_min_u32_e32 v9, 32, v9
	v_subrev_u32_e32 v12, 29, v9
	v_bfe_u32 v5, v10, 2, 5
	v_lshlrev_b64 v[12:13], v12, v[10:11]
	v_sub_u32_e32 v9, 30, v9
	v_and_b32_e32 v12, 3, v12
	v_cmp_eq_u32_e32 vcc, 0, v5
	v_cndmask_b32_e32 v5, v5, v9, vcc
	v_cndmask_b32_e32 v8, v8, v12, vcc
	v_bfrev_b32_e32 v12, 28
	v_lshlrev_b32_e32 v9, 24, v10
	v_lshl_add_u32 v5, v5, 23, v12
	v_and_or_b32 v5, v9, s96, v5
	v_lshl_or_b32 v5, v8, 21, v5
                                        ; implicit-def: $vgpr8
.LBB4_7355:                             ;   in Loop: Header=BB4_6192 Depth=3
	s_andn2_saveexec_b64 s[72:73], s[72:73]
; %bb.7356:                             ;   in Loop: Header=BB4_6192 Depth=3
	v_mov_b32_e32 v5, -1
	v_cmp_gt_i16_sdwa vcc, sext(v10), v5 src0_sel:BYTE_0 src1_sel:DWORD
	v_cndmask_b32_e32 v5, v6, v1, vcc
	v_cmp_eq_u32_e32 vcc, 0, v8
	v_mov_b32_e32 v8, 0x7f800001
	v_cndmask_b32_e32 v5, v8, v5, vcc
; %bb.7357:                             ;   in Loop: Header=BB4_6192 Depth=3
	s_or_b64 exec, exec, s[72:73]
.LBB4_7358:                             ;   in Loop: Header=BB4_6192 Depth=3
	s_or_b64 exec, exec, s[70:71]
.LBB4_7359:                             ;   in Loop: Header=BB4_6192 Depth=3
	s_or_b64 exec, exec, s[68:69]
	v_max_f32_e32 v5, v5, v5
	v_max_f32_e32 v4, v4, v4
	;; [unrolled: 1-line block ×3, first 2 shown]
	s_branch .LBB4_7380
.LBB4_7360:                             ;   in Loop: Header=BB4_6192 Depth=3
	s_andn2_saveexec_b64 s[30:31], s[68:69]
	s_cbranch_execz .LBB4_7342
.LBB4_7361:                             ;   in Loop: Header=BB4_6192 Depth=3
	v_or_b32_sdwa v4, v5, s39 dst_sel:DWORD dst_unused:UNUSED_PAD src0_sel:BYTE_3 src1_sel:DWORD
	v_cmp_eq_u64_e32 vcc, 0, v[42:43]
	v_cndmask_b32_e32 v16, v4, v16, vcc
	s_or_b64 exec, exec, s[30:31]
	s_and_b64 vcc, exec, s[28:29]
	v_cmp_ne_u16_sdwa s[30:31], v14, v43 src0_sel:BYTE_0 src1_sel:DWORD
	s_cbranch_vccz .LBB4_7343
.LBB4_7362:                             ;   in Loop: Header=BB4_6192 Depth=3
                                        ; implicit-def: $vgpr4
	s_cbranch_execz .LBB4_7380
; %bb.7363:                             ;   in Loop: Header=BB4_6192 Depth=3
	v_mov_b32_e32 v5, 0
	v_mov_b32_e32 v4, 0
	s_and_saveexec_b64 s[68:69], s[30:31]
	s_cbranch_execz .LBB4_7371
; %bb.7364:                             ;   in Loop: Header=BB4_6192 Depth=3
	v_cmp_ne_u16_sdwa vcc, sext(v14), s94 src0_sel:BYTE_0 src1_sel:DWORD
	v_bfrev_b32_e32 v4, 1
	s_and_saveexec_b64 s[30:31], vcc
	s_cbranch_execz .LBB4_7370
; %bb.7365:                             ;   in Loop: Header=BB4_6192 Depth=3
	v_and_b32_e32 v4, 0x7c, v14
	v_and_b32_e32 v8, 3, v14
	v_cmp_ne_u32_e32 vcc, s95, v4
                                        ; implicit-def: $vgpr4
	s_and_saveexec_b64 s[70:71], vcc
	s_xor_b64 s[70:71], exec, s[70:71]
	s_cbranch_execz .LBB4_7367
; %bb.7366:                             ;   in Loop: Header=BB4_6192 Depth=3
	v_ffbh_u32_e32 v9, v8
	v_min_u32_e32 v9, 32, v9
	v_subrev_u32_e32 v12, 29, v9
	v_bfe_u32 v4, v14, 2, 5
	v_lshlrev_b64 v[12:13], v12, v[14:15]
	v_sub_u32_e32 v9, 30, v9
	v_and_b32_e32 v12, 3, v12
	v_cmp_eq_u32_e32 vcc, 0, v4
	v_cndmask_b32_e32 v4, v4, v9, vcc
	v_cndmask_b32_e32 v8, v8, v12, vcc
	v_bfrev_b32_e32 v12, 28
	v_lshlrev_b32_e32 v9, 24, v14
	v_lshl_add_u32 v4, v4, 23, v12
	v_and_or_b32 v4, v9, s96, v4
	v_lshl_or_b32 v4, v8, 21, v4
                                        ; implicit-def: $vgpr8
.LBB4_7367:                             ;   in Loop: Header=BB4_6192 Depth=3
	s_andn2_saveexec_b64 s[70:71], s[70:71]
; %bb.7368:                             ;   in Loop: Header=BB4_6192 Depth=3
	v_mov_b32_e32 v4, -1
	v_cmp_gt_i16_sdwa vcc, sext(v14), v4 src0_sel:BYTE_0 src1_sel:DWORD
	v_cndmask_b32_e32 v4, v6, v1, vcc
	v_cmp_eq_u32_e32 vcc, 0, v8
	v_mov_b32_e32 v8, 0x7f800001
	v_cndmask_b32_e32 v4, v8, v4, vcc
; %bb.7369:                             ;   in Loop: Header=BB4_6192 Depth=3
	s_or_b64 exec, exec, s[70:71]
.LBB4_7370:                             ;   in Loop: Header=BB4_6192 Depth=3
	s_or_b64 exec, exec, s[30:31]
.LBB4_7371:                             ;   in Loop: Header=BB4_6192 Depth=3
	s_or_b64 exec, exec, s[68:69]
	v_cmp_ne_u16_sdwa vcc, sext(v10), v43 src0_sel:BYTE_0 src1_sel:DWORD
	s_and_saveexec_b64 s[30:31], vcc
	s_cbranch_execz .LBB4_7379
; %bb.7372:                             ;   in Loop: Header=BB4_6192 Depth=3
	v_cmp_ne_u16_sdwa vcc, sext(v10), s94 src0_sel:BYTE_0 src1_sel:DWORD
	v_bfrev_b32_e32 v5, 1
	s_and_saveexec_b64 s[68:69], vcc
	s_cbranch_execz .LBB4_7378
; %bb.7373:                             ;   in Loop: Header=BB4_6192 Depth=3
	v_and_b32_e32 v5, 0x7c, v10
	v_and_b32_e32 v8, 3, v10
	v_cmp_ne_u32_e32 vcc, s95, v5
                                        ; implicit-def: $vgpr5
	s_and_saveexec_b64 s[70:71], vcc
	s_xor_b64 s[70:71], exec, s[70:71]
	s_cbranch_execz .LBB4_7375
; %bb.7374:                             ;   in Loop: Header=BB4_6192 Depth=3
	v_ffbh_u32_e32 v9, v8
	v_min_u32_e32 v9, 32, v9
	v_subrev_u32_e32 v12, 29, v9
	v_bfe_u32 v5, v10, 2, 5
	v_lshlrev_b64 v[12:13], v12, v[10:11]
	v_sub_u32_e32 v9, 30, v9
	v_and_b32_e32 v12, 3, v12
	v_cmp_eq_u32_e32 vcc, 0, v5
	v_cndmask_b32_e32 v5, v5, v9, vcc
	v_cndmask_b32_e32 v8, v8, v12, vcc
	v_bfrev_b32_e32 v12, 28
	v_lshlrev_b32_e32 v9, 24, v10
	v_lshl_add_u32 v5, v5, 23, v12
	v_and_or_b32 v5, v9, s96, v5
	v_lshl_or_b32 v5, v8, 21, v5
                                        ; implicit-def: $vgpr8
.LBB4_7375:                             ;   in Loop: Header=BB4_6192 Depth=3
	s_andn2_saveexec_b64 s[70:71], s[70:71]
; %bb.7376:                             ;   in Loop: Header=BB4_6192 Depth=3
	v_mov_b32_e32 v5, -1
	v_cmp_gt_i16_sdwa vcc, sext(v10), v5 src0_sel:BYTE_0 src1_sel:DWORD
	v_cndmask_b32_e32 v5, v6, v1, vcc
	v_cmp_eq_u32_e32 vcc, 0, v8
	v_mov_b32_e32 v8, 0x7f800001
	v_cndmask_b32_e32 v5, v8, v5, vcc
; %bb.7377:                             ;   in Loop: Header=BB4_6192 Depth=3
	s_or_b64 exec, exec, s[70:71]
.LBB4_7378:                             ;   in Loop: Header=BB4_6192 Depth=3
	s_or_b64 exec, exec, s[68:69]
.LBB4_7379:                             ;   in Loop: Header=BB4_6192 Depth=3
	s_or_b64 exec, exec, s[30:31]
	v_max_f32_e32 v5, v5, v5
	v_max_f32_e32 v4, v4, v4
	v_min_f32_e32 v4, v4, v5
.LBB4_7380:                             ;   in Loop: Header=BB4_6192 Depth=3
	v_and_b32_sdwa v8, v4, s97 dst_sel:DWORD dst_unused:UNUSED_PAD src0_sel:BYTE_3 src1_sel:DWORD
	v_and_b32_e32 v12, 0x7f800000, v4
	v_mov_b32_e32 v13, v43
	v_and_b32_e32 v42, 0x7fffff, v4
	v_or_b32_e32 v18, 0x7b, v8
	v_cmp_ne_u64_e32 vcc, s[52:53], v[12:13]
	s_and_saveexec_b64 s[30:31], vcc
	s_xor_b64 s[68:69], exec, s[30:31]
	s_cbranch_execz .LBB4_7390
; %bb.7381:                             ;   in Loop: Header=BB4_6192 Depth=3
	v_and_b32_e32 v12, 0x7fffffff, v4
	v_mov_b32_e32 v13, v43
	v_cmp_gt_u64_e32 vcc, s[54:55], v[12:13]
	s_and_saveexec_b64 s[70:71], vcc
	s_cbranch_execz .LBB4_7389
; %bb.7382:                             ;   in Loop: Header=BB4_6192 Depth=3
	v_cmp_ne_u32_e32 vcc, 0, v4
	v_mov_b32_e32 v18, 0
	s_and_saveexec_b64 s[72:73], vcc
	s_cbranch_execz .LBB4_7388
; %bb.7383:                             ;   in Loop: Header=BB4_6192 Depth=3
	v_bfe_u32 v4, v4, 23, 8
	v_cmp_eq_u32_e32 vcc, 0, v4
	v_add_u32_e32 v5, 0xffffff81, v4
	v_cmp_gt_u32_e64 s[30:31], s38, v4
	v_sub_u32_e32 v4, 0x71, v4
	v_mov_b32_e32 v12, 0xffffff82
	v_cndmask_b32_e64 v4, 0, v4, s[30:31]
	v_cndmask_b32_e32 v18, v5, v12, vcc
	v_mov_b32_e32 v5, 0x70
	v_cndmask_b32_e32 v19, v4, v5, vcc
	v_add_u32_e32 v4, 21, v19
	v_or_b32_e32 v9, 0x800000, v42
	v_lshlrev_b64 v[4:5], v4, -1
	v_cndmask_b32_e32 v42, v9, v42, vcc
	v_not_b32_e32 v5, v5
	v_not_b32_e32 v4, v4
	v_add_u32_e32 v9, 20, v19
	v_and_b32_e32 v5, 0, v5
	v_and_b32_e32 v4, v42, v4
	v_lshlrev_b64 v[12:13], v9, 1
	v_cmp_eq_u64_e32 vcc, v[4:5], v[12:13]
	v_lshrrev_b64 v[4:5], v19, v[42:43]
	v_lshrrev_b32_e32 v9, 23, v4
	v_add3_u32 v13, v19, v18, v9
	v_bfe_u32 v9, v4, 21, 1
	v_add_u32_e32 v9, -1, v9
	v_cndmask_b32_e32 v9, 0, v9, vcc
	v_add_u32_e32 v9, v9, v4
	v_and_b32_e32 v9, 0x1fffff, v9
	v_add_co_u32_e32 v4, vcc, v9, v4
	v_add_u32_e32 v12, 14, v13
	v_addc_co_u32_e32 v5, vcc, 0, v5, vcc
	v_cmp_ne_u32_e32 vcc, 0, v12
                                        ; implicit-def: $vgpr9
	s_and_saveexec_b64 s[30:31], vcc
	s_xor_b64 s[30:31], exec, s[30:31]
; %bb.7384:                             ;   in Loop: Header=BB4_6192 Depth=3
	v_add_u32_e32 v9, 15, v13
	v_cmp_lt_u64_e32 vcc, s[56:57], v[4:5]
	v_cndmask_b32_e32 v9, v12, v9, vcc
	v_cndmask_b32_e64 v12, 0, 1, vcc
	v_lshrrev_b64 v[4:5], v12, v[4:5]
; %bb.7385:                             ;   in Loop: Header=BB4_6192 Depth=3
	s_andn2_saveexec_b64 vcc, s[30:31]
; %bb.7386:                             ;   in Loop: Header=BB4_6192 Depth=3
	v_bfe_u32 v9, v4, 23, 1
; %bb.7387:                             ;   in Loop: Header=BB4_6192 Depth=3
	s_or_b64 exec, exec, vcc
	v_lshrrev_b64 v[4:5], 21, v[4:5]
	v_cmp_gt_i32_e32 vcc, 32, v9
	v_cndmask_b32_e32 v5, 0, v5, vcc
	v_cndmask_b32_e32 v4, 3, v4, vcc
	v_cmp_eq_u64_e64 s[30:31], 0, v[4:5]
	v_min_i32_e32 v5, 31, v9
	v_cmp_eq_u32_e32 vcc, 0, v9
	v_lshlrev_b32_e32 v5, 2, v5
	v_and_or_b32 v4, v4, 3, v5
	s_and_b64 vcc, vcc, s[30:31]
	v_cndmask_b32_e64 v4, v4, 0, vcc
	v_or_b32_e32 v18, v4, v8
.LBB4_7388:                             ;   in Loop: Header=BB4_6192 Depth=3
	s_or_b64 exec, exec, s[72:73]
.LBB4_7389:                             ;   in Loop: Header=BB4_6192 Depth=3
	s_or_b64 exec, exec, s[70:71]
                                        ; implicit-def: $vgpr4
.LBB4_7390:                             ;   in Loop: Header=BB4_6192 Depth=3
	s_andn2_saveexec_b64 s[30:31], s[68:69]
; %bb.7391:                             ;   in Loop: Header=BB4_6192 Depth=3
	v_or_b32_sdwa v4, v4, s39 dst_sel:DWORD dst_unused:UNUSED_PAD src0_sel:BYTE_3 src1_sel:DWORD
	v_cmp_eq_u64_e32 vcc, 0, v[42:43]
	v_cndmask_b32_e32 v18, v4, v18, vcc
; %bb.7392:                             ;   in Loop: Header=BB4_6192 Depth=3
	s_or_b64 exec, exec, s[30:31]
	v_lshrrev_b16_e32 v42, 8, v14
	v_lshrrev_b16_e32 v4, 8, v10
	s_and_b64 vcc, exec, s[28:29]
	v_cmp_ne_u16_e64 s[30:31], 0, v42
	s_cbranch_vccnz .LBB4_7410
; %bb.7393:                             ;   in Loop: Header=BB4_6192 Depth=3
	v_mov_b32_e32 v5, 0
	v_mov_b32_e32 v8, 0
	s_and_saveexec_b64 s[68:69], s[30:31]
	s_cbranch_execz .LBB4_7401
; %bb.7394:                             ;   in Loop: Header=BB4_6192 Depth=3
	v_cmp_ne_u16_e32 vcc, s97, v42
	v_bfrev_b32_e32 v8, 1
	s_and_saveexec_b64 s[70:71], vcc
	s_cbranch_execz .LBB4_7400
; %bb.7395:                             ;   in Loop: Header=BB4_6192 Depth=3
	v_and_b32_e32 v8, 0x7c, v42
	v_and_b32_e32 v9, 3, v42
	v_cmp_ne_u32_e32 vcc, s95, v8
                                        ; implicit-def: $vgpr8
	s_and_saveexec_b64 s[72:73], vcc
	s_xor_b64 s[72:73], exec, s[72:73]
	s_cbranch_execz .LBB4_7397
; %bb.7396:                             ;   in Loop: Header=BB4_6192 Depth=3
	v_ffbh_u32_e32 v12, v9
	v_min_u32_e32 v19, 32, v12
	v_subrev_u32_e32 v12, 29, v19
	v_bfe_u32 v8, v42, 2, 5
	v_lshlrev_b64 v[12:13], v12, v[42:43]
	v_sub_u32_e32 v13, 30, v19
	v_cmp_eq_u32_e32 vcc, 0, v8
	v_and_b32_e32 v12, 3, v12
	v_cndmask_b32_e32 v8, v8, v13, vcc
	v_bfrev_b32_e32 v13, 28
	v_cndmask_b32_e32 v9, v9, v12, vcc
	v_lshlrev_b32_e32 v12, 16, v14
	v_lshl_add_u32 v8, v8, 23, v13
	v_and_or_b32 v8, v12, s96, v8
	v_lshl_or_b32 v8, v9, 21, v8
                                        ; implicit-def: $vgpr9
.LBB4_7397:                             ;   in Loop: Header=BB4_6192 Depth=3
	s_andn2_saveexec_b64 s[72:73], s[72:73]
; %bb.7398:                             ;   in Loop: Header=BB4_6192 Depth=3
	v_cmp_lt_i16_e32 vcc, -1, v14
	v_cndmask_b32_e32 v8, v6, v1, vcc
	v_cmp_eq_u32_e32 vcc, 0, v9
	v_mov_b32_e32 v9, 0x7f800001
	v_cndmask_b32_e32 v8, v9, v8, vcc
; %bb.7399:                             ;   in Loop: Header=BB4_6192 Depth=3
	s_or_b64 exec, exec, s[72:73]
.LBB4_7400:                             ;   in Loop: Header=BB4_6192 Depth=3
	s_or_b64 exec, exec, s[70:71]
.LBB4_7401:                             ;   in Loop: Header=BB4_6192 Depth=3
	s_or_b64 exec, exec, s[68:69]
	v_cmp_ne_u16_e32 vcc, 0, v4
	s_and_saveexec_b64 s[68:69], vcc
	s_cbranch_execz .LBB4_7409
; %bb.7402:                             ;   in Loop: Header=BB4_6192 Depth=3
	v_cmp_ne_u16_e32 vcc, s97, v4
	v_bfrev_b32_e32 v5, 1
	s_and_saveexec_b64 s[70:71], vcc
	s_cbranch_execz .LBB4_7408
; %bb.7403:                             ;   in Loop: Header=BB4_6192 Depth=3
	v_and_b32_e32 v5, 0x7c, v4
	v_and_b32_e32 v9, 3, v4
	v_cmp_ne_u32_e32 vcc, s95, v5
                                        ; implicit-def: $vgpr5
	s_and_saveexec_b64 s[72:73], vcc
	s_xor_b64 s[72:73], exec, s[72:73]
	s_cbranch_execz .LBB4_7405
; %bb.7404:                             ;   in Loop: Header=BB4_6192 Depth=3
	v_ffbh_u32_e32 v12, v9
	v_min_u32_e32 v32, 32, v12
	v_mov_b32_e32 v5, v43
	v_bfe_u32 v19, v4, 2, 5
	v_subrev_u32_e32 v12, 29, v32
	v_lshlrev_b64 v[12:13], v12, v[4:5]
	v_sub_u32_e32 v5, 30, v32
	v_cmp_eq_u32_e32 vcc, 0, v19
	v_and_b32_e32 v12, 3, v12
	v_cndmask_b32_e32 v5, v19, v5, vcc
	v_bfrev_b32_e32 v13, 28
	v_cndmask_b32_e32 v9, v9, v12, vcc
	v_lshlrev_b32_e32 v12, 16, v10
	v_lshl_add_u32 v5, v5, 23, v13
	v_and_or_b32 v5, v12, s96, v5
	v_lshl_or_b32 v5, v9, 21, v5
                                        ; implicit-def: $vgpr9
.LBB4_7405:                             ;   in Loop: Header=BB4_6192 Depth=3
	s_andn2_saveexec_b64 s[72:73], s[72:73]
; %bb.7406:                             ;   in Loop: Header=BB4_6192 Depth=3
	v_cmp_lt_i16_e32 vcc, -1, v10
	v_cndmask_b32_e32 v5, v6, v1, vcc
	v_cmp_eq_u32_e32 vcc, 0, v9
	v_mov_b32_e32 v9, 0x7f800001
	v_cndmask_b32_e32 v5, v9, v5, vcc
; %bb.7407:                             ;   in Loop: Header=BB4_6192 Depth=3
	s_or_b64 exec, exec, s[72:73]
.LBB4_7408:                             ;   in Loop: Header=BB4_6192 Depth=3
	s_or_b64 exec, exec, s[70:71]
.LBB4_7409:                             ;   in Loop: Header=BB4_6192 Depth=3
	s_or_b64 exec, exec, s[68:69]
	v_max_f32_e32 v5, v5, v5
	v_max_f32_e32 v8, v8, v8
	;; [unrolled: 1-line block ×3, first 2 shown]
	s_branch .LBB4_7428
.LBB4_7410:                             ;   in Loop: Header=BB4_6192 Depth=3
                                        ; implicit-def: $vgpr5
	s_cbranch_execz .LBB4_7428
; %bb.7411:                             ;   in Loop: Header=BB4_6192 Depth=3
	v_mov_b32_e32 v5, 0
	v_mov_b32_e32 v8, 0
	s_and_saveexec_b64 s[68:69], s[30:31]
	s_cbranch_execz .LBB4_7419
; %bb.7412:                             ;   in Loop: Header=BB4_6192 Depth=3
	v_cmp_ne_u16_e32 vcc, s97, v42
	v_bfrev_b32_e32 v8, 1
	s_and_saveexec_b64 s[30:31], vcc
	s_cbranch_execz .LBB4_7418
; %bb.7413:                             ;   in Loop: Header=BB4_6192 Depth=3
	v_and_b32_e32 v8, 0x7c, v42
	v_and_b32_e32 v9, 3, v42
	v_cmp_ne_u32_e32 vcc, s95, v8
                                        ; implicit-def: $vgpr8
	s_and_saveexec_b64 s[70:71], vcc
	s_xor_b64 s[70:71], exec, s[70:71]
	s_cbranch_execz .LBB4_7415
; %bb.7414:                             ;   in Loop: Header=BB4_6192 Depth=3
	v_ffbh_u32_e32 v12, v9
	v_min_u32_e32 v19, 32, v12
	v_subrev_u32_e32 v12, 29, v19
	v_bfe_u32 v8, v42, 2, 5
	v_lshlrev_b64 v[12:13], v12, v[42:43]
	v_sub_u32_e32 v13, 30, v19
	v_cmp_eq_u32_e32 vcc, 0, v8
	v_and_b32_e32 v12, 3, v12
	v_cndmask_b32_e32 v8, v8, v13, vcc
	v_bfrev_b32_e32 v13, 28
	v_cndmask_b32_e32 v9, v9, v12, vcc
	v_lshlrev_b32_e32 v12, 16, v14
	v_lshl_add_u32 v8, v8, 23, v13
	v_and_or_b32 v8, v12, s96, v8
	v_lshl_or_b32 v8, v9, 21, v8
                                        ; implicit-def: $vgpr9
.LBB4_7415:                             ;   in Loop: Header=BB4_6192 Depth=3
	s_andn2_saveexec_b64 s[70:71], s[70:71]
; %bb.7416:                             ;   in Loop: Header=BB4_6192 Depth=3
	v_cmp_lt_i16_e32 vcc, -1, v14
	v_cndmask_b32_e32 v8, v6, v1, vcc
	v_cmp_eq_u32_e32 vcc, 0, v9
	v_mov_b32_e32 v9, 0x7f800001
	v_cndmask_b32_e32 v8, v9, v8, vcc
; %bb.7417:                             ;   in Loop: Header=BB4_6192 Depth=3
	s_or_b64 exec, exec, s[70:71]
.LBB4_7418:                             ;   in Loop: Header=BB4_6192 Depth=3
	s_or_b64 exec, exec, s[30:31]
.LBB4_7419:                             ;   in Loop: Header=BB4_6192 Depth=3
	s_or_b64 exec, exec, s[68:69]
	v_cmp_ne_u16_e32 vcc, 0, v4
	s_and_saveexec_b64 s[30:31], vcc
	s_cbranch_execz .LBB4_7427
; %bb.7420:                             ;   in Loop: Header=BB4_6192 Depth=3
	v_cmp_ne_u16_e32 vcc, s97, v4
	v_bfrev_b32_e32 v5, 1
	s_and_saveexec_b64 s[68:69], vcc
	s_cbranch_execz .LBB4_7426
; %bb.7421:                             ;   in Loop: Header=BB4_6192 Depth=3
	v_and_b32_e32 v5, 0x7c, v4
	v_and_b32_e32 v9, 3, v4
	v_cmp_ne_u32_e32 vcc, s95, v5
                                        ; implicit-def: $vgpr5
	s_and_saveexec_b64 s[70:71], vcc
	s_xor_b64 s[70:71], exec, s[70:71]
	s_cbranch_execz .LBB4_7423
; %bb.7422:                             ;   in Loop: Header=BB4_6192 Depth=3
	v_ffbh_u32_e32 v13, v9
	v_min_u32_e32 v13, 32, v13
	v_mov_b32_e32 v5, v43
	v_subrev_u32_e32 v19, 29, v13
	v_bfe_u32 v12, v4, 2, 5
	v_lshlrev_b64 v[4:5], v19, v[4:5]
	v_sub_u32_e32 v5, 30, v13
	v_cmp_eq_u32_e32 vcc, 0, v12
	v_and_b32_e32 v4, 3, v4
	v_cndmask_b32_e32 v5, v12, v5, vcc
	v_bfrev_b32_e32 v12, 28
	v_cndmask_b32_e32 v4, v9, v4, vcc
	v_lshlrev_b32_e32 v9, 16, v10
	v_lshl_add_u32 v5, v5, 23, v12
	v_and_or_b32 v5, v9, s96, v5
	v_lshl_or_b32 v5, v4, 21, v5
                                        ; implicit-def: $vgpr9
.LBB4_7423:                             ;   in Loop: Header=BB4_6192 Depth=3
	s_andn2_saveexec_b64 s[70:71], s[70:71]
; %bb.7424:                             ;   in Loop: Header=BB4_6192 Depth=3
	v_cmp_lt_i16_e32 vcc, -1, v10
	v_cndmask_b32_e32 v4, v6, v1, vcc
	v_cmp_eq_u32_e32 vcc, 0, v9
	v_mov_b32_e32 v5, 0x7f800001
	v_cndmask_b32_e32 v5, v5, v4, vcc
; %bb.7425:                             ;   in Loop: Header=BB4_6192 Depth=3
	s_or_b64 exec, exec, s[70:71]
.LBB4_7426:                             ;   in Loop: Header=BB4_6192 Depth=3
	s_or_b64 exec, exec, s[68:69]
.LBB4_7427:                             ;   in Loop: Header=BB4_6192 Depth=3
	s_or_b64 exec, exec, s[30:31]
	v_max_f32_e32 v4, v5, v5
	v_max_f32_e32 v5, v8, v8
	v_min_f32_e32 v5, v5, v4
.LBB4_7428:                             ;   in Loop: Header=BB4_6192 Depth=3
	v_and_b32_sdwa v8, v5, s97 dst_sel:DWORD dst_unused:UNUSED_PAD src0_sel:BYTE_3 src1_sel:DWORD
	v_and_b32_e32 v12, 0x7f800000, v5
	v_mov_b32_e32 v13, v43
	v_and_b32_e32 v42, 0x7fffff, v5
	v_or_b32_e32 v19, 0x7b, v8
	v_cmp_ne_u64_e32 vcc, s[52:53], v[12:13]
	s_and_saveexec_b64 s[30:31], vcc
	s_xor_b64 s[68:69], exec, s[30:31]
	s_cbranch_execz .LBB4_7438
; %bb.7429:                             ;   in Loop: Header=BB4_6192 Depth=3
	v_and_b32_e32 v12, 0x7fffffff, v5
	v_mov_b32_e32 v13, v43
	v_cmp_gt_u64_e32 vcc, s[54:55], v[12:13]
	s_and_saveexec_b64 s[70:71], vcc
	s_cbranch_execz .LBB4_7437
; %bb.7430:                             ;   in Loop: Header=BB4_6192 Depth=3
	v_cmp_ne_u32_e32 vcc, 0, v5
	v_mov_b32_e32 v19, 0
	s_and_saveexec_b64 s[72:73], vcc
	s_cbranch_execz .LBB4_7436
; %bb.7431:                             ;   in Loop: Header=BB4_6192 Depth=3
	v_bfe_u32 v4, v5, 23, 8
	v_cmp_eq_u32_e32 vcc, 0, v4
	v_add_u32_e32 v5, 0xffffff81, v4
	v_cmp_gt_u32_e64 s[30:31], s38, v4
	v_sub_u32_e32 v4, 0x71, v4
	v_mov_b32_e32 v12, 0xffffff82
	v_cndmask_b32_e64 v4, 0, v4, s[30:31]
	v_cndmask_b32_e32 v19, v5, v12, vcc
	v_mov_b32_e32 v5, 0x70
	v_cndmask_b32_e32 v32, v4, v5, vcc
	v_add_u32_e32 v4, 21, v32
	v_or_b32_e32 v9, 0x800000, v42
	v_lshlrev_b64 v[4:5], v4, -1
	v_cndmask_b32_e32 v42, v9, v42, vcc
	v_not_b32_e32 v5, v5
	v_not_b32_e32 v4, v4
	v_add_u32_e32 v9, 20, v32
	v_and_b32_e32 v5, 0, v5
	v_and_b32_e32 v4, v42, v4
	v_lshlrev_b64 v[12:13], v9, 1
	v_cmp_eq_u64_e32 vcc, v[4:5], v[12:13]
	v_lshrrev_b64 v[4:5], v32, v[42:43]
	v_lshrrev_b32_e32 v9, 23, v4
	v_add3_u32 v13, v32, v19, v9
	v_bfe_u32 v9, v4, 21, 1
	v_add_u32_e32 v9, -1, v9
	v_cndmask_b32_e32 v9, 0, v9, vcc
	v_add_u32_e32 v9, v9, v4
	v_and_b32_e32 v9, 0x1fffff, v9
	v_add_co_u32_e32 v4, vcc, v9, v4
	v_add_u32_e32 v12, 14, v13
	v_addc_co_u32_e32 v5, vcc, 0, v5, vcc
	v_cmp_ne_u32_e32 vcc, 0, v12
                                        ; implicit-def: $vgpr9
	s_and_saveexec_b64 s[30:31], vcc
	s_xor_b64 s[30:31], exec, s[30:31]
; %bb.7432:                             ;   in Loop: Header=BB4_6192 Depth=3
	v_add_u32_e32 v9, 15, v13
	v_cmp_lt_u64_e32 vcc, s[56:57], v[4:5]
	v_cndmask_b32_e32 v9, v12, v9, vcc
	v_cndmask_b32_e64 v12, 0, 1, vcc
	v_lshrrev_b64 v[4:5], v12, v[4:5]
; %bb.7433:                             ;   in Loop: Header=BB4_6192 Depth=3
	s_andn2_saveexec_b64 vcc, s[30:31]
; %bb.7434:                             ;   in Loop: Header=BB4_6192 Depth=3
	v_bfe_u32 v9, v4, 23, 1
; %bb.7435:                             ;   in Loop: Header=BB4_6192 Depth=3
	s_or_b64 exec, exec, vcc
	v_lshrrev_b64 v[4:5], 21, v[4:5]
	v_cmp_gt_i32_e32 vcc, 32, v9
	v_cndmask_b32_e32 v5, 0, v5, vcc
	v_cndmask_b32_e32 v4, 3, v4, vcc
	v_cmp_eq_u64_e64 s[30:31], 0, v[4:5]
	v_min_i32_e32 v5, 31, v9
	v_cmp_eq_u32_e32 vcc, 0, v9
	v_lshlrev_b32_e32 v5, 2, v5
	v_and_or_b32 v4, v4, 3, v5
	s_and_b64 vcc, vcc, s[30:31]
	v_cndmask_b32_e64 v4, v4, 0, vcc
	v_or_b32_e32 v19, v4, v8
.LBB4_7436:                             ;   in Loop: Header=BB4_6192 Depth=3
	s_or_b64 exec, exec, s[72:73]
.LBB4_7437:                             ;   in Loop: Header=BB4_6192 Depth=3
	s_or_b64 exec, exec, s[70:71]
                                        ; implicit-def: $vgpr5
.LBB4_7438:                             ;   in Loop: Header=BB4_6192 Depth=3
	s_andn2_saveexec_b64 s[30:31], s[68:69]
; %bb.7439:                             ;   in Loop: Header=BB4_6192 Depth=3
	v_or_b32_sdwa v4, v5, s39 dst_sel:DWORD dst_unused:UNUSED_PAD src0_sel:BYTE_3 src1_sel:DWORD
	v_cmp_eq_u64_e32 vcc, 0, v[42:43]
	v_cndmask_b32_e32 v19, v4, v19, vcc
; %bb.7440:                             ;   in Loop: Header=BB4_6192 Depth=3
	s_or_b64 exec, exec, s[30:31]
	v_lshrrev_b32_e32 v8, 16, v14
	v_lshrrev_b32_e32 v4, 16, v10
	s_and_b64 vcc, exec, s[28:29]
	v_cmp_ne_u16_sdwa s[30:31], v8, v43 src0_sel:BYTE_0 src1_sel:DWORD
	s_cbranch_vccnz .LBB4_7458
; %bb.7441:                             ;   in Loop: Header=BB4_6192 Depth=3
	v_mov_b32_e32 v9, 0
	v_mov_b32_e32 v5, 0
	s_and_saveexec_b64 s[68:69], s[30:31]
	s_cbranch_execz .LBB4_7449
; %bb.7442:                             ;   in Loop: Header=BB4_6192 Depth=3
	v_cmp_ne_u16_sdwa vcc, v8, s97 src0_sel:BYTE_0 src1_sel:DWORD
	v_bfrev_b32_e32 v5, 1
	s_and_saveexec_b64 s[70:71], vcc
	s_cbranch_execz .LBB4_7448
; %bb.7443:                             ;   in Loop: Header=BB4_6192 Depth=3
	v_and_b32_e32 v5, 0x7c0000, v14
	v_bfe_u32 v12, v14, 16, 2
	v_cmp_ne_u32_e32 vcc, s36, v5
                                        ; implicit-def: $vgpr5
	s_and_saveexec_b64 s[72:73], vcc
	s_xor_b64 s[72:73], exec, s[72:73]
	s_cbranch_execz .LBB4_7445
; %bb.7444:                             ;   in Loop: Header=BB4_6192 Depth=3
	v_ffbh_u32_e32 v13, v12
	v_min_u32_e32 v13, 32, v13
	v_subrev_u32_e32 v32, 29, v13
	v_bfe_u32 v5, v14, 18, 5
	v_lshlrev_b64 v[36:37], v32, v[8:9]
	v_sub_u32_e32 v13, 30, v13
	v_and_b32_e32 v32, 3, v36
	v_cmp_eq_u32_e32 vcc, 0, v5
	v_cndmask_b32_e32 v5, v5, v13, vcc
	v_cndmask_b32_e32 v12, v12, v32, vcc
	v_bfrev_b32_e32 v32, 28
	v_lshlrev_b32_e32 v13, 24, v8
	v_lshl_add_u32 v5, v5, 23, v32
	v_and_or_b32 v5, v13, s96, v5
	v_lshl_or_b32 v5, v12, 21, v5
                                        ; implicit-def: $vgpr12
.LBB4_7445:                             ;   in Loop: Header=BB4_6192 Depth=3
	s_andn2_saveexec_b64 s[72:73], s[72:73]
; %bb.7446:                             ;   in Loop: Header=BB4_6192 Depth=3
	v_mov_b32_e32 v5, -1
	v_cmp_gt_i16_sdwa vcc, sext(v8), v5 src0_sel:BYTE_0 src1_sel:DWORD
	v_cndmask_b32_e32 v5, v6, v1, vcc
	v_cmp_eq_u32_e32 vcc, 0, v12
	v_mov_b32_e32 v12, 0x7f800001
	v_cndmask_b32_e32 v5, v12, v5, vcc
; %bb.7447:                             ;   in Loop: Header=BB4_6192 Depth=3
	s_or_b64 exec, exec, s[72:73]
.LBB4_7448:                             ;   in Loop: Header=BB4_6192 Depth=3
	s_or_b64 exec, exec, s[70:71]
.LBB4_7449:                             ;   in Loop: Header=BB4_6192 Depth=3
	s_or_b64 exec, exec, s[68:69]
	v_cmp_ne_u16_sdwa vcc, v4, v43 src0_sel:BYTE_0 src1_sel:DWORD
	s_and_saveexec_b64 s[68:69], vcc
	s_cbranch_execz .LBB4_7457
; %bb.7450:                             ;   in Loop: Header=BB4_6192 Depth=3
	v_cmp_ne_u16_sdwa vcc, v4, s97 src0_sel:BYTE_0 src1_sel:DWORD
	v_bfrev_b32_e32 v9, 1
	s_and_saveexec_b64 s[70:71], vcc
	s_cbranch_execz .LBB4_7456
; %bb.7451:                             ;   in Loop: Header=BB4_6192 Depth=3
	v_and_b32_e32 v9, 0x7c0000, v10
	v_bfe_u32 v12, v10, 16, 2
	v_cmp_ne_u32_e32 vcc, s36, v9
                                        ; implicit-def: $vgpr9
	s_and_saveexec_b64 s[72:73], vcc
	s_xor_b64 s[72:73], exec, s[72:73]
	s_cbranch_execz .LBB4_7453
; %bb.7452:                             ;   in Loop: Header=BB4_6192 Depth=3
	v_ffbh_u32_e32 v13, v12
	v_min_u32_e32 v13, 32, v13
	v_subrev_u32_e32 v32, 29, v13
	v_bfe_u32 v9, v10, 18, 5
	v_lshlrev_b64 v[36:37], v32, v[4:5]
	v_sub_u32_e32 v13, 30, v13
	v_and_b32_e32 v32, 3, v36
	v_cmp_eq_u32_e32 vcc, 0, v9
	v_cndmask_b32_e32 v9, v9, v13, vcc
	v_cndmask_b32_e32 v12, v12, v32, vcc
	v_bfrev_b32_e32 v32, 28
	v_lshlrev_b32_e32 v13, 24, v4
	v_lshl_add_u32 v9, v9, 23, v32
	v_and_or_b32 v9, v13, s96, v9
	v_lshl_or_b32 v9, v12, 21, v9
                                        ; implicit-def: $vgpr12
.LBB4_7453:                             ;   in Loop: Header=BB4_6192 Depth=3
	s_andn2_saveexec_b64 s[72:73], s[72:73]
; %bb.7454:                             ;   in Loop: Header=BB4_6192 Depth=3
	v_mov_b32_e32 v9, -1
	v_cmp_gt_i16_sdwa vcc, sext(v4), v9 src0_sel:BYTE_0 src1_sel:DWORD
	v_cndmask_b32_e32 v9, v6, v1, vcc
	v_cmp_eq_u32_e32 vcc, 0, v12
	v_mov_b32_e32 v12, 0x7f800001
	v_cndmask_b32_e32 v9, v12, v9, vcc
; %bb.7455:                             ;   in Loop: Header=BB4_6192 Depth=3
	s_or_b64 exec, exec, s[72:73]
.LBB4_7456:                             ;   in Loop: Header=BB4_6192 Depth=3
	s_or_b64 exec, exec, s[70:71]
.LBB4_7457:                             ;   in Loop: Header=BB4_6192 Depth=3
	s_or_b64 exec, exec, s[68:69]
	v_max_f32_e32 v9, v9, v9
	v_max_f32_e32 v5, v5, v5
	;; [unrolled: 1-line block ×3, first 2 shown]
	s_branch .LBB4_7476
.LBB4_7458:                             ;   in Loop: Header=BB4_6192 Depth=3
                                        ; implicit-def: $vgpr5
	s_cbranch_execz .LBB4_7476
; %bb.7459:                             ;   in Loop: Header=BB4_6192 Depth=3
	v_mov_b32_e32 v9, 0
	v_mov_b32_e32 v5, 0
	s_and_saveexec_b64 s[68:69], s[30:31]
	s_cbranch_execz .LBB4_7467
; %bb.7460:                             ;   in Loop: Header=BB4_6192 Depth=3
	v_cmp_ne_u16_sdwa vcc, v8, s97 src0_sel:BYTE_0 src1_sel:DWORD
	v_bfrev_b32_e32 v5, 1
	s_and_saveexec_b64 s[30:31], vcc
	s_cbranch_execz .LBB4_7466
; %bb.7461:                             ;   in Loop: Header=BB4_6192 Depth=3
	v_and_b32_e32 v5, 0x7c0000, v14
	v_bfe_u32 v12, v14, 16, 2
	v_cmp_ne_u32_e32 vcc, s36, v5
                                        ; implicit-def: $vgpr5
	s_and_saveexec_b64 s[70:71], vcc
	s_xor_b64 s[70:71], exec, s[70:71]
	s_cbranch_execz .LBB4_7463
; %bb.7462:                             ;   in Loop: Header=BB4_6192 Depth=3
	v_ffbh_u32_e32 v13, v12
	v_bfe_u32 v5, v14, 18, 5
	v_min_u32_e32 v13, 32, v13
	v_subrev_u32_e32 v32, 29, v13
	v_sub_u32_e32 v13, 30, v13
	v_cmp_eq_u32_e32 vcc, 0, v5
	v_lshlrev_b64 v[36:37], v32, v[8:9]
	v_cndmask_b32_e32 v5, v5, v13, vcc
	v_bfrev_b32_e32 v13, 28
	v_and_b32_e32 v32, 3, v36
	v_lshlrev_b32_e32 v8, 24, v8
	v_lshl_add_u32 v5, v5, 23, v13
	v_cndmask_b32_e32 v12, v12, v32, vcc
	v_and_or_b32 v5, v8, s96, v5
	v_lshl_or_b32 v5, v12, 21, v5
                                        ; implicit-def: $vgpr12
                                        ; implicit-def: $vgpr8
.LBB4_7463:                             ;   in Loop: Header=BB4_6192 Depth=3
	s_andn2_saveexec_b64 s[70:71], s[70:71]
; %bb.7464:                             ;   in Loop: Header=BB4_6192 Depth=3
	v_mov_b32_e32 v5, -1
	v_cmp_gt_i16_sdwa vcc, sext(v8), v5 src0_sel:BYTE_0 src1_sel:DWORD
	v_cndmask_b32_e32 v5, v6, v1, vcc
	v_cmp_eq_u32_e32 vcc, 0, v12
	v_mov_b32_e32 v8, 0x7f800001
	v_cndmask_b32_e32 v5, v8, v5, vcc
; %bb.7465:                             ;   in Loop: Header=BB4_6192 Depth=3
	s_or_b64 exec, exec, s[70:71]
.LBB4_7466:                             ;   in Loop: Header=BB4_6192 Depth=3
	s_or_b64 exec, exec, s[30:31]
.LBB4_7467:                             ;   in Loop: Header=BB4_6192 Depth=3
	s_or_b64 exec, exec, s[68:69]
	v_cmp_ne_u16_sdwa vcc, v4, v43 src0_sel:BYTE_0 src1_sel:DWORD
	s_and_saveexec_b64 s[30:31], vcc
	s_cbranch_execz .LBB4_7475
; %bb.7468:                             ;   in Loop: Header=BB4_6192 Depth=3
	v_cmp_ne_u16_sdwa vcc, v4, s97 src0_sel:BYTE_0 src1_sel:DWORD
	v_bfrev_b32_e32 v9, 1
	s_and_saveexec_b64 s[68:69], vcc
	s_cbranch_execz .LBB4_7474
; %bb.7469:                             ;   in Loop: Header=BB4_6192 Depth=3
	v_and_b32_e32 v9, 0x7c0000, v10
	v_bfe_u32 v8, v10, 16, 2
	v_cmp_ne_u32_e32 vcc, s36, v9
                                        ; implicit-def: $vgpr9
	s_and_saveexec_b64 s[70:71], vcc
	s_xor_b64 s[70:71], exec, s[70:71]
	s_cbranch_execz .LBB4_7471
; %bb.7470:                             ;   in Loop: Header=BB4_6192 Depth=3
	v_ffbh_u32_e32 v12, v8
	v_min_u32_e32 v32, 32, v12
	v_subrev_u32_e32 v12, 29, v32
	v_bfe_u32 v9, v10, 18, 5
	v_lshlrev_b64 v[12:13], v12, v[4:5]
	v_sub_u32_e32 v13, 30, v32
	v_and_b32_e32 v12, 3, v12
	v_cmp_eq_u32_e32 vcc, 0, v9
	v_cndmask_b32_e32 v9, v9, v13, vcc
	v_cndmask_b32_e32 v8, v8, v12, vcc
	v_bfrev_b32_e32 v12, 28
	v_lshlrev_b32_e32 v4, 24, v4
	v_lshl_add_u32 v9, v9, 23, v12
	v_and_or_b32 v4, v4, s96, v9
	v_lshl_or_b32 v9, v8, 21, v4
                                        ; implicit-def: $vgpr8
                                        ; implicit-def: $vgpr4
.LBB4_7471:                             ;   in Loop: Header=BB4_6192 Depth=3
	s_andn2_saveexec_b64 s[70:71], s[70:71]
; %bb.7472:                             ;   in Loop: Header=BB4_6192 Depth=3
	v_mov_b32_e32 v9, -1
	v_cmp_gt_i16_sdwa vcc, sext(v4), v9 src0_sel:BYTE_0 src1_sel:DWORD
	v_cndmask_b32_e32 v4, v6, v1, vcc
	v_cmp_eq_u32_e32 vcc, 0, v8
	v_mov_b32_e32 v8, 0x7f800001
	v_cndmask_b32_e32 v9, v8, v4, vcc
; %bb.7473:                             ;   in Loop: Header=BB4_6192 Depth=3
	s_or_b64 exec, exec, s[70:71]
.LBB4_7474:                             ;   in Loop: Header=BB4_6192 Depth=3
	s_or_b64 exec, exec, s[68:69]
.LBB4_7475:                             ;   in Loop: Header=BB4_6192 Depth=3
	s_or_b64 exec, exec, s[30:31]
	v_max_f32_e32 v4, v9, v9
	v_max_f32_e32 v5, v5, v5
	v_min_f32_e32 v5, v5, v4
.LBB4_7476:                             ;   in Loop: Header=BB4_6192 Depth=3
	v_and_b32_sdwa v8, v5, s97 dst_sel:DWORD dst_unused:UNUSED_PAD src0_sel:BYTE_3 src1_sel:DWORD
	v_and_b32_e32 v12, 0x7f800000, v5
	v_mov_b32_e32 v13, v43
	v_and_b32_e32 v42, 0x7fffff, v5
	v_or_b32_e32 v55, 0x7b, v8
	v_cmp_ne_u64_e32 vcc, s[52:53], v[12:13]
	s_and_saveexec_b64 s[30:31], vcc
	s_xor_b64 s[68:69], exec, s[30:31]
	s_cbranch_execz .LBB4_7486
; %bb.7477:                             ;   in Loop: Header=BB4_6192 Depth=3
	v_and_b32_e32 v12, 0x7fffffff, v5
	v_mov_b32_e32 v13, v43
	v_cmp_gt_u64_e32 vcc, s[54:55], v[12:13]
	s_and_saveexec_b64 s[70:71], vcc
	s_cbranch_execz .LBB4_7485
; %bb.7478:                             ;   in Loop: Header=BB4_6192 Depth=3
	v_cmp_ne_u32_e32 vcc, 0, v5
	v_mov_b32_e32 v55, 0
	s_and_saveexec_b64 s[72:73], vcc
	s_cbranch_execz .LBB4_7484
; %bb.7479:                             ;   in Loop: Header=BB4_6192 Depth=3
	v_bfe_u32 v4, v5, 23, 8
	v_cmp_eq_u32_e32 vcc, 0, v4
	v_add_u32_e32 v5, 0xffffff81, v4
	v_cmp_gt_u32_e64 s[30:31], s38, v4
	v_sub_u32_e32 v4, 0x71, v4
	v_mov_b32_e32 v12, 0xffffff82
	v_cndmask_b32_e64 v4, 0, v4, s[30:31]
	v_cndmask_b32_e32 v32, v5, v12, vcc
	v_mov_b32_e32 v5, 0x70
	v_cndmask_b32_e32 v33, v4, v5, vcc
	v_add_u32_e32 v4, 21, v33
	v_or_b32_e32 v9, 0x800000, v42
	v_lshlrev_b64 v[4:5], v4, -1
	v_cndmask_b32_e32 v42, v9, v42, vcc
	v_not_b32_e32 v5, v5
	v_not_b32_e32 v4, v4
	v_add_u32_e32 v9, 20, v33
	v_and_b32_e32 v5, 0, v5
	v_and_b32_e32 v4, v42, v4
	v_lshlrev_b64 v[12:13], v9, 1
	v_cmp_eq_u64_e32 vcc, v[4:5], v[12:13]
	v_lshrrev_b64 v[4:5], v33, v[42:43]
	v_lshrrev_b32_e32 v9, 23, v4
	v_add3_u32 v13, v33, v32, v9
	v_bfe_u32 v9, v4, 21, 1
	v_add_u32_e32 v9, -1, v9
	v_cndmask_b32_e32 v9, 0, v9, vcc
	v_add_u32_e32 v9, v9, v4
	v_and_b32_e32 v9, 0x1fffff, v9
	v_add_co_u32_e32 v4, vcc, v9, v4
	v_add_u32_e32 v12, 14, v13
	v_addc_co_u32_e32 v5, vcc, 0, v5, vcc
	v_cmp_ne_u32_e32 vcc, 0, v12
                                        ; implicit-def: $vgpr9
	s_and_saveexec_b64 s[30:31], vcc
	s_xor_b64 s[30:31], exec, s[30:31]
; %bb.7480:                             ;   in Loop: Header=BB4_6192 Depth=3
	v_add_u32_e32 v9, 15, v13
	v_cmp_lt_u64_e32 vcc, s[56:57], v[4:5]
	v_cndmask_b32_e32 v9, v12, v9, vcc
	v_cndmask_b32_e64 v12, 0, 1, vcc
	v_lshrrev_b64 v[4:5], v12, v[4:5]
; %bb.7481:                             ;   in Loop: Header=BB4_6192 Depth=3
	s_andn2_saveexec_b64 vcc, s[30:31]
; %bb.7482:                             ;   in Loop: Header=BB4_6192 Depth=3
	v_bfe_u32 v9, v4, 23, 1
; %bb.7483:                             ;   in Loop: Header=BB4_6192 Depth=3
	s_or_b64 exec, exec, vcc
	v_lshrrev_b64 v[4:5], 21, v[4:5]
	v_cmp_gt_i32_e32 vcc, 32, v9
	v_cndmask_b32_e32 v5, 0, v5, vcc
	v_cndmask_b32_e32 v4, 3, v4, vcc
	v_cmp_eq_u64_e64 s[30:31], 0, v[4:5]
	v_min_i32_e32 v5, 31, v9
	v_cmp_eq_u32_e32 vcc, 0, v9
	v_lshlrev_b32_e32 v5, 2, v5
	v_and_or_b32 v4, v4, 3, v5
	s_and_b64 vcc, vcc, s[30:31]
	v_cndmask_b32_e64 v4, v4, 0, vcc
	v_or_b32_e32 v55, v4, v8
.LBB4_7484:                             ;   in Loop: Header=BB4_6192 Depth=3
	s_or_b64 exec, exec, s[72:73]
.LBB4_7485:                             ;   in Loop: Header=BB4_6192 Depth=3
	s_or_b64 exec, exec, s[70:71]
                                        ; implicit-def: $vgpr5
.LBB4_7486:                             ;   in Loop: Header=BB4_6192 Depth=3
	s_andn2_saveexec_b64 s[30:31], s[68:69]
; %bb.7487:                             ;   in Loop: Header=BB4_6192 Depth=3
	v_or_b32_sdwa v4, v5, s39 dst_sel:DWORD dst_unused:UNUSED_PAD src0_sel:BYTE_3 src1_sel:DWORD
	v_cmp_eq_u64_e32 vcc, 0, v[42:43]
	v_cndmask_b32_e32 v55, v4, v55, vcc
; %bb.7488:                             ;   in Loop: Header=BB4_6192 Depth=3
	s_or_b64 exec, exec, s[30:31]
	v_lshrrev_b32_e32 v8, 24, v14
	v_lshrrev_b32_e32 v4, 24, v10
	s_and_b64 vcc, exec, s[28:29]
	v_cmp_lt_u32_e64 s[30:31], s43, v14
	s_cbranch_vccnz .LBB4_7506
; %bb.7489:                             ;   in Loop: Header=BB4_6192 Depth=3
	v_mov_b32_e32 v9, 0
	v_mov_b32_e32 v5, 0
	s_and_saveexec_b64 s[68:69], s[30:31]
	s_cbranch_execz .LBB4_7497
; %bb.7490:                             ;   in Loop: Header=BB4_6192 Depth=3
	v_cmp_ne_u32_e32 vcc, s97, v8
	v_bfrev_b32_e32 v5, 1
	s_and_saveexec_b64 s[70:71], vcc
	s_cbranch_execz .LBB4_7496
; %bb.7491:                             ;   in Loop: Header=BB4_6192 Depth=3
	v_and_b32_e32 v5, 0x7c000000, v14
	v_bfe_u32 v12, v14, 24, 2
	v_cmp_ne_u32_e32 vcc, s37, v5
                                        ; implicit-def: $vgpr5
	s_and_saveexec_b64 s[72:73], vcc
	s_xor_b64 s[72:73], exec, s[72:73]
	s_cbranch_execz .LBB4_7493
; %bb.7492:                             ;   in Loop: Header=BB4_6192 Depth=3
	v_ffbh_u32_e32 v13, v12
	v_bfe_u32 v5, v14, 26, 5
	v_min_u32_e32 v13, 32, v13
	v_subrev_u32_e32 v32, 29, v13
	v_sub_u32_e32 v13, 30, v13
	v_cmp_eq_u32_e32 vcc, 0, v5
	v_lshlrev_b64 v[36:37], v32, v[8:9]
	v_cndmask_b32_e32 v5, v5, v13, vcc
	v_bfrev_b32_e32 v13, 28
	v_and_b32_e32 v32, 3, v36
	v_lshl_add_u32 v5, v5, 23, v13
	v_cndmask_b32_e32 v12, v12, v32, vcc
	v_and_or_b32 v5, v14, s96, v5
	v_lshl_or_b32 v5, v12, 21, v5
                                        ; implicit-def: $vgpr12
.LBB4_7493:                             ;   in Loop: Header=BB4_6192 Depth=3
	s_andn2_saveexec_b64 s[72:73], s[72:73]
; %bb.7494:                             ;   in Loop: Header=BB4_6192 Depth=3
	v_cmp_lt_i32_e32 vcc, -1, v14
	v_cndmask_b32_e32 v5, v6, v1, vcc
	v_cmp_eq_u32_e32 vcc, 0, v12
	v_mov_b32_e32 v12, 0x7f800001
	v_cndmask_b32_e32 v5, v12, v5, vcc
; %bb.7495:                             ;   in Loop: Header=BB4_6192 Depth=3
	s_or_b64 exec, exec, s[72:73]
.LBB4_7496:                             ;   in Loop: Header=BB4_6192 Depth=3
	s_or_b64 exec, exec, s[70:71]
.LBB4_7497:                             ;   in Loop: Header=BB4_6192 Depth=3
	s_or_b64 exec, exec, s[68:69]
	v_cmp_lt_u32_e32 vcc, s43, v10
	s_and_saveexec_b64 s[68:69], vcc
	s_cbranch_execz .LBB4_7505
; %bb.7498:                             ;   in Loop: Header=BB4_6192 Depth=3
	v_cmp_ne_u32_e32 vcc, s97, v4
	v_bfrev_b32_e32 v9, 1
	s_and_saveexec_b64 s[70:71], vcc
	s_cbranch_execz .LBB4_7504
; %bb.7499:                             ;   in Loop: Header=BB4_6192 Depth=3
	v_and_b32_e32 v9, 0x7c000000, v10
	v_bfe_u32 v12, v10, 24, 2
	v_cmp_ne_u32_e32 vcc, s37, v9
                                        ; implicit-def: $vgpr9
	s_and_saveexec_b64 s[72:73], vcc
	s_xor_b64 s[72:73], exec, s[72:73]
	s_cbranch_execz .LBB4_7501
; %bb.7500:                             ;   in Loop: Header=BB4_6192 Depth=3
	v_ffbh_u32_e32 v13, v12
	v_bfe_u32 v9, v10, 26, 5
	v_min_u32_e32 v13, 32, v13
	v_subrev_u32_e32 v32, 29, v13
	v_sub_u32_e32 v13, 30, v13
	v_cmp_eq_u32_e32 vcc, 0, v9
	v_lshlrev_b64 v[36:37], v32, v[4:5]
	v_cndmask_b32_e32 v9, v9, v13, vcc
	v_bfrev_b32_e32 v13, 28
	v_and_b32_e32 v32, 3, v36
	v_lshl_add_u32 v9, v9, 23, v13
	v_cndmask_b32_e32 v12, v12, v32, vcc
	v_and_or_b32 v9, v10, s96, v9
	v_lshl_or_b32 v9, v12, 21, v9
                                        ; implicit-def: $vgpr12
.LBB4_7501:                             ;   in Loop: Header=BB4_6192 Depth=3
	s_andn2_saveexec_b64 s[72:73], s[72:73]
; %bb.7502:                             ;   in Loop: Header=BB4_6192 Depth=3
	v_cmp_lt_i32_e32 vcc, -1, v10
	v_cndmask_b32_e32 v9, v6, v1, vcc
	v_cmp_eq_u32_e32 vcc, 0, v12
	v_mov_b32_e32 v12, 0x7f800001
	v_cndmask_b32_e32 v9, v12, v9, vcc
; %bb.7503:                             ;   in Loop: Header=BB4_6192 Depth=3
	s_or_b64 exec, exec, s[72:73]
.LBB4_7504:                             ;   in Loop: Header=BB4_6192 Depth=3
	s_or_b64 exec, exec, s[70:71]
.LBB4_7505:                             ;   in Loop: Header=BB4_6192 Depth=3
	s_or_b64 exec, exec, s[68:69]
	v_max_f32_e32 v9, v9, v9
	v_max_f32_e32 v5, v5, v5
	;; [unrolled: 1-line block ×3, first 2 shown]
	s_branch .LBB4_7524
.LBB4_7506:                             ;   in Loop: Header=BB4_6192 Depth=3
                                        ; implicit-def: $vgpr5
	s_cbranch_execz .LBB4_7524
; %bb.7507:                             ;   in Loop: Header=BB4_6192 Depth=3
	v_mov_b32_e32 v9, 0
	v_mov_b32_e32 v5, 0
	s_and_saveexec_b64 s[68:69], s[30:31]
	s_cbranch_execz .LBB4_7515
; %bb.7508:                             ;   in Loop: Header=BB4_6192 Depth=3
	v_cmp_ne_u32_e32 vcc, s97, v8
	v_bfrev_b32_e32 v5, 1
	s_and_saveexec_b64 s[30:31], vcc
	s_cbranch_execz .LBB4_7514
; %bb.7509:                             ;   in Loop: Header=BB4_6192 Depth=3
	v_and_b32_e32 v5, 0x7c000000, v14
	v_bfe_u32 v12, v14, 24, 2
	v_cmp_ne_u32_e32 vcc, s37, v5
                                        ; implicit-def: $vgpr5
	s_and_saveexec_b64 s[70:71], vcc
	s_xor_b64 s[70:71], exec, s[70:71]
	s_cbranch_execz .LBB4_7511
; %bb.7510:                             ;   in Loop: Header=BB4_6192 Depth=3
	v_ffbh_u32_e32 v13, v12
	v_min_u32_e32 v13, 32, v13
	v_subrev_u32_e32 v32, 29, v13
	v_bfe_u32 v5, v14, 26, 5
	v_lshlrev_b64 v[36:37], v32, v[8:9]
	v_sub_u32_e32 v8, 30, v13
	v_and_b32_e32 v13, 3, v36
	v_cmp_eq_u32_e32 vcc, 0, v5
	v_cndmask_b32_e32 v5, v5, v8, vcc
	v_cndmask_b32_e32 v8, v12, v13, vcc
	v_bfrev_b32_e32 v12, 28
	v_lshl_add_u32 v5, v5, 23, v12
	v_and_or_b32 v5, v14, s96, v5
	v_lshl_or_b32 v5, v8, 21, v5
                                        ; implicit-def: $vgpr12
.LBB4_7511:                             ;   in Loop: Header=BB4_6192 Depth=3
	s_andn2_saveexec_b64 s[70:71], s[70:71]
; %bb.7512:                             ;   in Loop: Header=BB4_6192 Depth=3
	v_cmp_lt_i32_e32 vcc, -1, v14
	v_cndmask_b32_e32 v5, v6, v1, vcc
	v_cmp_eq_u32_e32 vcc, 0, v12
	v_mov_b32_e32 v8, 0x7f800001
	v_cndmask_b32_e32 v5, v8, v5, vcc
; %bb.7513:                             ;   in Loop: Header=BB4_6192 Depth=3
	s_or_b64 exec, exec, s[70:71]
.LBB4_7514:                             ;   in Loop: Header=BB4_6192 Depth=3
	s_or_b64 exec, exec, s[30:31]
.LBB4_7515:                             ;   in Loop: Header=BB4_6192 Depth=3
	s_or_b64 exec, exec, s[68:69]
	v_cmp_lt_u32_e32 vcc, s43, v10
	s_and_saveexec_b64 s[30:31], vcc
	s_cbranch_execz .LBB4_7523
; %bb.7516:                             ;   in Loop: Header=BB4_6192 Depth=3
	v_cmp_ne_u32_e32 vcc, s97, v4
	v_bfrev_b32_e32 v9, 1
	s_and_saveexec_b64 s[68:69], vcc
	s_cbranch_execz .LBB4_7522
; %bb.7517:                             ;   in Loop: Header=BB4_6192 Depth=3
	v_and_b32_e32 v9, 0x7c000000, v10
	v_bfe_u32 v8, v10, 24, 2
	v_cmp_ne_u32_e32 vcc, s37, v9
                                        ; implicit-def: $vgpr9
	s_and_saveexec_b64 s[70:71], vcc
	s_xor_b64 s[70:71], exec, s[70:71]
	s_cbranch_execz .LBB4_7519
; %bb.7518:                             ;   in Loop: Header=BB4_6192 Depth=3
	v_ffbh_u32_e32 v12, v8
	v_min_u32_e32 v32, 32, v12
	v_bfe_u32 v9, v10, 26, 5
	v_subrev_u32_e32 v12, 29, v32
	v_lshlrev_b64 v[12:13], v12, v[4:5]
	v_sub_u32_e32 v4, 30, v32
	v_cmp_eq_u32_e32 vcc, 0, v9
	v_cndmask_b32_e32 v4, v9, v4, vcc
	v_bfrev_b32_e32 v9, 28
	v_and_b32_e32 v12, 3, v12
	v_lshl_add_u32 v4, v4, 23, v9
	v_cndmask_b32_e32 v8, v8, v12, vcc
	v_and_or_b32 v4, v10, s96, v4
	v_lshl_or_b32 v9, v8, 21, v4
                                        ; implicit-def: $vgpr8
.LBB4_7519:                             ;   in Loop: Header=BB4_6192 Depth=3
	s_andn2_saveexec_b64 s[70:71], s[70:71]
; %bb.7520:                             ;   in Loop: Header=BB4_6192 Depth=3
	v_cmp_lt_i32_e32 vcc, -1, v10
	v_cndmask_b32_e32 v4, v6, v1, vcc
	v_cmp_eq_u32_e32 vcc, 0, v8
	v_mov_b32_e32 v8, 0x7f800001
	v_cndmask_b32_e32 v9, v8, v4, vcc
; %bb.7521:                             ;   in Loop: Header=BB4_6192 Depth=3
	s_or_b64 exec, exec, s[70:71]
.LBB4_7522:                             ;   in Loop: Header=BB4_6192 Depth=3
	s_or_b64 exec, exec, s[68:69]
.LBB4_7523:                             ;   in Loop: Header=BB4_6192 Depth=3
	s_or_b64 exec, exec, s[30:31]
	v_max_f32_e32 v4, v9, v9
	v_max_f32_e32 v5, v5, v5
	v_min_f32_e32 v5, v5, v4
.LBB4_7524:                             ;   in Loop: Header=BB4_6192 Depth=3
	v_and_b32_sdwa v8, v5, s97 dst_sel:DWORD dst_unused:UNUSED_PAD src0_sel:BYTE_3 src1_sel:DWORD
	v_and_b32_e32 v12, 0x7f800000, v5
	v_mov_b32_e32 v13, v43
	v_and_b32_e32 v42, 0x7fffff, v5
	v_or_b32_e32 v36, 0x7b, v8
	v_cmp_ne_u64_e32 vcc, s[52:53], v[12:13]
	s_and_saveexec_b64 s[30:31], vcc
	s_xor_b64 s[68:69], exec, s[30:31]
	s_cbranch_execz .LBB4_7534
; %bb.7525:                             ;   in Loop: Header=BB4_6192 Depth=3
	v_and_b32_e32 v12, 0x7fffffff, v5
	v_mov_b32_e32 v13, v43
	v_cmp_gt_u64_e32 vcc, s[54:55], v[12:13]
	s_and_saveexec_b64 s[70:71], vcc
	s_cbranch_execz .LBB4_7533
; %bb.7526:                             ;   in Loop: Header=BB4_6192 Depth=3
	v_cmp_ne_u32_e32 vcc, 0, v5
	v_mov_b32_e32 v36, 0
	s_and_saveexec_b64 s[72:73], vcc
	s_cbranch_execz .LBB4_7532
; %bb.7527:                             ;   in Loop: Header=BB4_6192 Depth=3
	v_bfe_u32 v4, v5, 23, 8
	v_cmp_eq_u32_e32 vcc, 0, v4
	v_add_u32_e32 v5, 0xffffff81, v4
	v_cmp_gt_u32_e64 s[30:31], s38, v4
	v_sub_u32_e32 v4, 0x71, v4
	v_mov_b32_e32 v12, 0xffffff82
	v_cndmask_b32_e64 v4, 0, v4, s[30:31]
	v_cndmask_b32_e32 v32, v5, v12, vcc
	v_mov_b32_e32 v5, 0x70
	v_cndmask_b32_e32 v33, v4, v5, vcc
	v_add_u32_e32 v4, 21, v33
	v_or_b32_e32 v9, 0x800000, v42
	v_lshlrev_b64 v[4:5], v4, -1
	v_cndmask_b32_e32 v42, v9, v42, vcc
	v_not_b32_e32 v5, v5
	v_not_b32_e32 v4, v4
	v_add_u32_e32 v9, 20, v33
	v_and_b32_e32 v5, 0, v5
	v_and_b32_e32 v4, v42, v4
	v_lshlrev_b64 v[12:13], v9, 1
	v_cmp_eq_u64_e32 vcc, v[4:5], v[12:13]
	v_lshrrev_b64 v[4:5], v33, v[42:43]
	v_lshrrev_b32_e32 v9, 23, v4
	v_add3_u32 v13, v33, v32, v9
	v_bfe_u32 v9, v4, 21, 1
	v_add_u32_e32 v9, -1, v9
	v_cndmask_b32_e32 v9, 0, v9, vcc
	v_add_u32_e32 v9, v9, v4
	v_and_b32_e32 v9, 0x1fffff, v9
	v_add_co_u32_e32 v4, vcc, v9, v4
	v_add_u32_e32 v12, 14, v13
	v_addc_co_u32_e32 v5, vcc, 0, v5, vcc
	v_cmp_ne_u32_e32 vcc, 0, v12
                                        ; implicit-def: $vgpr9
	s_and_saveexec_b64 s[30:31], vcc
	s_xor_b64 s[30:31], exec, s[30:31]
; %bb.7528:                             ;   in Loop: Header=BB4_6192 Depth=3
	v_add_u32_e32 v9, 15, v13
	v_cmp_lt_u64_e32 vcc, s[56:57], v[4:5]
	v_cndmask_b32_e32 v9, v12, v9, vcc
	v_cndmask_b32_e64 v12, 0, 1, vcc
	v_lshrrev_b64 v[4:5], v12, v[4:5]
; %bb.7529:                             ;   in Loop: Header=BB4_6192 Depth=3
	s_andn2_saveexec_b64 vcc, s[30:31]
; %bb.7530:                             ;   in Loop: Header=BB4_6192 Depth=3
	v_bfe_u32 v9, v4, 23, 1
; %bb.7531:                             ;   in Loop: Header=BB4_6192 Depth=3
	s_or_b64 exec, exec, vcc
	v_lshrrev_b64 v[4:5], 21, v[4:5]
	v_cmp_gt_i32_e32 vcc, 32, v9
	v_cndmask_b32_e32 v5, 0, v5, vcc
	v_cndmask_b32_e32 v4, 3, v4, vcc
	v_cmp_eq_u64_e64 s[30:31], 0, v[4:5]
	v_min_i32_e32 v5, 31, v9
	v_cmp_eq_u32_e32 vcc, 0, v9
	v_lshlrev_b32_e32 v5, 2, v5
	v_and_or_b32 v4, v4, 3, v5
	s_and_b64 vcc, vcc, s[30:31]
	v_cndmask_b32_e64 v4, v4, 0, vcc
	v_or_b32_e32 v36, v4, v8
.LBB4_7532:                             ;   in Loop: Header=BB4_6192 Depth=3
	s_or_b64 exec, exec, s[72:73]
.LBB4_7533:                             ;   in Loop: Header=BB4_6192 Depth=3
	s_or_b64 exec, exec, s[70:71]
                                        ; implicit-def: $vgpr5
.LBB4_7534:                             ;   in Loop: Header=BB4_6192 Depth=3
	s_andn2_saveexec_b64 s[30:31], s[68:69]
; %bb.7535:                             ;   in Loop: Header=BB4_6192 Depth=3
	v_or_b32_sdwa v4, v5, s39 dst_sel:DWORD dst_unused:UNUSED_PAD src0_sel:BYTE_3 src1_sel:DWORD
	v_cmp_eq_u64_e32 vcc, 0, v[42:43]
	v_cndmask_b32_e32 v36, v4, v36, vcc
; %bb.7536:                             ;   in Loop: Header=BB4_6192 Depth=3
	s_or_b64 exec, exec, s[30:31]
	v_mov_b32_e32 v42, v15
	v_mov_b32_e32 v4, v11
	;; [unrolled: 1-line block ×3, first 2 shown]
	s_and_b64 vcc, exec, s[28:29]
	v_cmp_ne_u16_sdwa s[30:31], v15, v43 src0_sel:BYTE_0 src1_sel:DWORD
	s_cbranch_vccnz .LBB4_7554
; %bb.7537:                             ;   in Loop: Header=BB4_6192 Depth=3
	v_mov_b32_e32 v9, 0
	v_mov_b32_e32 v8, 0
	s_and_saveexec_b64 s[68:69], s[30:31]
	s_cbranch_execz .LBB4_7545
; %bb.7538:                             ;   in Loop: Header=BB4_6192 Depth=3
	v_cmp_ne_u16_sdwa vcc, v15, s97 src0_sel:BYTE_0 src1_sel:DWORD
	v_bfrev_b32_e32 v8, 1
	s_and_saveexec_b64 s[70:71], vcc
	s_cbranch_execz .LBB4_7544
; %bb.7539:                             ;   in Loop: Header=BB4_6192 Depth=3
	v_and_b32_e32 v8, 0x7c, v15
	v_and_b32_e32 v12, 3, v15
	v_cmp_ne_u32_e32 vcc, s95, v8
                                        ; implicit-def: $vgpr8
	s_and_saveexec_b64 s[72:73], vcc
	s_xor_b64 s[72:73], exec, s[72:73]
	s_cbranch_execz .LBB4_7541
; %bb.7540:                             ;   in Loop: Header=BB4_6192 Depth=3
	v_ffbh_u32_e32 v13, v12
	v_min_u32_e32 v13, 32, v13
	v_subrev_u32_e32 v32, 29, v13
	v_bfe_u32 v8, v15, 2, 5
	v_lshlrev_b64 v[50:51], v32, v[42:43]
	v_sub_u32_e32 v13, 30, v13
	v_and_b32_e32 v32, 3, v50
	v_cmp_eq_u32_e32 vcc, 0, v8
	v_cndmask_b32_e32 v8, v8, v13, vcc
	v_cndmask_b32_e32 v12, v12, v32, vcc
	v_bfrev_b32_e32 v32, 28
	v_lshlrev_b32_e32 v13, 24, v15
	v_lshl_add_u32 v8, v8, 23, v32
	v_and_or_b32 v8, v13, s96, v8
	v_lshl_or_b32 v8, v12, 21, v8
                                        ; implicit-def: $vgpr12
.LBB4_7541:                             ;   in Loop: Header=BB4_6192 Depth=3
	s_andn2_saveexec_b64 s[72:73], s[72:73]
; %bb.7542:                             ;   in Loop: Header=BB4_6192 Depth=3
	v_mov_b32_e32 v8, -1
	v_cmp_gt_i16_sdwa vcc, sext(v15), v8 src0_sel:BYTE_0 src1_sel:DWORD
	v_cndmask_b32_e32 v8, v6, v1, vcc
	v_cmp_eq_u32_e32 vcc, 0, v12
	v_mov_b32_e32 v12, 0x7f800001
	v_cndmask_b32_e32 v8, v12, v8, vcc
; %bb.7543:                             ;   in Loop: Header=BB4_6192 Depth=3
	s_or_b64 exec, exec, s[72:73]
.LBB4_7544:                             ;   in Loop: Header=BB4_6192 Depth=3
	s_or_b64 exec, exec, s[70:71]
.LBB4_7545:                             ;   in Loop: Header=BB4_6192 Depth=3
	s_or_b64 exec, exec, s[68:69]
	v_cmp_ne_u16_sdwa vcc, v11, v43 src0_sel:BYTE_0 src1_sel:DWORD
	s_and_saveexec_b64 s[68:69], vcc
	s_cbranch_execz .LBB4_7553
; %bb.7546:                             ;   in Loop: Header=BB4_6192 Depth=3
	v_cmp_ne_u16_sdwa vcc, v11, s97 src0_sel:BYTE_0 src1_sel:DWORD
	v_bfrev_b32_e32 v9, 1
	s_and_saveexec_b64 s[70:71], vcc
	s_cbranch_execz .LBB4_7552
; %bb.7547:                             ;   in Loop: Header=BB4_6192 Depth=3
	v_and_b32_e32 v9, 0x7c, v11
	v_and_b32_e32 v12, 3, v11
	v_cmp_ne_u32_e32 vcc, s95, v9
                                        ; implicit-def: $vgpr9
	s_and_saveexec_b64 s[72:73], vcc
	s_xor_b64 s[72:73], exec, s[72:73]
	s_cbranch_execz .LBB4_7549
; %bb.7548:                             ;   in Loop: Header=BB4_6192 Depth=3
	v_ffbh_u32_e32 v13, v12
	v_min_u32_e32 v13, 32, v13
	v_subrev_u32_e32 v32, 29, v13
	v_bfe_u32 v9, v11, 2, 5
	v_lshlrev_b64 v[50:51], v32, v[4:5]
	v_sub_u32_e32 v13, 30, v13
	v_and_b32_e32 v32, 3, v50
	v_cmp_eq_u32_e32 vcc, 0, v9
	v_cndmask_b32_e32 v9, v9, v13, vcc
	v_cndmask_b32_e32 v12, v12, v32, vcc
	v_bfrev_b32_e32 v32, 28
	v_lshlrev_b32_e32 v13, 24, v11
	v_lshl_add_u32 v9, v9, 23, v32
	v_and_or_b32 v9, v13, s96, v9
	v_lshl_or_b32 v9, v12, 21, v9
                                        ; implicit-def: $vgpr12
.LBB4_7549:                             ;   in Loop: Header=BB4_6192 Depth=3
	s_andn2_saveexec_b64 s[72:73], s[72:73]
; %bb.7550:                             ;   in Loop: Header=BB4_6192 Depth=3
	v_mov_b32_e32 v9, -1
	v_cmp_gt_i16_sdwa vcc, sext(v11), v9 src0_sel:BYTE_0 src1_sel:DWORD
	v_cndmask_b32_e32 v9, v6, v1, vcc
	v_cmp_eq_u32_e32 vcc, 0, v12
	v_mov_b32_e32 v12, 0x7f800001
	v_cndmask_b32_e32 v9, v12, v9, vcc
; %bb.7551:                             ;   in Loop: Header=BB4_6192 Depth=3
	s_or_b64 exec, exec, s[72:73]
.LBB4_7552:                             ;   in Loop: Header=BB4_6192 Depth=3
	s_or_b64 exec, exec, s[70:71]
.LBB4_7553:                             ;   in Loop: Header=BB4_6192 Depth=3
	s_or_b64 exec, exec, s[68:69]
	v_max_f32_e32 v9, v9, v9
	v_max_f32_e32 v8, v8, v8
	;; [unrolled: 1-line block ×3, first 2 shown]
	s_branch .LBB4_7572
.LBB4_7554:                             ;   in Loop: Header=BB4_6192 Depth=3
                                        ; implicit-def: $vgpr12
	s_cbranch_execz .LBB4_7572
; %bb.7555:                             ;   in Loop: Header=BB4_6192 Depth=3
	v_mov_b32_e32 v9, 0
	v_mov_b32_e32 v8, 0
	s_and_saveexec_b64 s[68:69], s[30:31]
	s_cbranch_execz .LBB4_7563
; %bb.7556:                             ;   in Loop: Header=BB4_6192 Depth=3
	v_cmp_ne_u16_sdwa vcc, v15, s97 src0_sel:BYTE_0 src1_sel:DWORD
	v_bfrev_b32_e32 v8, 1
	s_and_saveexec_b64 s[30:31], vcc
	s_cbranch_execz .LBB4_7562
; %bb.7557:                             ;   in Loop: Header=BB4_6192 Depth=3
	v_and_b32_e32 v8, 0x7c, v15
	v_and_b32_e32 v12, 3, v15
	v_cmp_ne_u32_e32 vcc, s95, v8
                                        ; implicit-def: $vgpr8
	s_and_saveexec_b64 s[70:71], vcc
	s_xor_b64 s[70:71], exec, s[70:71]
	s_cbranch_execz .LBB4_7559
; %bb.7558:                             ;   in Loop: Header=BB4_6192 Depth=3
	v_ffbh_u32_e32 v13, v12
	v_min_u32_e32 v13, 32, v13
	v_subrev_u32_e32 v32, 29, v13
	v_bfe_u32 v8, v15, 2, 5
	v_lshlrev_b64 v[50:51], v32, v[42:43]
	v_sub_u32_e32 v13, 30, v13
	v_and_b32_e32 v32, 3, v50
	v_cmp_eq_u32_e32 vcc, 0, v8
	v_cndmask_b32_e32 v8, v8, v13, vcc
	v_cndmask_b32_e32 v12, v12, v32, vcc
	v_bfrev_b32_e32 v32, 28
	v_lshlrev_b32_e32 v13, 24, v15
	v_lshl_add_u32 v8, v8, 23, v32
	v_and_or_b32 v8, v13, s96, v8
	v_lshl_or_b32 v8, v12, 21, v8
                                        ; implicit-def: $vgpr12
.LBB4_7559:                             ;   in Loop: Header=BB4_6192 Depth=3
	s_andn2_saveexec_b64 s[70:71], s[70:71]
; %bb.7560:                             ;   in Loop: Header=BB4_6192 Depth=3
	v_mov_b32_e32 v8, -1
	v_cmp_gt_i16_sdwa vcc, sext(v15), v8 src0_sel:BYTE_0 src1_sel:DWORD
	v_cndmask_b32_e32 v8, v6, v1, vcc
	v_cmp_eq_u32_e32 vcc, 0, v12
	v_mov_b32_e32 v12, 0x7f800001
	v_cndmask_b32_e32 v8, v12, v8, vcc
; %bb.7561:                             ;   in Loop: Header=BB4_6192 Depth=3
	s_or_b64 exec, exec, s[70:71]
.LBB4_7562:                             ;   in Loop: Header=BB4_6192 Depth=3
	s_or_b64 exec, exec, s[30:31]
.LBB4_7563:                             ;   in Loop: Header=BB4_6192 Depth=3
	s_or_b64 exec, exec, s[68:69]
	v_cmp_ne_u16_sdwa vcc, v11, v43 src0_sel:BYTE_0 src1_sel:DWORD
	s_and_saveexec_b64 s[30:31], vcc
	s_cbranch_execz .LBB4_7571
; %bb.7564:                             ;   in Loop: Header=BB4_6192 Depth=3
	v_cmp_ne_u16_sdwa vcc, v11, s97 src0_sel:BYTE_0 src1_sel:DWORD
	v_bfrev_b32_e32 v9, 1
	s_and_saveexec_b64 s[68:69], vcc
	s_cbranch_execz .LBB4_7570
; %bb.7565:                             ;   in Loop: Header=BB4_6192 Depth=3
	v_and_b32_e32 v9, 0x7c, v11
	v_and_b32_e32 v12, 3, v11
	v_cmp_ne_u32_e32 vcc, s95, v9
                                        ; implicit-def: $vgpr9
	s_and_saveexec_b64 s[70:71], vcc
	s_xor_b64 s[70:71], exec, s[70:71]
	s_cbranch_execz .LBB4_7567
; %bb.7566:                             ;   in Loop: Header=BB4_6192 Depth=3
	v_ffbh_u32_e32 v13, v12
	v_min_u32_e32 v13, 32, v13
	v_subrev_u32_e32 v32, 29, v13
	v_bfe_u32 v9, v11, 2, 5
	v_lshlrev_b64 v[50:51], v32, v[4:5]
	v_sub_u32_e32 v5, 30, v13
	v_and_b32_e32 v13, 3, v50
	v_cmp_eq_u32_e32 vcc, 0, v9
	v_cndmask_b32_e32 v5, v9, v5, vcc
	v_cndmask_b32_e32 v9, v12, v13, vcc
	v_bfrev_b32_e32 v13, 28
	v_lshlrev_b32_e32 v12, 24, v11
	v_lshl_add_u32 v5, v5, 23, v13
	v_and_or_b32 v5, v12, s96, v5
	v_lshl_or_b32 v9, v9, 21, v5
                                        ; implicit-def: $vgpr12
.LBB4_7567:                             ;   in Loop: Header=BB4_6192 Depth=3
	s_andn2_saveexec_b64 s[70:71], s[70:71]
; %bb.7568:                             ;   in Loop: Header=BB4_6192 Depth=3
	v_mov_b32_e32 v5, -1
	v_cmp_gt_i16_sdwa vcc, sext(v11), v5 src0_sel:BYTE_0 src1_sel:DWORD
	v_cndmask_b32_e32 v5, v6, v1, vcc
	v_cmp_eq_u32_e32 vcc, 0, v12
	v_mov_b32_e32 v9, 0x7f800001
	v_cndmask_b32_e32 v9, v9, v5, vcc
; %bb.7569:                             ;   in Loop: Header=BB4_6192 Depth=3
	s_or_b64 exec, exec, s[70:71]
.LBB4_7570:                             ;   in Loop: Header=BB4_6192 Depth=3
	s_or_b64 exec, exec, s[68:69]
.LBB4_7571:                             ;   in Loop: Header=BB4_6192 Depth=3
	s_or_b64 exec, exec, s[30:31]
	v_max_f32_e32 v5, v9, v9
	v_max_f32_e32 v8, v8, v8
	v_min_f32_e32 v12, v8, v5
.LBB4_7572:                             ;   in Loop: Header=BB4_6192 Depth=3
	v_and_b32_sdwa v5, v12, s97 dst_sel:DWORD dst_unused:UNUSED_PAD src0_sel:BYTE_3 src1_sel:DWORD
	v_and_b32_e32 v50, 0x7f800000, v12
	v_mov_b32_e32 v51, v43
	v_and_b32_e32 v8, 0x7fffff, v12
	v_mov_b32_e32 v9, v43
	v_or_b32_e32 v37, 0x7b, v5
	v_cmp_ne_u64_e32 vcc, s[52:53], v[50:51]
	s_and_saveexec_b64 s[30:31], vcc
	s_xor_b64 s[68:69], exec, s[30:31]
	s_cbranch_execz .LBB4_7582
; %bb.7573:                             ;   in Loop: Header=BB4_6192 Depth=3
	v_and_b32_e32 v50, 0x7fffffff, v12
	v_mov_b32_e32 v51, v43
	v_cmp_gt_u64_e32 vcc, s[54:55], v[50:51]
	s_and_saveexec_b64 s[70:71], vcc
	s_cbranch_execz .LBB4_7581
; %bb.7574:                             ;   in Loop: Header=BB4_6192 Depth=3
	v_cmp_ne_u32_e32 vcc, 0, v12
	v_mov_b32_e32 v37, 0
	s_and_saveexec_b64 s[72:73], vcc
	s_cbranch_execz .LBB4_7580
; %bb.7575:                             ;   in Loop: Header=BB4_6192 Depth=3
	v_bfe_u32 v12, v12, 23, 8
	v_cmp_eq_u32_e32 vcc, 0, v12
	v_add_u32_e32 v13, 0xffffff81, v12
	v_cmp_gt_u32_e64 s[30:31], s38, v12
	v_sub_u32_e32 v12, 0x71, v12
	v_mov_b32_e32 v33, 0xffffff82
	v_cndmask_b32_e64 v12, 0, v12, s[30:31]
	v_cndmask_b32_e32 v33, v13, v33, vcc
	v_mov_b32_e32 v13, 0x70
	v_cndmask_b32_e32 v37, v12, v13, vcc
	v_add_u32_e32 v12, 21, v37
	v_or_b32_e32 v32, 0x800000, v8
	v_lshlrev_b64 v[12:13], v12, -1
	v_cndmask_b32_e32 v8, v32, v8, vcc
	v_not_b32_e32 v13, v13
	v_not_b32_e32 v12, v12
	v_add_u32_e32 v32, 20, v37
	v_and_b32_e32 v13, 0, v13
	v_and_b32_e32 v12, v8, v12
	v_lshlrev_b64 v[50:51], v32, 1
	v_lshrrev_b64 v[8:9], v37, v[8:9]
	v_cmp_eq_u64_e32 vcc, v[12:13], v[50:51]
	v_lshrrev_b32_e32 v12, 23, v8
	v_add3_u32 v37, v37, v33, v12
	v_bfe_u32 v12, v8, 21, 1
	v_add_u32_e32 v12, -1, v12
	v_cndmask_b32_e32 v12, 0, v12, vcc
	v_add_u32_e32 v12, v12, v8
	v_and_b32_e32 v12, 0x1fffff, v12
	v_add_co_u32_e32 v8, vcc, v12, v8
	v_add_u32_e32 v13, 14, v37
	v_addc_co_u32_e32 v9, vcc, 0, v9, vcc
	v_cmp_ne_u32_e32 vcc, 0, v13
                                        ; implicit-def: $vgpr12
	s_and_saveexec_b64 s[30:31], vcc
	s_xor_b64 s[30:31], exec, s[30:31]
; %bb.7576:                             ;   in Loop: Header=BB4_6192 Depth=3
	v_add_u32_e32 v12, 15, v37
	v_cmp_lt_u64_e32 vcc, s[56:57], v[8:9]
	v_cndmask_b32_e32 v12, v13, v12, vcc
	v_cndmask_b32_e64 v13, 0, 1, vcc
	v_lshrrev_b64 v[8:9], v13, v[8:9]
; %bb.7577:                             ;   in Loop: Header=BB4_6192 Depth=3
	s_andn2_saveexec_b64 vcc, s[30:31]
; %bb.7578:                             ;   in Loop: Header=BB4_6192 Depth=3
	v_bfe_u32 v12, v8, 23, 1
; %bb.7579:                             ;   in Loop: Header=BB4_6192 Depth=3
	s_or_b64 exec, exec, vcc
	v_lshrrev_b64 v[8:9], 21, v[8:9]
	v_cmp_gt_i32_e32 vcc, 32, v12
	v_cndmask_b32_e32 v9, 0, v9, vcc
	v_cndmask_b32_e32 v8, 3, v8, vcc
	v_cmp_eq_u64_e64 s[30:31], 0, v[8:9]
	v_min_i32_e32 v9, 31, v12
	v_cmp_eq_u32_e32 vcc, 0, v12
	v_lshlrev_b32_e32 v9, 2, v9
	v_and_or_b32 v8, v8, 3, v9
	s_and_b64 vcc, vcc, s[30:31]
	v_cndmask_b32_e64 v8, v8, 0, vcc
	v_or_b32_e32 v37, v8, v5
.LBB4_7580:                             ;   in Loop: Header=BB4_6192 Depth=3
	s_or_b64 exec, exec, s[72:73]
.LBB4_7581:                             ;   in Loop: Header=BB4_6192 Depth=3
	s_or_b64 exec, exec, s[70:71]
                                        ; implicit-def: $vgpr12
                                        ; implicit-def: $vgpr8_vgpr9
.LBB4_7582:                             ;   in Loop: Header=BB4_6192 Depth=3
	s_andn2_saveexec_b64 s[30:31], s[68:69]
; %bb.7583:                             ;   in Loop: Header=BB4_6192 Depth=3
	v_or_b32_sdwa v5, v12, s39 dst_sel:DWORD dst_unused:UNUSED_PAD src0_sel:BYTE_3 src1_sel:DWORD
	v_cmp_eq_u64_e32 vcc, 0, v[8:9]
	v_cndmask_b32_e32 v37, v5, v37, vcc
; %bb.7584:                             ;   in Loop: Header=BB4_6192 Depth=3
	s_or_b64 exec, exec, s[30:31]
	v_lshrrev_b16_e32 v12, 8, v42
	v_lshrrev_b16_e32 v8, 8, v4
	s_and_b64 vcc, exec, s[28:29]
	v_cmp_ne_u16_e64 s[30:31], 0, v12
	s_cbranch_vccnz .LBB4_7602
; %bb.7585:                             ;   in Loop: Header=BB4_6192 Depth=3
	v_mov_b32_e32 v9, 0
	v_mov_b32_e32 v5, 0
	s_and_saveexec_b64 s[68:69], s[30:31]
	s_cbranch_execz .LBB4_7593
; %bb.7586:                             ;   in Loop: Header=BB4_6192 Depth=3
	v_cmp_ne_u16_e32 vcc, s97, v12
	v_bfrev_b32_e32 v5, 1
	s_and_saveexec_b64 s[70:71], vcc
	s_cbranch_execz .LBB4_7592
; %bb.7587:                             ;   in Loop: Header=BB4_6192 Depth=3
	v_and_b32_e32 v5, 0x7c, v12
	v_and_b32_e32 v54, 3, v12
	v_cmp_ne_u32_e32 vcc, s95, v5
                                        ; implicit-def: $vgpr5
	s_and_saveexec_b64 s[72:73], vcc
	s_xor_b64 s[72:73], exec, s[72:73]
	s_cbranch_execz .LBB4_7589
; %bb.7588:                             ;   in Loop: Header=BB4_6192 Depth=3
	v_ffbh_u32_e32 v32, v54
	v_min_u32_e32 v32, 32, v32
	v_mov_b32_e32 v13, v43
	v_bfe_u32 v5, v12, 2, 5
	v_subrev_u32_e32 v33, 29, v32
	v_lshlrev_b64 v[50:51], v33, v[12:13]
	v_sub_u32_e32 v13, 30, v32
	v_cmp_eq_u32_e32 vcc, 0, v5
	v_and_b32_e32 v32, 3, v50
	v_cndmask_b32_e32 v5, v5, v13, vcc
	v_bfrev_b32_e32 v33, 28
	v_cndmask_b32_e32 v13, v54, v32, vcc
	v_lshlrev_b32_e32 v32, 16, v42
	v_lshl_add_u32 v5, v5, 23, v33
	v_and_or_b32 v5, v32, s96, v5
	v_lshl_or_b32 v5, v13, 21, v5
                                        ; implicit-def: $vgpr54
.LBB4_7589:                             ;   in Loop: Header=BB4_6192 Depth=3
	s_andn2_saveexec_b64 s[72:73], s[72:73]
; %bb.7590:                             ;   in Loop: Header=BB4_6192 Depth=3
	v_cmp_lt_i16_e32 vcc, -1, v42
	v_cndmask_b32_e32 v5, v6, v1, vcc
	v_cmp_eq_u32_e32 vcc, 0, v54
	v_mov_b32_e32 v13, 0x7f800001
	v_cndmask_b32_e32 v5, v13, v5, vcc
; %bb.7591:                             ;   in Loop: Header=BB4_6192 Depth=3
	s_or_b64 exec, exec, s[72:73]
.LBB4_7592:                             ;   in Loop: Header=BB4_6192 Depth=3
	s_or_b64 exec, exec, s[70:71]
.LBB4_7593:                             ;   in Loop: Header=BB4_6192 Depth=3
	s_or_b64 exec, exec, s[68:69]
	v_cmp_ne_u16_e32 vcc, 0, v8
	s_and_saveexec_b64 s[68:69], vcc
	s_cbranch_execz .LBB4_7601
; %bb.7594:                             ;   in Loop: Header=BB4_6192 Depth=3
	v_cmp_ne_u16_e32 vcc, s97, v8
	v_bfrev_b32_e32 v9, 1
	s_and_saveexec_b64 s[70:71], vcc
	s_cbranch_execz .LBB4_7600
; %bb.7595:                             ;   in Loop: Header=BB4_6192 Depth=3
	v_and_b32_e32 v9, 0x7c, v8
	v_and_b32_e32 v13, 3, v8
	v_cmp_ne_u32_e32 vcc, s95, v9
                                        ; implicit-def: $vgpr9
	s_and_saveexec_b64 s[72:73], vcc
	s_xor_b64 s[72:73], exec, s[72:73]
	s_cbranch_execz .LBB4_7597
; %bb.7596:                             ;   in Loop: Header=BB4_6192 Depth=3
	v_ffbh_u32_e32 v33, v13
	v_min_u32_e32 v33, 32, v33
	v_mov_b32_e32 v9, v43
	v_subrev_u32_e32 v50, 29, v33
	v_bfe_u32 v32, v8, 2, 5
	v_lshlrev_b64 v[50:51], v50, v[8:9]
	v_sub_u32_e32 v9, 30, v33
	v_and_b32_e32 v33, 3, v50
	v_cmp_eq_u32_e32 vcc, 0, v32
	v_cndmask_b32_e32 v9, v32, v9, vcc
	v_cndmask_b32_e32 v13, v13, v33, vcc
	v_bfrev_b32_e32 v33, 28
	v_lshlrev_b32_e32 v32, 16, v4
	v_lshl_add_u32 v9, v9, 23, v33
	v_and_or_b32 v9, v32, s96, v9
	v_lshl_or_b32 v9, v13, 21, v9
                                        ; implicit-def: $vgpr13
.LBB4_7597:                             ;   in Loop: Header=BB4_6192 Depth=3
	s_andn2_saveexec_b64 s[72:73], s[72:73]
; %bb.7598:                             ;   in Loop: Header=BB4_6192 Depth=3
	v_cmp_lt_i16_e32 vcc, -1, v4
	v_cndmask_b32_e32 v9, v6, v1, vcc
	v_cmp_eq_u32_e32 vcc, 0, v13
	v_mov_b32_e32 v13, 0x7f800001
	v_cndmask_b32_e32 v9, v13, v9, vcc
; %bb.7599:                             ;   in Loop: Header=BB4_6192 Depth=3
	s_or_b64 exec, exec, s[72:73]
.LBB4_7600:                             ;   in Loop: Header=BB4_6192 Depth=3
	s_or_b64 exec, exec, s[70:71]
.LBB4_7601:                             ;   in Loop: Header=BB4_6192 Depth=3
	s_or_b64 exec, exec, s[68:69]
	v_max_f32_e32 v9, v9, v9
	v_max_f32_e32 v5, v5, v5
	;; [unrolled: 1-line block ×3, first 2 shown]
	s_branch .LBB4_7620
.LBB4_7602:                             ;   in Loop: Header=BB4_6192 Depth=3
                                        ; implicit-def: $vgpr5
	s_cbranch_execz .LBB4_7620
; %bb.7603:                             ;   in Loop: Header=BB4_6192 Depth=3
	v_mov_b32_e32 v9, 0
	v_mov_b32_e32 v13, 0
	s_and_saveexec_b64 s[68:69], s[30:31]
	s_cbranch_execz .LBB4_7611
; %bb.7604:                             ;   in Loop: Header=BB4_6192 Depth=3
	v_cmp_ne_u16_e32 vcc, s97, v12
	v_bfrev_b32_e32 v13, 1
	s_and_saveexec_b64 s[30:31], vcc
	s_cbranch_execz .LBB4_7610
; %bb.7605:                             ;   in Loop: Header=BB4_6192 Depth=3
	v_and_b32_e32 v13, 0x7c, v12
	v_and_b32_e32 v5, 3, v12
	v_cmp_ne_u32_e32 vcc, s95, v13
                                        ; implicit-def: $vgpr13
	s_and_saveexec_b64 s[70:71], vcc
	s_xor_b64 s[70:71], exec, s[70:71]
	s_cbranch_execz .LBB4_7607
; %bb.7606:                             ;   in Loop: Header=BB4_6192 Depth=3
	v_ffbh_u32_e32 v33, v5
	v_min_u32_e32 v33, 32, v33
	v_mov_b32_e32 v13, v43
	v_subrev_u32_e32 v50, 29, v33
	v_bfe_u32 v32, v12, 2, 5
	v_lshlrev_b64 v[12:13], v50, v[12:13]
	v_sub_u32_e32 v13, 30, v33
	v_cmp_eq_u32_e32 vcc, 0, v32
	v_and_b32_e32 v12, 3, v12
	v_cndmask_b32_e32 v13, v32, v13, vcc
	v_bfrev_b32_e32 v32, 28
	v_cndmask_b32_e32 v5, v5, v12, vcc
	v_lshlrev_b32_e32 v12, 16, v42
	v_lshl_add_u32 v13, v13, 23, v32
	v_and_or_b32 v12, v12, s96, v13
	v_lshl_or_b32 v13, v5, 21, v12
                                        ; implicit-def: $vgpr5
.LBB4_7607:                             ;   in Loop: Header=BB4_6192 Depth=3
	s_andn2_saveexec_b64 s[70:71], s[70:71]
; %bb.7608:                             ;   in Loop: Header=BB4_6192 Depth=3
	v_cmp_lt_i16_e32 vcc, -1, v42
	v_cndmask_b32_e32 v12, v6, v1, vcc
	v_cmp_eq_u32_e32 vcc, 0, v5
	v_mov_b32_e32 v5, 0x7f800001
	v_cndmask_b32_e32 v13, v5, v12, vcc
; %bb.7609:                             ;   in Loop: Header=BB4_6192 Depth=3
	s_or_b64 exec, exec, s[70:71]
.LBB4_7610:                             ;   in Loop: Header=BB4_6192 Depth=3
	s_or_b64 exec, exec, s[30:31]
.LBB4_7611:                             ;   in Loop: Header=BB4_6192 Depth=3
	s_or_b64 exec, exec, s[68:69]
	v_cmp_ne_u16_e32 vcc, 0, v8
	s_and_saveexec_b64 s[30:31], vcc
	s_cbranch_execz .LBB4_7619
; %bb.7612:                             ;   in Loop: Header=BB4_6192 Depth=3
	v_cmp_ne_u16_e32 vcc, s97, v8
	v_bfrev_b32_e32 v9, 1
	s_and_saveexec_b64 s[68:69], vcc
	s_cbranch_execz .LBB4_7618
; %bb.7613:                             ;   in Loop: Header=BB4_6192 Depth=3
	v_and_b32_e32 v5, 0x7c, v8
	v_and_b32_e32 v12, 3, v8
	v_cmp_ne_u32_e32 vcc, s95, v5
                                        ; implicit-def: $vgpr9
	s_and_saveexec_b64 s[70:71], vcc
	s_xor_b64 s[70:71], exec, s[70:71]
	s_cbranch_execz .LBB4_7615
; %bb.7614:                             ;   in Loop: Header=BB4_6192 Depth=3
	v_ffbh_u32_e32 v32, v12
	v_min_u32_e32 v32, 32, v32
	v_mov_b32_e32 v9, v43
	v_subrev_u32_e32 v33, 29, v32
	v_bfe_u32 v5, v8, 2, 5
	v_lshlrev_b64 v[8:9], v33, v[8:9]
	v_sub_u32_e32 v9, 30, v32
	v_cmp_eq_u32_e32 vcc, 0, v5
	v_cndmask_b32_e32 v5, v5, v9, vcc
	v_bfrev_b32_e32 v9, 28
	v_and_b32_e32 v8, 3, v8
	v_lshlrev_b32_e32 v4, 16, v4
	v_lshl_add_u32 v5, v5, 23, v9
	v_cndmask_b32_e32 v8, v12, v8, vcc
	v_and_or_b32 v4, v4, s96, v5
	v_lshl_or_b32 v9, v8, 21, v4
                                        ; implicit-def: $vgpr12
                                        ; implicit-def: $vgpr4_vgpr5
.LBB4_7615:                             ;   in Loop: Header=BB4_6192 Depth=3
	s_andn2_saveexec_b64 s[70:71], s[70:71]
; %bb.7616:                             ;   in Loop: Header=BB4_6192 Depth=3
	v_cmp_lt_i16_e32 vcc, -1, v4
	v_cndmask_b32_e32 v4, v6, v1, vcc
	v_cmp_eq_u32_e32 vcc, 0, v12
	v_mov_b32_e32 v5, 0x7f800001
	v_cndmask_b32_e32 v9, v5, v4, vcc
; %bb.7617:                             ;   in Loop: Header=BB4_6192 Depth=3
	s_or_b64 exec, exec, s[70:71]
.LBB4_7618:                             ;   in Loop: Header=BB4_6192 Depth=3
	s_or_b64 exec, exec, s[68:69]
.LBB4_7619:                             ;   in Loop: Header=BB4_6192 Depth=3
	s_or_b64 exec, exec, s[30:31]
	v_max_f32_e32 v4, v9, v9
	v_max_f32_e32 v5, v13, v13
	v_min_f32_e32 v5, v5, v4
.LBB4_7620:                             ;   in Loop: Header=BB4_6192 Depth=3
	v_and_b32_sdwa v8, v5, s97 dst_sel:DWORD dst_unused:UNUSED_PAD src0_sel:BYTE_3 src1_sel:DWORD
	v_and_b32_e32 v12, 0x7f800000, v5
	v_mov_b32_e32 v13, v43
	v_and_b32_e32 v42, 0x7fffff, v5
	v_or_b32_e32 v9, 0x7b, v8
	v_cmp_ne_u64_e32 vcc, s[52:53], v[12:13]
	s_and_saveexec_b64 s[30:31], vcc
	s_xor_b64 s[68:69], exec, s[30:31]
	s_cbranch_execz .LBB4_7630
; %bb.7621:                             ;   in Loop: Header=BB4_6192 Depth=3
	v_and_b32_e32 v12, 0x7fffffff, v5
	v_mov_b32_e32 v13, v43
	v_cmp_gt_u64_e32 vcc, s[54:55], v[12:13]
	s_and_saveexec_b64 s[70:71], vcc
	s_cbranch_execz .LBB4_7629
; %bb.7622:                             ;   in Loop: Header=BB4_6192 Depth=3
	v_cmp_ne_u32_e32 vcc, 0, v5
	v_mov_b32_e32 v9, 0
	s_and_saveexec_b64 s[72:73], vcc
	s_cbranch_execz .LBB4_7628
; %bb.7623:                             ;   in Loop: Header=BB4_6192 Depth=3
	v_bfe_u32 v4, v5, 23, 8
	v_cmp_eq_u32_e32 vcc, 0, v4
	v_add_u32_e32 v5, 0xffffff81, v4
	v_cmp_gt_u32_e64 s[30:31], s38, v4
	v_sub_u32_e32 v4, 0x71, v4
	v_mov_b32_e32 v12, 0xffffff82
	v_cndmask_b32_e64 v4, 0, v4, s[30:31]
	v_cndmask_b32_e32 v32, v5, v12, vcc
	v_mov_b32_e32 v5, 0x70
	v_cndmask_b32_e32 v33, v4, v5, vcc
	v_add_u32_e32 v4, 21, v33
	v_or_b32_e32 v9, 0x800000, v42
	v_lshlrev_b64 v[4:5], v4, -1
	v_cndmask_b32_e32 v42, v9, v42, vcc
	v_not_b32_e32 v5, v5
	v_not_b32_e32 v4, v4
	v_add_u32_e32 v9, 20, v33
	v_and_b32_e32 v5, 0, v5
	v_and_b32_e32 v4, v42, v4
	v_lshlrev_b64 v[12:13], v9, 1
	v_cmp_eq_u64_e32 vcc, v[4:5], v[12:13]
	v_lshrrev_b64 v[4:5], v33, v[42:43]
	v_lshrrev_b32_e32 v9, 23, v4
	v_add3_u32 v13, v33, v32, v9
	v_bfe_u32 v9, v4, 21, 1
	v_add_u32_e32 v9, -1, v9
	v_cndmask_b32_e32 v9, 0, v9, vcc
	v_add_u32_e32 v9, v9, v4
	v_and_b32_e32 v9, 0x1fffff, v9
	v_add_co_u32_e32 v4, vcc, v9, v4
	v_add_u32_e32 v12, 14, v13
	v_addc_co_u32_e32 v5, vcc, 0, v5, vcc
	v_cmp_ne_u32_e32 vcc, 0, v12
                                        ; implicit-def: $vgpr9
	s_and_saveexec_b64 s[30:31], vcc
	s_xor_b64 s[30:31], exec, s[30:31]
; %bb.7624:                             ;   in Loop: Header=BB4_6192 Depth=3
	v_add_u32_e32 v9, 15, v13
	v_cmp_lt_u64_e32 vcc, s[56:57], v[4:5]
	v_cndmask_b32_e32 v9, v12, v9, vcc
	v_cndmask_b32_e64 v12, 0, 1, vcc
	v_lshrrev_b64 v[4:5], v12, v[4:5]
; %bb.7625:                             ;   in Loop: Header=BB4_6192 Depth=3
	s_andn2_saveexec_b64 vcc, s[30:31]
; %bb.7626:                             ;   in Loop: Header=BB4_6192 Depth=3
	v_bfe_u32 v9, v4, 23, 1
; %bb.7627:                             ;   in Loop: Header=BB4_6192 Depth=3
	s_or_b64 exec, exec, vcc
	v_lshrrev_b64 v[4:5], 21, v[4:5]
	v_cmp_gt_i32_e32 vcc, 32, v9
	v_cndmask_b32_e32 v5, 0, v5, vcc
	v_cndmask_b32_e32 v4, 3, v4, vcc
	v_cmp_eq_u64_e64 s[30:31], 0, v[4:5]
	v_min_i32_e32 v5, 31, v9
	v_cmp_eq_u32_e32 vcc, 0, v9
	v_lshlrev_b32_e32 v5, 2, v5
	v_and_or_b32 v4, v4, 3, v5
	s_and_b64 vcc, vcc, s[30:31]
	v_cndmask_b32_e64 v4, v4, 0, vcc
	v_or_b32_e32 v9, v4, v8
.LBB4_7628:                             ;   in Loop: Header=BB4_6192 Depth=3
	s_or_b64 exec, exec, s[72:73]
.LBB4_7629:                             ;   in Loop: Header=BB4_6192 Depth=3
	s_or_b64 exec, exec, s[70:71]
                                        ; implicit-def: $vgpr5
.LBB4_7630:                             ;   in Loop: Header=BB4_6192 Depth=3
	s_andn2_saveexec_b64 s[30:31], s[68:69]
; %bb.7631:                             ;   in Loop: Header=BB4_6192 Depth=3
	v_or_b32_sdwa v4, v5, s39 dst_sel:DWORD dst_unused:UNUSED_PAD src0_sel:BYTE_3 src1_sel:DWORD
	v_cmp_eq_u64_e32 vcc, 0, v[42:43]
	v_cndmask_b32_e32 v9, v4, v9, vcc
; %bb.7632:                             ;   in Loop: Header=BB4_6192 Depth=3
	s_or_b64 exec, exec, s[30:31]
	v_lshrrev_b32_e32 v8, 16, v15
	v_lshrrev_b32_e32 v4, 16, v11
	s_and_b64 vcc, exec, s[28:29]
	v_cmp_ne_u16_sdwa s[30:31], v8, v43 src0_sel:BYTE_0 src1_sel:DWORD
	s_cbranch_vccnz .LBB4_7650
; %bb.7633:                             ;   in Loop: Header=BB4_6192 Depth=3
	v_mov_b32_e32 v12, 0
	v_mov_b32_e32 v5, 0
	s_and_saveexec_b64 s[68:69], s[30:31]
	s_cbranch_execz .LBB4_7641
; %bb.7634:                             ;   in Loop: Header=BB4_6192 Depth=3
	v_cmp_ne_u16_sdwa vcc, v8, s97 src0_sel:BYTE_0 src1_sel:DWORD
	v_bfrev_b32_e32 v5, 1
	s_and_saveexec_b64 s[70:71], vcc
	s_cbranch_execz .LBB4_7640
; %bb.7635:                             ;   in Loop: Header=BB4_6192 Depth=3
	v_and_b32_e32 v5, 0x7c0000, v15
	v_bfe_u32 v13, v15, 16, 2
	v_cmp_ne_u32_e32 vcc, s36, v5
                                        ; implicit-def: $vgpr5
	s_and_saveexec_b64 s[72:73], vcc
	s_xor_b64 s[72:73], exec, s[72:73]
	s_cbranch_execz .LBB4_7637
; %bb.7636:                             ;   in Loop: Header=BB4_6192 Depth=3
	v_ffbh_u32_e32 v32, v13
	v_min_u32_e32 v32, 32, v32
	v_subrev_u32_e32 v33, 29, v32
	v_bfe_u32 v5, v15, 18, 5
	v_lshlrev_b64 v[50:51], v33, v[8:9]
	v_sub_u32_e32 v32, 30, v32
	v_and_b32_e32 v33, 3, v50
	v_cmp_eq_u32_e32 vcc, 0, v5
	v_cndmask_b32_e32 v5, v5, v32, vcc
	v_cndmask_b32_e32 v13, v13, v33, vcc
	v_bfrev_b32_e32 v33, 28
	v_lshlrev_b32_e32 v32, 24, v8
	v_lshl_add_u32 v5, v5, 23, v33
	v_and_or_b32 v5, v32, s96, v5
	v_lshl_or_b32 v5, v13, 21, v5
                                        ; implicit-def: $vgpr13
.LBB4_7637:                             ;   in Loop: Header=BB4_6192 Depth=3
	s_andn2_saveexec_b64 s[72:73], s[72:73]
; %bb.7638:                             ;   in Loop: Header=BB4_6192 Depth=3
	v_mov_b32_e32 v5, -1
	v_cmp_gt_i16_sdwa vcc, sext(v8), v5 src0_sel:BYTE_0 src1_sel:DWORD
	v_cndmask_b32_e32 v5, v6, v1, vcc
	v_cmp_eq_u32_e32 vcc, 0, v13
	v_mov_b32_e32 v13, 0x7f800001
	v_cndmask_b32_e32 v5, v13, v5, vcc
; %bb.7639:                             ;   in Loop: Header=BB4_6192 Depth=3
	s_or_b64 exec, exec, s[72:73]
.LBB4_7640:                             ;   in Loop: Header=BB4_6192 Depth=3
	s_or_b64 exec, exec, s[70:71]
.LBB4_7641:                             ;   in Loop: Header=BB4_6192 Depth=3
	s_or_b64 exec, exec, s[68:69]
	v_cmp_ne_u16_sdwa vcc, v4, v43 src0_sel:BYTE_0 src1_sel:DWORD
	s_and_saveexec_b64 s[68:69], vcc
	s_cbranch_execz .LBB4_7649
; %bb.7642:                             ;   in Loop: Header=BB4_6192 Depth=3
	v_cmp_ne_u16_sdwa vcc, v4, s97 src0_sel:BYTE_0 src1_sel:DWORD
	v_bfrev_b32_e32 v12, 1
	s_and_saveexec_b64 s[70:71], vcc
	s_cbranch_execz .LBB4_7648
; %bb.7643:                             ;   in Loop: Header=BB4_6192 Depth=3
	v_and_b32_e32 v12, 0x7c0000, v11
	v_bfe_u32 v13, v11, 16, 2
	v_cmp_ne_u32_e32 vcc, s36, v12
                                        ; implicit-def: $vgpr12
	s_and_saveexec_b64 s[72:73], vcc
	s_xor_b64 s[72:73], exec, s[72:73]
	s_cbranch_execz .LBB4_7645
; %bb.7644:                             ;   in Loop: Header=BB4_6192 Depth=3
	v_ffbh_u32_e32 v32, v13
	v_min_u32_e32 v32, 32, v32
	v_subrev_u32_e32 v33, 29, v32
	v_bfe_u32 v12, v11, 18, 5
	v_lshlrev_b64 v[50:51], v33, v[4:5]
	v_sub_u32_e32 v32, 30, v32
	v_and_b32_e32 v33, 3, v50
	v_cmp_eq_u32_e32 vcc, 0, v12
	v_cndmask_b32_e32 v12, v12, v32, vcc
	v_cndmask_b32_e32 v13, v13, v33, vcc
	v_bfrev_b32_e32 v33, 28
	v_lshlrev_b32_e32 v32, 24, v4
	v_lshl_add_u32 v12, v12, 23, v33
	v_and_or_b32 v12, v32, s96, v12
	v_lshl_or_b32 v12, v13, 21, v12
                                        ; implicit-def: $vgpr13
.LBB4_7645:                             ;   in Loop: Header=BB4_6192 Depth=3
	s_andn2_saveexec_b64 s[72:73], s[72:73]
; %bb.7646:                             ;   in Loop: Header=BB4_6192 Depth=3
	v_mov_b32_e32 v12, -1
	v_cmp_gt_i16_sdwa vcc, sext(v4), v12 src0_sel:BYTE_0 src1_sel:DWORD
	v_cndmask_b32_e32 v12, v6, v1, vcc
	v_cmp_eq_u32_e32 vcc, 0, v13
	v_mov_b32_e32 v13, 0x7f800001
	v_cndmask_b32_e32 v12, v13, v12, vcc
; %bb.7647:                             ;   in Loop: Header=BB4_6192 Depth=3
	s_or_b64 exec, exec, s[72:73]
.LBB4_7648:                             ;   in Loop: Header=BB4_6192 Depth=3
	s_or_b64 exec, exec, s[70:71]
.LBB4_7649:                             ;   in Loop: Header=BB4_6192 Depth=3
	s_or_b64 exec, exec, s[68:69]
	v_max_f32_e32 v12, v12, v12
	v_max_f32_e32 v5, v5, v5
	v_max_f32_e32 v5, v5, v12
	s_branch .LBB4_7668
.LBB4_7650:                             ;   in Loop: Header=BB4_6192 Depth=3
                                        ; implicit-def: $vgpr5
	s_cbranch_execz .LBB4_7668
; %bb.7651:                             ;   in Loop: Header=BB4_6192 Depth=3
	v_mov_b32_e32 v12, 0
	v_mov_b32_e32 v5, 0
	s_and_saveexec_b64 s[68:69], s[30:31]
	s_cbranch_execz .LBB4_7659
; %bb.7652:                             ;   in Loop: Header=BB4_6192 Depth=3
	v_cmp_ne_u16_sdwa vcc, v8, s97 src0_sel:BYTE_0 src1_sel:DWORD
	v_bfrev_b32_e32 v5, 1
	s_and_saveexec_b64 s[30:31], vcc
	s_cbranch_execz .LBB4_7658
; %bb.7653:                             ;   in Loop: Header=BB4_6192 Depth=3
	v_and_b32_e32 v5, 0x7c0000, v15
	v_bfe_u32 v13, v15, 16, 2
	v_cmp_ne_u32_e32 vcc, s36, v5
                                        ; implicit-def: $vgpr5
	s_and_saveexec_b64 s[70:71], vcc
	s_xor_b64 s[70:71], exec, s[70:71]
	s_cbranch_execz .LBB4_7655
; %bb.7654:                             ;   in Loop: Header=BB4_6192 Depth=3
	v_ffbh_u32_e32 v32, v13
	v_bfe_u32 v5, v15, 18, 5
	v_min_u32_e32 v32, 32, v32
	v_subrev_u32_e32 v33, 29, v32
	v_sub_u32_e32 v32, 30, v32
	v_cmp_eq_u32_e32 vcc, 0, v5
	v_lshlrev_b64 v[50:51], v33, v[8:9]
	v_cndmask_b32_e32 v5, v5, v32, vcc
	v_bfrev_b32_e32 v32, 28
	v_and_b32_e32 v33, 3, v50
	v_lshlrev_b32_e32 v8, 24, v8
	v_lshl_add_u32 v5, v5, 23, v32
	v_cndmask_b32_e32 v13, v13, v33, vcc
	v_and_or_b32 v5, v8, s96, v5
	v_lshl_or_b32 v5, v13, 21, v5
                                        ; implicit-def: $vgpr13
                                        ; implicit-def: $vgpr8
.LBB4_7655:                             ;   in Loop: Header=BB4_6192 Depth=3
	s_andn2_saveexec_b64 s[70:71], s[70:71]
; %bb.7656:                             ;   in Loop: Header=BB4_6192 Depth=3
	v_mov_b32_e32 v5, -1
	v_cmp_gt_i16_sdwa vcc, sext(v8), v5 src0_sel:BYTE_0 src1_sel:DWORD
	v_cndmask_b32_e32 v5, v6, v1, vcc
	v_cmp_eq_u32_e32 vcc, 0, v13
	v_mov_b32_e32 v8, 0x7f800001
	v_cndmask_b32_e32 v5, v8, v5, vcc
; %bb.7657:                             ;   in Loop: Header=BB4_6192 Depth=3
	s_or_b64 exec, exec, s[70:71]
.LBB4_7658:                             ;   in Loop: Header=BB4_6192 Depth=3
	s_or_b64 exec, exec, s[30:31]
.LBB4_7659:                             ;   in Loop: Header=BB4_6192 Depth=3
	s_or_b64 exec, exec, s[68:69]
	v_cmp_ne_u16_sdwa vcc, v4, v43 src0_sel:BYTE_0 src1_sel:DWORD
	s_and_saveexec_b64 s[30:31], vcc
	s_cbranch_execz .LBB4_7667
; %bb.7660:                             ;   in Loop: Header=BB4_6192 Depth=3
	v_cmp_ne_u16_sdwa vcc, v4, s97 src0_sel:BYTE_0 src1_sel:DWORD
	v_bfrev_b32_e32 v12, 1
	s_and_saveexec_b64 s[68:69], vcc
	s_cbranch_execz .LBB4_7666
; %bb.7661:                             ;   in Loop: Header=BB4_6192 Depth=3
	v_and_b32_e32 v12, 0x7c0000, v11
	v_bfe_u32 v8, v11, 16, 2
	v_cmp_ne_u32_e32 vcc, s36, v12
                                        ; implicit-def: $vgpr12
	s_and_saveexec_b64 s[70:71], vcc
	s_xor_b64 s[70:71], exec, s[70:71]
	s_cbranch_execz .LBB4_7663
; %bb.7662:                             ;   in Loop: Header=BB4_6192 Depth=3
	v_ffbh_u32_e32 v12, v8
	v_min_u32_e32 v33, 32, v12
	v_subrev_u32_e32 v12, 29, v33
	v_bfe_u32 v32, v11, 18, 5
	v_lshlrev_b64 v[12:13], v12, v[4:5]
	v_sub_u32_e32 v13, 30, v33
	v_and_b32_e32 v12, 3, v12
	v_cmp_eq_u32_e32 vcc, 0, v32
	v_cndmask_b32_e32 v13, v32, v13, vcc
	v_cndmask_b32_e32 v8, v8, v12, vcc
	v_bfrev_b32_e32 v12, 28
	v_lshlrev_b32_e32 v4, 24, v4
	v_lshl_add_u32 v12, v13, 23, v12
	v_and_or_b32 v4, v4, s96, v12
	v_lshl_or_b32 v12, v8, 21, v4
                                        ; implicit-def: $vgpr8
                                        ; implicit-def: $vgpr4
.LBB4_7663:                             ;   in Loop: Header=BB4_6192 Depth=3
	s_andn2_saveexec_b64 s[70:71], s[70:71]
; %bb.7664:                             ;   in Loop: Header=BB4_6192 Depth=3
	v_mov_b32_e32 v12, -1
	v_cmp_gt_i16_sdwa vcc, sext(v4), v12 src0_sel:BYTE_0 src1_sel:DWORD
	v_cndmask_b32_e32 v4, v6, v1, vcc
	v_cmp_eq_u32_e32 vcc, 0, v8
	v_mov_b32_e32 v8, 0x7f800001
	v_cndmask_b32_e32 v12, v8, v4, vcc
; %bb.7665:                             ;   in Loop: Header=BB4_6192 Depth=3
	s_or_b64 exec, exec, s[70:71]
.LBB4_7666:                             ;   in Loop: Header=BB4_6192 Depth=3
	s_or_b64 exec, exec, s[68:69]
.LBB4_7667:                             ;   in Loop: Header=BB4_6192 Depth=3
	s_or_b64 exec, exec, s[30:31]
	v_max_f32_e32 v4, v12, v12
	v_max_f32_e32 v5, v5, v5
	v_min_f32_e32 v5, v5, v4
.LBB4_7668:                             ;   in Loop: Header=BB4_6192 Depth=3
	v_and_b32_sdwa v8, v5, s97 dst_sel:DWORD dst_unused:UNUSED_PAD src0_sel:BYTE_3 src1_sel:DWORD
	v_and_b32_e32 v50, 0x7f800000, v5
	v_mov_b32_e32 v51, v43
	v_and_b32_e32 v42, 0x7fffff, v5
	v_or_b32_e32 v12, 0x7b, v8
	v_cmp_ne_u64_e32 vcc, s[52:53], v[50:51]
	s_and_saveexec_b64 s[30:31], vcc
	s_xor_b64 s[68:69], exec, s[30:31]
	s_cbranch_execz .LBB4_7678
; %bb.7669:                             ;   in Loop: Header=BB4_6192 Depth=3
	v_and_b32_e32 v50, 0x7fffffff, v5
	v_mov_b32_e32 v51, v43
	v_cmp_gt_u64_e32 vcc, s[54:55], v[50:51]
	s_and_saveexec_b64 s[70:71], vcc
	s_cbranch_execz .LBB4_7677
; %bb.7670:                             ;   in Loop: Header=BB4_6192 Depth=3
	v_cmp_ne_u32_e32 vcc, 0, v5
	v_mov_b32_e32 v12, 0
	s_and_saveexec_b64 s[72:73], vcc
	s_cbranch_execz .LBB4_7676
; %bb.7671:                             ;   in Loop: Header=BB4_6192 Depth=3
	v_bfe_u32 v4, v5, 23, 8
	v_cmp_eq_u32_e32 vcc, 0, v4
	v_add_u32_e32 v5, 0xffffff81, v4
	v_cmp_gt_u32_e64 s[30:31], s38, v4
	v_sub_u32_e32 v4, 0x71, v4
	v_mov_b32_e32 v13, 0xffffff82
	v_cndmask_b32_e64 v4, 0, v4, s[30:31]
	v_cndmask_b32_e32 v32, v5, v13, vcc
	v_mov_b32_e32 v5, 0x70
	v_cndmask_b32_e32 v33, v4, v5, vcc
	v_add_u32_e32 v4, 21, v33
	v_or_b32_e32 v12, 0x800000, v42
	v_lshlrev_b64 v[4:5], v4, -1
	v_cndmask_b32_e32 v42, v12, v42, vcc
	v_not_b32_e32 v5, v5
	v_not_b32_e32 v4, v4
	v_add_u32_e32 v12, 20, v33
	v_and_b32_e32 v5, 0, v5
	v_and_b32_e32 v4, v42, v4
	v_lshlrev_b64 v[12:13], v12, 1
	v_cmp_eq_u64_e32 vcc, v[4:5], v[12:13]
	v_lshrrev_b64 v[4:5], v33, v[42:43]
	v_lshrrev_b32_e32 v12, 23, v4
	v_add3_u32 v50, v33, v32, v12
	v_bfe_u32 v12, v4, 21, 1
	v_add_u32_e32 v12, -1, v12
	v_cndmask_b32_e32 v12, 0, v12, vcc
	v_add_u32_e32 v12, v12, v4
	v_and_b32_e32 v12, 0x1fffff, v12
	v_add_co_u32_e32 v4, vcc, v12, v4
	v_add_u32_e32 v13, 14, v50
	v_addc_co_u32_e32 v5, vcc, 0, v5, vcc
	v_cmp_ne_u32_e32 vcc, 0, v13
                                        ; implicit-def: $vgpr12
	s_and_saveexec_b64 s[30:31], vcc
	s_xor_b64 s[30:31], exec, s[30:31]
; %bb.7672:                             ;   in Loop: Header=BB4_6192 Depth=3
	v_add_u32_e32 v12, 15, v50
	v_cmp_lt_u64_e32 vcc, s[56:57], v[4:5]
	v_cndmask_b32_e32 v12, v13, v12, vcc
	v_cndmask_b32_e64 v13, 0, 1, vcc
	v_lshrrev_b64 v[4:5], v13, v[4:5]
; %bb.7673:                             ;   in Loop: Header=BB4_6192 Depth=3
	s_andn2_saveexec_b64 vcc, s[30:31]
; %bb.7674:                             ;   in Loop: Header=BB4_6192 Depth=3
	v_bfe_u32 v12, v4, 23, 1
; %bb.7675:                             ;   in Loop: Header=BB4_6192 Depth=3
	s_or_b64 exec, exec, vcc
	v_lshrrev_b64 v[4:5], 21, v[4:5]
	v_cmp_gt_i32_e32 vcc, 32, v12
	v_cndmask_b32_e32 v5, 0, v5, vcc
	v_cndmask_b32_e32 v4, 3, v4, vcc
	v_cmp_eq_u64_e64 s[30:31], 0, v[4:5]
	v_min_i32_e32 v5, 31, v12
	v_cmp_eq_u32_e32 vcc, 0, v12
	v_lshlrev_b32_e32 v5, 2, v5
	v_and_or_b32 v4, v4, 3, v5
	s_and_b64 vcc, vcc, s[30:31]
	v_cndmask_b32_e64 v4, v4, 0, vcc
	v_or_b32_e32 v12, v4, v8
.LBB4_7676:                             ;   in Loop: Header=BB4_6192 Depth=3
	s_or_b64 exec, exec, s[72:73]
.LBB4_7677:                             ;   in Loop: Header=BB4_6192 Depth=3
	s_or_b64 exec, exec, s[70:71]
                                        ; implicit-def: $vgpr5
.LBB4_7678:                             ;   in Loop: Header=BB4_6192 Depth=3
	s_andn2_saveexec_b64 s[30:31], s[68:69]
; %bb.7679:                             ;   in Loop: Header=BB4_6192 Depth=3
	v_or_b32_sdwa v4, v5, s39 dst_sel:DWORD dst_unused:UNUSED_PAD src0_sel:BYTE_3 src1_sel:DWORD
	v_cmp_eq_u64_e32 vcc, 0, v[42:43]
	v_cndmask_b32_e32 v12, v4, v12, vcc
; %bb.7680:                             ;   in Loop: Header=BB4_6192 Depth=3
	s_or_b64 exec, exec, s[30:31]
	v_lshrrev_b32_e32 v8, 24, v15
	v_lshrrev_b32_e32 v4, 24, v11
	s_and_b64 vcc, exec, s[28:29]
	v_cmp_lt_u64_e64 s[28:29], s[42:43], v[14:15]
	s_cbranch_vccnz .LBB4_7698
; %bb.7681:                             ;   in Loop: Header=BB4_6192 Depth=3
	v_mov_b32_e32 v13, 0
	v_mov_b32_e32 v5, 0
	s_and_saveexec_b64 s[30:31], s[28:29]
	s_cbranch_execz .LBB4_7689
; %bb.7682:                             ;   in Loop: Header=BB4_6192 Depth=3
	v_cmp_ne_u32_e32 vcc, s97, v8
	v_bfrev_b32_e32 v5, 1
	s_and_saveexec_b64 s[68:69], vcc
	s_cbranch_execz .LBB4_7688
; %bb.7683:                             ;   in Loop: Header=BB4_6192 Depth=3
	v_and_b32_e32 v5, 0x7c000000, v15
	v_bfe_u32 v50, v15, 24, 2
	v_cmp_ne_u32_e32 vcc, s37, v5
                                        ; implicit-def: $vgpr5
	s_and_saveexec_b64 s[70:71], vcc
	s_xor_b64 s[70:71], exec, s[70:71]
	s_cbranch_execz .LBB4_7685
; %bb.7684:                             ;   in Loop: Header=BB4_6192 Depth=3
	v_ffbh_u32_e32 v32, v50
	v_min_u32_e32 v32, 32, v32
	v_subrev_u32_e32 v33, 29, v32
	v_bfe_u32 v5, v15, 26, 5
	v_mov_b32_e32 v51, v44
	v_lshlrev_b64 v[44:45], v33, v[8:9]
	v_sub_u32_e32 v32, 30, v32
	v_and_b32_e32 v33, 3, v44
	v_cmp_eq_u32_e32 vcc, 0, v5
	v_cndmask_b32_e32 v5, v5, v32, vcc
	v_cndmask_b32_e32 v32, v50, v33, vcc
	v_bfrev_b32_e32 v33, 28
	v_lshl_add_u32 v5, v5, 23, v33
	v_and_or_b32 v5, v15, s96, v5
	v_mov_b32_e32 v44, v51
	v_lshl_or_b32 v5, v32, 21, v5
                                        ; implicit-def: $vgpr50
.LBB4_7685:                             ;   in Loop: Header=BB4_6192 Depth=3
	s_andn2_saveexec_b64 s[70:71], s[70:71]
; %bb.7686:                             ;   in Loop: Header=BB4_6192 Depth=3
	v_cmp_lt_i64_e32 vcc, -1, v[14:15]
	v_cndmask_b32_e32 v5, v6, v1, vcc
	v_cmp_eq_u32_e32 vcc, 0, v50
	v_mov_b32_e32 v32, 0x7f800001
	v_cndmask_b32_e32 v5, v32, v5, vcc
; %bb.7687:                             ;   in Loop: Header=BB4_6192 Depth=3
	s_or_b64 exec, exec, s[70:71]
.LBB4_7688:                             ;   in Loop: Header=BB4_6192 Depth=3
	s_or_b64 exec, exec, s[68:69]
.LBB4_7689:                             ;   in Loop: Header=BB4_6192 Depth=3
	s_or_b64 exec, exec, s[30:31]
	v_cmp_lt_u64_e32 vcc, s[42:43], v[10:11]
	s_and_saveexec_b64 s[30:31], vcc
	s_cbranch_execz .LBB4_7697
; %bb.7690:                             ;   in Loop: Header=BB4_6192 Depth=3
	v_cmp_ne_u32_e32 vcc, s97, v4
	v_bfrev_b32_e32 v13, 1
	s_and_saveexec_b64 s[68:69], vcc
	s_cbranch_execz .LBB4_7696
; %bb.7691:                             ;   in Loop: Header=BB4_6192 Depth=3
	v_and_b32_e32 v13, 0x7c000000, v11
	v_bfe_u32 v50, v11, 24, 2
	v_cmp_ne_u32_e32 vcc, s37, v13
                                        ; implicit-def: $vgpr13
	s_and_saveexec_b64 s[70:71], vcc
	s_xor_b64 s[70:71], exec, s[70:71]
	s_cbranch_execz .LBB4_7693
; %bb.7692:                             ;   in Loop: Header=BB4_6192 Depth=3
	v_ffbh_u32_e32 v32, v50
	v_min_u32_e32 v32, 32, v32
	v_subrev_u32_e32 v33, 29, v32
	v_bfe_u32 v13, v11, 26, 5
	v_mov_b32_e32 v51, v44
	v_lshlrev_b64 v[44:45], v33, v[4:5]
	v_sub_u32_e32 v32, 30, v32
	v_and_b32_e32 v33, 3, v44
	v_cmp_eq_u32_e32 vcc, 0, v13
	v_cndmask_b32_e32 v13, v13, v32, vcc
	v_cndmask_b32_e32 v32, v50, v33, vcc
	v_bfrev_b32_e32 v33, 28
	v_lshl_add_u32 v13, v13, 23, v33
	v_and_or_b32 v13, v11, s96, v13
	v_mov_b32_e32 v44, v51
	v_lshl_or_b32 v13, v32, 21, v13
                                        ; implicit-def: $vgpr50
.LBB4_7693:                             ;   in Loop: Header=BB4_6192 Depth=3
	s_andn2_saveexec_b64 s[70:71], s[70:71]
; %bb.7694:                             ;   in Loop: Header=BB4_6192 Depth=3
	v_cmp_lt_i64_e32 vcc, -1, v[10:11]
	v_cndmask_b32_e32 v13, v6, v1, vcc
	v_cmp_eq_u32_e32 vcc, 0, v50
	v_mov_b32_e32 v32, 0x7f800001
	v_cndmask_b32_e32 v13, v32, v13, vcc
; %bb.7695:                             ;   in Loop: Header=BB4_6192 Depth=3
	s_or_b64 exec, exec, s[70:71]
.LBB4_7696:                             ;   in Loop: Header=BB4_6192 Depth=3
	s_or_b64 exec, exec, s[68:69]
.LBB4_7697:                             ;   in Loop: Header=BB4_6192 Depth=3
	s_or_b64 exec, exec, s[30:31]
	v_max_f32_e32 v13, v13, v13
	v_max_f32_e32 v5, v5, v5
	;; [unrolled: 1-line block ×3, first 2 shown]
	s_branch .LBB4_7716
.LBB4_7698:                             ;   in Loop: Header=BB4_6192 Depth=3
                                        ; implicit-def: $vgpr5
	s_cbranch_execz .LBB4_7716
; %bb.7699:                             ;   in Loop: Header=BB4_6192 Depth=3
	v_mov_b32_e32 v13, 0
	v_mov_b32_e32 v5, 0
	s_and_saveexec_b64 s[30:31], s[28:29]
	s_cbranch_execz .LBB4_7707
; %bb.7700:                             ;   in Loop: Header=BB4_6192 Depth=3
	v_cmp_ne_u32_e32 vcc, s97, v8
	v_bfrev_b32_e32 v5, 1
	s_and_saveexec_b64 s[28:29], vcc
	s_cbranch_execz .LBB4_7706
; %bb.7701:                             ;   in Loop: Header=BB4_6192 Depth=3
	v_and_b32_e32 v5, 0x7c000000, v15
	v_bfe_u32 v54, v15, 24, 2
	v_cmp_ne_u32_e32 vcc, s37, v5
                                        ; implicit-def: $vgpr5
	s_and_saveexec_b64 s[68:69], vcc
	s_xor_b64 s[68:69], exec, s[68:69]
	s_cbranch_execz .LBB4_7703
; %bb.7702:                             ;   in Loop: Header=BB4_6192 Depth=3
	v_ffbh_u32_e32 v14, v54
	v_min_u32_e32 v14, 32, v14
	v_subrev_u32_e32 v32, 29, v14
	v_bfe_u32 v5, v15, 26, 5
	v_lshlrev_b64 v[50:51], v32, v[8:9]
	v_sub_u32_e32 v8, 30, v14
	v_and_b32_e32 v14, 3, v50
	v_cmp_eq_u32_e32 vcc, 0, v5
	v_cndmask_b32_e32 v5, v5, v8, vcc
	v_cndmask_b32_e32 v8, v54, v14, vcc
	v_bfrev_b32_e32 v14, 28
	v_lshl_add_u32 v5, v5, 23, v14
	v_and_or_b32 v5, v15, s96, v5
	v_lshl_or_b32 v5, v8, 21, v5
                                        ; implicit-def: $vgpr54
                                        ; implicit-def: $vgpr14_vgpr15
.LBB4_7703:                             ;   in Loop: Header=BB4_6192 Depth=3
	s_andn2_saveexec_b64 s[68:69], s[68:69]
; %bb.7704:                             ;   in Loop: Header=BB4_6192 Depth=3
	v_cmp_lt_i64_e32 vcc, -1, v[14:15]
	v_cndmask_b32_e32 v5, v6, v1, vcc
	v_cmp_eq_u32_e32 vcc, 0, v54
	v_mov_b32_e32 v8, 0x7f800001
	v_cndmask_b32_e32 v5, v8, v5, vcc
; %bb.7705:                             ;   in Loop: Header=BB4_6192 Depth=3
	s_or_b64 exec, exec, s[68:69]
.LBB4_7706:                             ;   in Loop: Header=BB4_6192 Depth=3
	s_or_b64 exec, exec, s[28:29]
.LBB4_7707:                             ;   in Loop: Header=BB4_6192 Depth=3
	s_or_b64 exec, exec, s[30:31]
	v_cmp_lt_u64_e32 vcc, s[42:43], v[10:11]
	s_and_saveexec_b64 s[28:29], vcc
	s_cbranch_execz .LBB4_7715
; %bb.7708:                             ;   in Loop: Header=BB4_6192 Depth=3
	v_cmp_ne_u32_e32 vcc, s97, v4
	v_bfrev_b32_e32 v13, 1
	s_and_saveexec_b64 s[30:31], vcc
	s_cbranch_execz .LBB4_7714
; %bb.7709:                             ;   in Loop: Header=BB4_6192 Depth=3
	v_and_b32_e32 v13, 0x7c000000, v11
	v_bfe_u32 v8, v11, 24, 2
	v_cmp_ne_u32_e32 vcc, s37, v13
                                        ; implicit-def: $vgpr13
	s_and_saveexec_b64 s[68:69], vcc
	s_xor_b64 s[68:69], exec, s[68:69]
	s_cbranch_execz .LBB4_7711
; %bb.7710:                             ;   in Loop: Header=BB4_6192 Depth=3
	v_ffbh_u32_e32 v13, v8
	v_min_u32_e32 v13, 32, v13
	v_bfe_u32 v10, v11, 26, 5
	v_subrev_u32_e32 v14, 29, v13
	v_lshlrev_b64 v[14:15], v14, v[4:5]
	v_sub_u32_e32 v4, 30, v13
	v_cmp_eq_u32_e32 vcc, 0, v10
	v_cndmask_b32_e32 v4, v10, v4, vcc
	v_bfrev_b32_e32 v10, 28
	v_and_b32_e32 v13, 3, v14
	v_lshl_add_u32 v4, v4, 23, v10
	v_cndmask_b32_e32 v8, v8, v13, vcc
	v_and_or_b32 v4, v11, s96, v4
	v_lshl_or_b32 v13, v8, 21, v4
                                        ; implicit-def: $vgpr8
                                        ; implicit-def: $vgpr10_vgpr11
.LBB4_7711:                             ;   in Loop: Header=BB4_6192 Depth=3
	s_andn2_saveexec_b64 s[68:69], s[68:69]
; %bb.7712:                             ;   in Loop: Header=BB4_6192 Depth=3
	v_cmp_lt_i64_e32 vcc, -1, v[10:11]
	v_cndmask_b32_e32 v4, v6, v1, vcc
	v_cmp_eq_u32_e32 vcc, 0, v8
	v_mov_b32_e32 v8, 0x7f800001
	v_cndmask_b32_e32 v13, v8, v4, vcc
; %bb.7713:                             ;   in Loop: Header=BB4_6192 Depth=3
	s_or_b64 exec, exec, s[68:69]
.LBB4_7714:                             ;   in Loop: Header=BB4_6192 Depth=3
	s_or_b64 exec, exec, s[30:31]
.LBB4_7715:                             ;   in Loop: Header=BB4_6192 Depth=3
	s_or_b64 exec, exec, s[28:29]
	v_max_f32_e32 v4, v13, v13
	v_max_f32_e32 v5, v5, v5
	v_min_f32_e32 v5, v5, v4
.LBB4_7716:                             ;   in Loop: Header=BB4_6192 Depth=3
	v_and_b32_sdwa v8, v5, s97 dst_sel:DWORD dst_unused:UNUSED_PAD src0_sel:BYTE_3 src1_sel:DWORD
	v_and_b32_e32 v10, 0x7f800000, v5
	v_mov_b32_e32 v11, v43
	v_and_b32_e32 v42, 0x7fffff, v5
	v_or_b32_e32 v4, 0x7b, v8
	v_cmp_ne_u64_e32 vcc, s[52:53], v[10:11]
	s_and_saveexec_b64 s[28:29], vcc
	s_xor_b64 s[30:31], exec, s[28:29]
	s_cbranch_execz .LBB4_7726
; %bb.7717:                             ;   in Loop: Header=BB4_6192 Depth=3
	v_and_b32_e32 v10, 0x7fffffff, v5
	v_mov_b32_e32 v11, v43
	v_cmp_gt_u64_e32 vcc, s[54:55], v[10:11]
	s_and_saveexec_b64 s[68:69], vcc
	s_cbranch_execz .LBB4_7725
; %bb.7718:                             ;   in Loop: Header=BB4_6192 Depth=3
	v_cmp_ne_u32_e32 vcc, 0, v5
	v_mov_b32_e32 v4, 0
	s_and_saveexec_b64 s[70:71], vcc
	s_cbranch_execz .LBB4_7724
; %bb.7719:                             ;   in Loop: Header=BB4_6192 Depth=3
	v_bfe_u32 v4, v5, 23, 8
	v_sub_u32_e32 v10, 0x71, v4
	v_cmp_gt_u32_e32 vcc, s38, v4
	v_add_u32_e32 v5, 0xffffff81, v4
	v_cndmask_b32_e32 v10, 0, v10, vcc
	v_cmp_eq_u32_e32 vcc, 0, v4
	v_mov_b32_e32 v4, 0xffffff82
	v_cndmask_b32_e32 v13, v5, v4, vcc
	v_mov_b32_e32 v4, 0x70
	v_or_b32_e32 v11, 0x800000, v42
	v_cndmask_b32_e32 v10, v10, v4, vcc
	v_cndmask_b32_e32 v42, v11, v42, vcc
	v_add_u32_e32 v4, 21, v10
	v_lshlrev_b64 v[4:5], v4, -1
	v_add_u32_e32 v11, 20, v10
	v_lshrrev_b64 v[50:51], v10, v[42:43]
	v_not_b32_e32 v5, v5
	v_not_b32_e32 v4, v4
	v_lshlrev_b64 v[14:15], v11, 1
	v_lshrrev_b32_e32 v11, 23, v50
	v_and_b32_e32 v5, 0, v5
	v_and_b32_e32 v4, v42, v4
	v_add3_u32 v13, v10, v13, v11
	v_bfe_u32 v10, v50, 21, 1
	v_add_u32_e32 v10, -1, v10
	v_cmp_eq_u64_e32 vcc, v[4:5], v[14:15]
	v_cndmask_b32_e32 v4, 0, v10, vcc
	v_add_u32_e32 v4, v4, v50
	v_and_b32_e32 v4, 0x1fffff, v4
	v_add_co_u32_e32 v4, vcc, v4, v50
	v_add_u32_e32 v11, 14, v13
	v_addc_co_u32_e32 v5, vcc, 0, v51, vcc
	v_cmp_ne_u32_e32 vcc, 0, v11
                                        ; implicit-def: $vgpr10
	s_and_saveexec_b64 s[28:29], vcc
	s_xor_b64 s[28:29], exec, s[28:29]
; %bb.7720:                             ;   in Loop: Header=BB4_6192 Depth=3
	v_add_u32_e32 v10, 15, v13
	v_cmp_lt_u64_e32 vcc, s[56:57], v[4:5]
	v_cndmask_b32_e32 v10, v11, v10, vcc
	v_cndmask_b32_e64 v11, 0, 1, vcc
	v_lshrrev_b64 v[4:5], v11, v[4:5]
; %bb.7721:                             ;   in Loop: Header=BB4_6192 Depth=3
	s_andn2_saveexec_b64 s[28:29], s[28:29]
; %bb.7722:                             ;   in Loop: Header=BB4_6192 Depth=3
	v_bfe_u32 v10, v4, 23, 1
; %bb.7723:                             ;   in Loop: Header=BB4_6192 Depth=3
	s_or_b64 exec, exec, s[28:29]
	v_lshrrev_b64 v[4:5], 21, v[4:5]
	v_cmp_gt_i32_e32 vcc, 32, v10
	v_cndmask_b32_e32 v5, 0, v5, vcc
	v_cndmask_b32_e32 v4, 3, v4, vcc
	v_cmp_eq_u64_e64 s[28:29], 0, v[4:5]
	v_min_i32_e32 v5, 31, v10
	v_lshlrev_b32_e32 v5, 2, v5
	v_cmp_eq_u32_e32 vcc, 0, v10
	v_and_b32_e32 v5, 0xfc, v5
	v_and_or_b32 v4, v4, 3, v5
	s_and_b64 s[28:29], vcc, s[28:29]
	v_cndmask_b32_e64 v4, v4, 0, s[28:29]
	v_or_b32_e32 v4, v4, v8
.LBB4_7724:                             ;   in Loop: Header=BB4_6192 Depth=3
	s_or_b64 exec, exec, s[70:71]
.LBB4_7725:                             ;   in Loop: Header=BB4_6192 Depth=3
	s_or_b64 exec, exec, s[68:69]
                                        ; implicit-def: $vgpr5
.LBB4_7726:                             ;   in Loop: Header=BB4_6192 Depth=3
	s_andn2_saveexec_b64 s[28:29], s[30:31]
	s_cbranch_execz .LBB4_6191
; %bb.7727:                             ;   in Loop: Header=BB4_6192 Depth=3
	v_or_b32_sdwa v5, v5, s39 dst_sel:DWORD dst_unused:UNUSED_PAD src0_sel:BYTE_3 src1_sel:DWORD
	v_cmp_eq_u64_e32 vcc, 0, v[42:43]
	v_cndmask_b32_e32 v4, v5, v4, vcc
	s_branch .LBB4_6191
.LBB4_7728:                             ;   in Loop: Header=BB4_3264 Depth=2
	s_or_b64 exec, exec, s[64:65]
	v_accvgpr_read_b32 v29, a9
	v_accvgpr_read_b32 v28, a8
	;; [unrolled: 1-line block ×4, first 2 shown]
.LBB4_7729:                             ;   in Loop: Header=BB4_3264 Depth=2
	s_or_b64 exec, exec, s[34:35]
	v_lshlrev_b32_e32 v2, 11, v2
	v_mov_b32_e32 v0, v31
	v_cmp_ne_u32_e32 vcc, v0, v2
	s_mov_b64 s[28:29], 0
	v_mov_b32_e32 v0, 0
                                        ; implicit-def: $vgpr7
                                        ; implicit-def: $vgpr30
                                        ; implicit-def: $vgpr4
	s_and_saveexec_b64 s[34:35], vcc
	s_cbranch_execz .LBB4_8505
; %bb.7730:                             ;   in Loop: Header=BB4_3264 Depth=2
	v_mov_b32_e32 v0, v31
	v_sub_u32_e32 v4, v0, v2
	v_lshlrev_b32_e32 v0, 6, v52
	v_accvgpr_read_b32 v3, a40
	v_sub_u32_e32 v0, v3, v0
	v_ashrrev_i32_e32 v3, 31, v0
	v_lshrrev_b32_e32 v3, 26, v3
	v_ashrrev_i32_e32 v7, 31, v4
	v_add_u32_e32 v3, v0, v3
	v_lshrrev_b32_e32 v7, 22, v7
	v_ashrrev_i32_e32 v5, 6, v3
	v_and_b32_e32 v3, 0xffffffc0, v3
	v_add_u32_e32 v7, v4, v7
	v_sub_u32_e32 v3, v0, v3
	v_and_b32_e32 v26, 0xfffffc00, v7
	v_lshlrev_b32_e32 v0, 4, v3
	v_sub_u32_e32 v28, v4, v26
	v_lshl_add_u32 v0, v5, 10, v0
	v_ashrrev_i32_e32 v8, 10, v7
	v_cmp_lt_i32_e64 s[28:29], 15, v28
	v_sub_u32_e32 v29, v4, v0
	v_addc_co_u32_e64 v4, vcc, 0, v8, s[28:29]
	v_sub_u32_e32 v27, v4, v5
	v_cmp_lt_i32_e32 vcc, 15, v29
	s_and_saveexec_b64 s[64:65], vcc
	s_cbranch_execz .LBB4_8502
; %bb.7731:                             ;   in Loop: Header=BB4_3264 Depth=2
	s_trap 2
	ds_read_b128 v[8:11], v0
	v_add_u32_e32 v0, v0, v2
	ds_read_b64 v[12:13], v0
	v_ashrrev_i32_e32 v7, 31, v0
	s_bitcmp1_b32 s85, 0
	s_waitcnt lgkmcnt(0)
	v_add_co_u32_e32 v4, vcc, v8, v0
	v_addc_co_u32_e32 v5, vcc, v9, v7, vcc
	v_add_co_u32_e32 v16, vcc, v10, v0
	v_addc_co_u32_e32 v17, vcc, v11, v7, vcc
	;; [unrolled: 2-line block ×3, first 2 shown]
	s_mov_b64 s[66:67], 0
	s_cselect_b64 s[68:69], -1, 0
	s_branch .LBB4_7733
.LBB4_7732:                             ;   in Loop: Header=BB4_7733 Depth=3
	s_or_b64 exec, exec, s[30:31]
	v_lshlrev_b32_e32 v9, 16, v23
	v_lshlrev_b32_e32 v0, 8, v0
	v_perm_b32 v9, v22, v9, s82
	v_perm_b32 v0, v0, v52, s9
	v_or_b32_e32 v11, v9, v0
	v_and_b32_e32 v0, 0xff, v7
	v_lshlrev_b32_e32 v9, 8, v39
	v_lshlrev_b32_e32 v7, 24, v30
	;; [unrolled: 1-line block ×3, first 2 shown]
	v_perm_b32 v9, v9, v38, s9
	v_or3_b32 v10, v7, v0, v9
	v_and_b32_e32 v0, 0xff, v53
	v_lshlrev_b32_e32 v9, 8, v25
	v_lshlrev_b32_e32 v7, 24, v36
	;; [unrolled: 1-line block ×3, first 2 shown]
	v_perm_b32 v9, v9, v24, s9
	v_or3_b32 v12, v7, v0, v9
	v_lshlrev_b32_e32 v0, 8, v13
	v_lshlrev_b32_e32 v7, 16, v20
	v_perm_b32 v0, v0, v37, s9
	v_perm_b32 v7, v8, v7, s82
	v_or_b32_e32 v13, v7, v0
	v_accvgpr_read_b32 v0, a41
	v_add_co_u32_e32 v4, vcc, v4, v0
	v_accvgpr_read_b32 v7, a42
	v_addc_co_u32_e32 v5, vcc, v5, v7, vcc
	v_add_co_u32_e32 v16, vcc, v16, v0
	v_addc_co_u32_e32 v17, vcc, v17, v7, vcc
	global_store_dwordx4 v[18:19], v[10:13], off glc slc
	v_add_co_u32_e32 v18, vcc, v18, v0
	v_accvgpr_read_b32 v0, a28
	v_addc_co_u32_e32 v19, vcc, v19, v7, vcc
	v_sub_u32_e32 v29, v29, v0
	v_cmp_gt_i32_e32 vcc, 16, v29
	s_or_b64 s[66:67], vcc, s[66:67]
	v_sub_u32_e32 v27, v27, v46
	s_andn2_b64 exec, exec, s[66:67]
	s_cbranch_execz .LBB4_8501
.LBB4_7733:                             ;   Parent Loop BB4_47 Depth=1
                                        ;     Parent Loop BB4_3264 Depth=2
                                        ; =>    This Inner Loop Header: Depth=3
	global_load_dwordx4 v[12:15], v[4:5], off glc slc
	global_load_dwordx4 v[8:11], v[16:17], off glc slc
	s_and_b64 vcc, exec, s[68:69]
	s_waitcnt vmcnt(0)
	v_cmp_ne_u16_sdwa s[30:31], v12, v43 src0_sel:BYTE_0 src1_sel:DWORD
	s_cbranch_vccz .LBB4_7751
; %bb.7734:                             ;   in Loop: Header=BB4_7733 Depth=3
	v_mov_b32_e32 v7, 0
	v_mov_b32_e32 v0, 0
	s_and_saveexec_b64 s[70:71], s[30:31]
	s_cbranch_execz .LBB4_7742
; %bb.7735:                             ;   in Loop: Header=BB4_7733 Depth=3
	v_cmp_ne_u16_sdwa vcc, sext(v12), s94 src0_sel:BYTE_0 src1_sel:DWORD
	v_bfrev_b32_e32 v0, 1
	s_and_saveexec_b64 s[72:73], vcc
	s_cbranch_execz .LBB4_7741
; %bb.7736:                             ;   in Loop: Header=BB4_7733 Depth=3
	v_and_b32_e32 v0, 0x7c, v12
	v_and_b32_e32 v20, 3, v12
	v_cmp_ne_u32_e32 vcc, s95, v0
                                        ; implicit-def: $vgpr0
	s_and_saveexec_b64 s[74:75], vcc
	s_xor_b64 s[74:75], exec, s[74:75]
	s_cbranch_execz .LBB4_7738
; %bb.7737:                             ;   in Loop: Header=BB4_7733 Depth=3
	v_ffbh_u32_e32 v21, v20
	v_min_u32_e32 v21, 32, v21
	v_subrev_u32_e32 v22, 29, v21
	v_bfe_u32 v0, v12, 2, 5
	v_lshlrev_b64 v[22:23], v22, v[12:13]
	v_sub_u32_e32 v21, 30, v21
	v_and_b32_e32 v22, 3, v22
	v_cmp_eq_u32_e32 vcc, 0, v0
	v_cndmask_b32_e32 v0, v0, v21, vcc
	v_cndmask_b32_e32 v20, v20, v22, vcc
	v_bfrev_b32_e32 v22, 28
	v_lshlrev_b32_e32 v21, 24, v12
	v_lshl_add_u32 v0, v0, 23, v22
	v_and_or_b32 v0, v21, s96, v0
	v_lshl_or_b32 v0, v20, 21, v0
                                        ; implicit-def: $vgpr20
.LBB4_7738:                             ;   in Loop: Header=BB4_7733 Depth=3
	s_andn2_saveexec_b64 s[74:75], s[74:75]
; %bb.7739:                             ;   in Loop: Header=BB4_7733 Depth=3
	v_mov_b32_e32 v0, -1
	v_cmp_gt_i16_sdwa vcc, sext(v12), v0 src0_sel:BYTE_0 src1_sel:DWORD
	v_cndmask_b32_e32 v0, v6, v1, vcc
	v_cmp_eq_u32_e32 vcc, 0, v20
	v_mov_b32_e32 v20, 0x7f800001
	v_cndmask_b32_e32 v0, v20, v0, vcc
; %bb.7740:                             ;   in Loop: Header=BB4_7733 Depth=3
	s_or_b64 exec, exec, s[74:75]
.LBB4_7741:                             ;   in Loop: Header=BB4_7733 Depth=3
	s_or_b64 exec, exec, s[72:73]
.LBB4_7742:                             ;   in Loop: Header=BB4_7733 Depth=3
	s_or_b64 exec, exec, s[70:71]
	v_cmp_ne_u16_sdwa vcc, sext(v8), v43 src0_sel:BYTE_0 src1_sel:DWORD
	s_and_saveexec_b64 s[70:71], vcc
	s_cbranch_execz .LBB4_7750
; %bb.7743:                             ;   in Loop: Header=BB4_7733 Depth=3
	v_cmp_ne_u16_sdwa vcc, sext(v8), s94 src0_sel:BYTE_0 src1_sel:DWORD
	v_bfrev_b32_e32 v7, 1
	s_and_saveexec_b64 s[72:73], vcc
	s_cbranch_execz .LBB4_7749
; %bb.7744:                             ;   in Loop: Header=BB4_7733 Depth=3
	v_and_b32_e32 v7, 0x7c, v8
	v_and_b32_e32 v20, 3, v8
	v_cmp_ne_u32_e32 vcc, s95, v7
                                        ; implicit-def: $vgpr7
	s_and_saveexec_b64 s[74:75], vcc
	s_xor_b64 s[74:75], exec, s[74:75]
	s_cbranch_execz .LBB4_7746
; %bb.7745:                             ;   in Loop: Header=BB4_7733 Depth=3
	v_ffbh_u32_e32 v21, v20
	v_min_u32_e32 v21, 32, v21
	v_subrev_u32_e32 v22, 29, v21
	v_bfe_u32 v7, v8, 2, 5
	v_lshlrev_b64 v[22:23], v22, v[8:9]
	v_sub_u32_e32 v21, 30, v21
	v_and_b32_e32 v22, 3, v22
	v_cmp_eq_u32_e32 vcc, 0, v7
	v_cndmask_b32_e32 v7, v7, v21, vcc
	v_cndmask_b32_e32 v20, v20, v22, vcc
	v_bfrev_b32_e32 v22, 28
	v_lshlrev_b32_e32 v21, 24, v8
	v_lshl_add_u32 v7, v7, 23, v22
	v_and_or_b32 v7, v21, s96, v7
	v_lshl_or_b32 v7, v20, 21, v7
                                        ; implicit-def: $vgpr20
.LBB4_7746:                             ;   in Loop: Header=BB4_7733 Depth=3
	s_andn2_saveexec_b64 s[74:75], s[74:75]
; %bb.7747:                             ;   in Loop: Header=BB4_7733 Depth=3
	v_mov_b32_e32 v7, -1
	v_cmp_gt_i16_sdwa vcc, sext(v8), v7 src0_sel:BYTE_0 src1_sel:DWORD
	v_cndmask_b32_e32 v7, v6, v1, vcc
	v_cmp_eq_u32_e32 vcc, 0, v20
	v_mov_b32_e32 v20, 0x7f800001
	v_cndmask_b32_e32 v7, v20, v7, vcc
; %bb.7748:                             ;   in Loop: Header=BB4_7733 Depth=3
	s_or_b64 exec, exec, s[74:75]
.LBB4_7749:                             ;   in Loop: Header=BB4_7733 Depth=3
	s_or_b64 exec, exec, s[72:73]
.LBB4_7750:                             ;   in Loop: Header=BB4_7733 Depth=3
	s_or_b64 exec, exec, s[70:71]
	v_max_f32_e32 v7, v7, v7
	v_max_f32_e32 v0, v0, v0
	;; [unrolled: 1-line block ×3, first 2 shown]
	s_branch .LBB4_7769
.LBB4_7751:                             ;   in Loop: Header=BB4_7733 Depth=3
                                        ; implicit-def: $vgpr7
	s_cbranch_execz .LBB4_7769
; %bb.7752:                             ;   in Loop: Header=BB4_7733 Depth=3
	v_mov_b32_e32 v7, 0
	v_mov_b32_e32 v0, 0
	s_and_saveexec_b64 s[70:71], s[30:31]
	s_cbranch_execz .LBB4_7760
; %bb.7753:                             ;   in Loop: Header=BB4_7733 Depth=3
	v_cmp_ne_u16_sdwa vcc, sext(v12), s94 src0_sel:BYTE_0 src1_sel:DWORD
	v_bfrev_b32_e32 v0, 1
	s_and_saveexec_b64 s[30:31], vcc
	s_cbranch_execz .LBB4_7759
; %bb.7754:                             ;   in Loop: Header=BB4_7733 Depth=3
	v_and_b32_e32 v0, 0x7c, v12
	v_and_b32_e32 v20, 3, v12
	v_cmp_ne_u32_e32 vcc, s95, v0
                                        ; implicit-def: $vgpr0
	s_and_saveexec_b64 s[72:73], vcc
	s_xor_b64 s[72:73], exec, s[72:73]
	s_cbranch_execz .LBB4_7756
; %bb.7755:                             ;   in Loop: Header=BB4_7733 Depth=3
	v_ffbh_u32_e32 v21, v20
	v_min_u32_e32 v21, 32, v21
	v_subrev_u32_e32 v22, 29, v21
	v_bfe_u32 v0, v12, 2, 5
	v_lshlrev_b64 v[22:23], v22, v[12:13]
	v_sub_u32_e32 v21, 30, v21
	v_and_b32_e32 v22, 3, v22
	v_cmp_eq_u32_e32 vcc, 0, v0
	v_cndmask_b32_e32 v0, v0, v21, vcc
	v_cndmask_b32_e32 v20, v20, v22, vcc
	v_bfrev_b32_e32 v22, 28
	v_lshlrev_b32_e32 v21, 24, v12
	v_lshl_add_u32 v0, v0, 23, v22
	v_and_or_b32 v0, v21, s96, v0
	v_lshl_or_b32 v0, v20, 21, v0
                                        ; implicit-def: $vgpr20
.LBB4_7756:                             ;   in Loop: Header=BB4_7733 Depth=3
	s_andn2_saveexec_b64 s[72:73], s[72:73]
; %bb.7757:                             ;   in Loop: Header=BB4_7733 Depth=3
	v_mov_b32_e32 v0, -1
	v_cmp_gt_i16_sdwa vcc, sext(v12), v0 src0_sel:BYTE_0 src1_sel:DWORD
	v_cndmask_b32_e32 v0, v6, v1, vcc
	v_cmp_eq_u32_e32 vcc, 0, v20
	v_mov_b32_e32 v20, 0x7f800001
	v_cndmask_b32_e32 v0, v20, v0, vcc
; %bb.7758:                             ;   in Loop: Header=BB4_7733 Depth=3
	s_or_b64 exec, exec, s[72:73]
.LBB4_7759:                             ;   in Loop: Header=BB4_7733 Depth=3
	s_or_b64 exec, exec, s[30:31]
.LBB4_7760:                             ;   in Loop: Header=BB4_7733 Depth=3
	s_or_b64 exec, exec, s[70:71]
	v_cmp_ne_u16_sdwa vcc, sext(v8), v43 src0_sel:BYTE_0 src1_sel:DWORD
	s_and_saveexec_b64 s[30:31], vcc
	s_cbranch_execz .LBB4_7768
; %bb.7761:                             ;   in Loop: Header=BB4_7733 Depth=3
	v_cmp_ne_u16_sdwa vcc, sext(v8), s94 src0_sel:BYTE_0 src1_sel:DWORD
	v_bfrev_b32_e32 v7, 1
	s_and_saveexec_b64 s[70:71], vcc
	s_cbranch_execz .LBB4_7767
; %bb.7762:                             ;   in Loop: Header=BB4_7733 Depth=3
	v_and_b32_e32 v7, 0x7c, v8
	v_and_b32_e32 v20, 3, v8
	v_cmp_ne_u32_e32 vcc, s95, v7
                                        ; implicit-def: $vgpr7
	s_and_saveexec_b64 s[72:73], vcc
	s_xor_b64 s[72:73], exec, s[72:73]
	s_cbranch_execz .LBB4_7764
; %bb.7763:                             ;   in Loop: Header=BB4_7733 Depth=3
	v_ffbh_u32_e32 v21, v20
	v_min_u32_e32 v21, 32, v21
	v_subrev_u32_e32 v22, 29, v21
	v_bfe_u32 v7, v8, 2, 5
	v_lshlrev_b64 v[22:23], v22, v[8:9]
	v_sub_u32_e32 v21, 30, v21
	v_and_b32_e32 v22, 3, v22
	v_cmp_eq_u32_e32 vcc, 0, v7
	v_cndmask_b32_e32 v7, v7, v21, vcc
	v_cndmask_b32_e32 v20, v20, v22, vcc
	v_bfrev_b32_e32 v22, 28
	v_lshlrev_b32_e32 v21, 24, v8
	v_lshl_add_u32 v7, v7, 23, v22
	v_and_or_b32 v7, v21, s96, v7
	v_lshl_or_b32 v7, v20, 21, v7
                                        ; implicit-def: $vgpr20
.LBB4_7764:                             ;   in Loop: Header=BB4_7733 Depth=3
	s_andn2_saveexec_b64 s[72:73], s[72:73]
; %bb.7765:                             ;   in Loop: Header=BB4_7733 Depth=3
	v_mov_b32_e32 v7, -1
	v_cmp_gt_i16_sdwa vcc, sext(v8), v7 src0_sel:BYTE_0 src1_sel:DWORD
	v_cndmask_b32_e32 v7, v6, v1, vcc
	v_cmp_eq_u32_e32 vcc, 0, v20
	v_mov_b32_e32 v20, 0x7f800001
	v_cndmask_b32_e32 v7, v20, v7, vcc
; %bb.7766:                             ;   in Loop: Header=BB4_7733 Depth=3
	s_or_b64 exec, exec, s[72:73]
.LBB4_7767:                             ;   in Loop: Header=BB4_7733 Depth=3
	s_or_b64 exec, exec, s[70:71]
.LBB4_7768:                             ;   in Loop: Header=BB4_7733 Depth=3
	s_or_b64 exec, exec, s[30:31]
	v_max_f32_e32 v7, v7, v7
	v_max_f32_e32 v0, v0, v0
	v_min_f32_e32 v7, v0, v7
.LBB4_7769:                             ;   in Loop: Header=BB4_7733 Depth=3
	v_and_b32_sdwa v0, v7, s97 dst_sel:DWORD dst_unused:UNUSED_PAD src0_sel:BYTE_3 src1_sel:DWORD
	v_and_b32_e32 v20, 0x7f800000, v7
	v_mov_b32_e32 v21, v43
	v_and_b32_e32 v42, 0x7fffff, v7
	v_or_b32_e32 v38, 0x7b, v0
	v_cmp_ne_u64_e32 vcc, s[52:53], v[20:21]
	s_and_saveexec_b64 s[30:31], vcc
	s_xor_b64 s[70:71], exec, s[30:31]
	s_cbranch_execz .LBB4_7779
; %bb.7770:                             ;   in Loop: Header=BB4_7733 Depth=3
	v_and_b32_e32 v20, 0x7fffffff, v7
	v_mov_b32_e32 v21, v43
	v_cmp_gt_u64_e32 vcc, s[54:55], v[20:21]
	s_and_saveexec_b64 s[72:73], vcc
	s_cbranch_execz .LBB4_7778
; %bb.7771:                             ;   in Loop: Header=BB4_7733 Depth=3
	v_cmp_ne_u32_e32 vcc, 0, v7
	v_mov_b32_e32 v38, 0
	s_and_saveexec_b64 s[74:75], vcc
	s_cbranch_execz .LBB4_7777
; %bb.7772:                             ;   in Loop: Header=BB4_7733 Depth=3
	v_bfe_u32 v7, v7, 23, 8
	v_cmp_eq_u32_e32 vcc, 0, v7
	v_add_u32_e32 v20, 0xffffff81, v7
	v_cmp_gt_u32_e64 s[30:31], s38, v7
	v_sub_u32_e32 v7, 0x71, v7
	v_mov_b32_e32 v22, 0xffffff82
	v_cndmask_b32_e64 v7, 0, v7, s[30:31]
	v_cndmask_b32_e32 v24, v20, v22, vcc
	v_mov_b32_e32 v20, 0x70
	v_cndmask_b32_e32 v7, v7, v20, vcc
	v_or_b32_e32 v21, 0x800000, v42
	v_add_u32_e32 v20, 21, v7
	v_cndmask_b32_e32 v42, v21, v42, vcc
	v_lshlrev_b64 v[20:21], v20, -1
	v_not_b32_e32 v21, v21
	v_not_b32_e32 v20, v20
	v_add_u32_e32 v22, 20, v7
	v_and_b32_e32 v21, 0, v21
	v_and_b32_e32 v20, v42, v20
	v_lshlrev_b64 v[22:23], v22, 1
	v_cmp_eq_u64_e32 vcc, v[20:21], v[22:23]
	v_lshrrev_b64 v[20:21], v7, v[42:43]
	v_lshrrev_b32_e32 v22, 23, v20
	v_add3_u32 v23, v7, v24, v22
	v_bfe_u32 v7, v20, 21, 1
	v_add_u32_e32 v7, -1, v7
	v_cndmask_b32_e32 v7, 0, v7, vcc
	v_add_u32_e32 v7, v7, v20
	v_and_b32_e32 v7, 0x1fffff, v7
	v_add_co_u32_e32 v20, vcc, v7, v20
	v_add_u32_e32 v22, 14, v23
	v_addc_co_u32_e32 v21, vcc, 0, v21, vcc
	v_cmp_ne_u32_e32 vcc, 0, v22
                                        ; implicit-def: $vgpr7
	s_and_saveexec_b64 s[30:31], vcc
	s_xor_b64 s[30:31], exec, s[30:31]
; %bb.7773:                             ;   in Loop: Header=BB4_7733 Depth=3
	v_add_u32_e32 v7, 15, v23
	v_cmp_lt_u64_e32 vcc, s[56:57], v[20:21]
	v_cndmask_b32_e32 v7, v22, v7, vcc
	v_cndmask_b32_e64 v22, 0, 1, vcc
	v_lshrrev_b64 v[20:21], v22, v[20:21]
; %bb.7774:                             ;   in Loop: Header=BB4_7733 Depth=3
	s_andn2_saveexec_b64 vcc, s[30:31]
; %bb.7775:                             ;   in Loop: Header=BB4_7733 Depth=3
	v_bfe_u32 v7, v20, 23, 1
; %bb.7776:                             ;   in Loop: Header=BB4_7733 Depth=3
	s_or_b64 exec, exec, vcc
	v_lshrrev_b64 v[20:21], 21, v[20:21]
	v_cmp_gt_i32_e32 vcc, 32, v7
	v_cndmask_b32_e32 v21, 0, v21, vcc
	v_cndmask_b32_e32 v20, 3, v20, vcc
	v_cmp_eq_u32_e32 vcc, 0, v7
	v_min_i32_e32 v7, 31, v7
	v_cmp_eq_u64_e64 s[30:31], 0, v[20:21]
	v_lshlrev_b32_e32 v7, 2, v7
	v_and_or_b32 v7, v20, 3, v7
	s_and_b64 vcc, vcc, s[30:31]
	v_cndmask_b32_e64 v7, v7, 0, vcc
	v_or_b32_e32 v38, v7, v0
.LBB4_7777:                             ;   in Loop: Header=BB4_7733 Depth=3
	s_or_b64 exec, exec, s[74:75]
.LBB4_7778:                             ;   in Loop: Header=BB4_7733 Depth=3
	s_or_b64 exec, exec, s[72:73]
                                        ; implicit-def: $vgpr7
.LBB4_7779:                             ;   in Loop: Header=BB4_7733 Depth=3
	s_andn2_saveexec_b64 s[30:31], s[70:71]
; %bb.7780:                             ;   in Loop: Header=BB4_7733 Depth=3
	v_or_b32_sdwa v0, v7, s39 dst_sel:DWORD dst_unused:UNUSED_PAD src0_sel:BYTE_3 src1_sel:DWORD
	v_cmp_eq_u64_e32 vcc, 0, v[42:43]
	v_cndmask_b32_e32 v38, v0, v38, vcc
; %bb.7781:                             ;   in Loop: Header=BB4_7733 Depth=3
	s_or_b64 exec, exec, s[30:31]
	v_lshrrev_b16_e32 v42, 8, v12
	v_lshrrev_b16_e32 v20, 8, v8
	v_cmp_ne_u16_e64 s[30:31], 0, v42
	s_and_b64 vcc, exec, s[68:69]
	s_cbranch_vccz .LBB4_7799
; %bb.7782:                             ;   in Loop: Header=BB4_7733 Depth=3
	v_mov_b32_e32 v7, 0
	v_mov_b32_e32 v0, 0
	s_and_saveexec_b64 s[70:71], s[30:31]
	s_cbranch_execz .LBB4_7790
; %bb.7783:                             ;   in Loop: Header=BB4_7733 Depth=3
	v_cmp_ne_u16_e32 vcc, s97, v42
	v_bfrev_b32_e32 v0, 1
	s_and_saveexec_b64 s[72:73], vcc
	s_cbranch_execz .LBB4_7789
; %bb.7784:                             ;   in Loop: Header=BB4_7733 Depth=3
	v_and_b32_e32 v0, 0x7c, v42
	v_and_b32_e32 v21, 3, v42
	v_cmp_ne_u32_e32 vcc, s95, v0
                                        ; implicit-def: $vgpr0
	s_and_saveexec_b64 s[74:75], vcc
	s_xor_b64 s[74:75], exec, s[74:75]
	s_cbranch_execz .LBB4_7786
; %bb.7785:                             ;   in Loop: Header=BB4_7733 Depth=3
	v_ffbh_u32_e32 v22, v21
	v_min_u32_e32 v24, 32, v22
	v_subrev_u32_e32 v22, 29, v24
	v_bfe_u32 v0, v42, 2, 5
	v_lshlrev_b64 v[22:23], v22, v[42:43]
	v_sub_u32_e32 v23, 30, v24
	v_cmp_eq_u32_e32 vcc, 0, v0
	v_and_b32_e32 v22, 3, v22
	v_cndmask_b32_e32 v0, v0, v23, vcc
	v_bfrev_b32_e32 v23, 28
	v_cndmask_b32_e32 v21, v21, v22, vcc
	v_lshlrev_b32_e32 v22, 16, v12
	v_lshl_add_u32 v0, v0, 23, v23
	v_and_or_b32 v0, v22, s96, v0
	v_lshl_or_b32 v0, v21, 21, v0
                                        ; implicit-def: $vgpr21
.LBB4_7786:                             ;   in Loop: Header=BB4_7733 Depth=3
	s_andn2_saveexec_b64 s[74:75], s[74:75]
; %bb.7787:                             ;   in Loop: Header=BB4_7733 Depth=3
	v_cmp_lt_i16_e32 vcc, -1, v12
	v_cndmask_b32_e32 v0, v6, v1, vcc
	v_cmp_eq_u32_e32 vcc, 0, v21
	v_mov_b32_e32 v21, 0x7f800001
	v_cndmask_b32_e32 v0, v21, v0, vcc
; %bb.7788:                             ;   in Loop: Header=BB4_7733 Depth=3
	s_or_b64 exec, exec, s[74:75]
.LBB4_7789:                             ;   in Loop: Header=BB4_7733 Depth=3
	s_or_b64 exec, exec, s[72:73]
.LBB4_7790:                             ;   in Loop: Header=BB4_7733 Depth=3
	s_or_b64 exec, exec, s[70:71]
	v_cmp_ne_u16_e32 vcc, 0, v20
	s_and_saveexec_b64 s[70:71], vcc
	s_cbranch_execz .LBB4_7798
; %bb.7791:                             ;   in Loop: Header=BB4_7733 Depth=3
	v_cmp_ne_u16_e32 vcc, s97, v20
	v_bfrev_b32_e32 v7, 1
	s_and_saveexec_b64 s[72:73], vcc
	s_cbranch_execz .LBB4_7797
; %bb.7792:                             ;   in Loop: Header=BB4_7733 Depth=3
	v_and_b32_e32 v7, 0x7c, v20
	v_and_b32_e32 v22, 3, v20
	v_cmp_ne_u32_e32 vcc, s95, v7
                                        ; implicit-def: $vgpr7
	s_and_saveexec_b64 s[74:75], vcc
	s_xor_b64 s[74:75], exec, s[74:75]
	s_cbranch_execz .LBB4_7794
; %bb.7793:                             ;   in Loop: Header=BB4_7733 Depth=3
	v_ffbh_u32_e32 v23, v22
	v_min_u32_e32 v23, 32, v23
	v_mov_b32_e32 v21, v43
	v_subrev_u32_e32 v24, 29, v23
	v_bfe_u32 v7, v20, 2, 5
	v_lshlrev_b64 v[24:25], v24, v[20:21]
	v_sub_u32_e32 v21, 30, v23
	v_and_b32_e32 v23, 3, v24
	v_cmp_eq_u32_e32 vcc, 0, v7
	v_cndmask_b32_e32 v7, v7, v21, vcc
	v_cndmask_b32_e32 v21, v22, v23, vcc
	v_bfrev_b32_e32 v23, 28
	v_lshlrev_b32_e32 v22, 16, v8
	v_lshl_add_u32 v7, v7, 23, v23
	v_and_or_b32 v7, v22, s96, v7
	v_lshl_or_b32 v7, v21, 21, v7
                                        ; implicit-def: $vgpr22
.LBB4_7794:                             ;   in Loop: Header=BB4_7733 Depth=3
	s_andn2_saveexec_b64 s[74:75], s[74:75]
; %bb.7795:                             ;   in Loop: Header=BB4_7733 Depth=3
	v_cmp_lt_i16_e32 vcc, -1, v8
	v_cndmask_b32_e32 v7, v6, v1, vcc
	v_cmp_eq_u32_e32 vcc, 0, v22
	v_mov_b32_e32 v21, 0x7f800001
	v_cndmask_b32_e32 v7, v21, v7, vcc
; %bb.7796:                             ;   in Loop: Header=BB4_7733 Depth=3
	s_or_b64 exec, exec, s[74:75]
.LBB4_7797:                             ;   in Loop: Header=BB4_7733 Depth=3
	s_or_b64 exec, exec, s[72:73]
.LBB4_7798:                             ;   in Loop: Header=BB4_7733 Depth=3
	s_or_b64 exec, exec, s[70:71]
	v_max_f32_e32 v7, v7, v7
	v_max_f32_e32 v0, v0, v0
	;; [unrolled: 1-line block ×3, first 2 shown]
	s_branch .LBB4_7817
.LBB4_7799:                             ;   in Loop: Header=BB4_7733 Depth=3
                                        ; implicit-def: $vgpr7
	s_cbranch_execz .LBB4_7817
; %bb.7800:                             ;   in Loop: Header=BB4_7733 Depth=3
	v_mov_b32_e32 v7, 0
	v_mov_b32_e32 v0, 0
	s_and_saveexec_b64 s[70:71], s[30:31]
	s_cbranch_execz .LBB4_7808
; %bb.7801:                             ;   in Loop: Header=BB4_7733 Depth=3
	v_cmp_ne_u16_e32 vcc, s97, v42
	v_bfrev_b32_e32 v0, 1
	s_and_saveexec_b64 s[30:31], vcc
	s_cbranch_execz .LBB4_7807
; %bb.7802:                             ;   in Loop: Header=BB4_7733 Depth=3
	v_and_b32_e32 v0, 0x7c, v42
	v_and_b32_e32 v21, 3, v42
	v_cmp_ne_u32_e32 vcc, s95, v0
                                        ; implicit-def: $vgpr0
	s_and_saveexec_b64 s[72:73], vcc
	s_xor_b64 s[72:73], exec, s[72:73]
	s_cbranch_execz .LBB4_7804
; %bb.7803:                             ;   in Loop: Header=BB4_7733 Depth=3
	v_ffbh_u32_e32 v22, v21
	v_min_u32_e32 v24, 32, v22
	v_subrev_u32_e32 v22, 29, v24
	v_bfe_u32 v0, v42, 2, 5
	v_lshlrev_b64 v[22:23], v22, v[42:43]
	v_sub_u32_e32 v23, 30, v24
	v_cmp_eq_u32_e32 vcc, 0, v0
	v_and_b32_e32 v22, 3, v22
	v_cndmask_b32_e32 v0, v0, v23, vcc
	v_bfrev_b32_e32 v23, 28
	v_cndmask_b32_e32 v21, v21, v22, vcc
	v_lshlrev_b32_e32 v22, 16, v12
	v_lshl_add_u32 v0, v0, 23, v23
	v_and_or_b32 v0, v22, s96, v0
	v_lshl_or_b32 v0, v21, 21, v0
                                        ; implicit-def: $vgpr21
.LBB4_7804:                             ;   in Loop: Header=BB4_7733 Depth=3
	s_andn2_saveexec_b64 s[72:73], s[72:73]
; %bb.7805:                             ;   in Loop: Header=BB4_7733 Depth=3
	v_cmp_lt_i16_e32 vcc, -1, v12
	v_cndmask_b32_e32 v0, v6, v1, vcc
	v_cmp_eq_u32_e32 vcc, 0, v21
	v_mov_b32_e32 v21, 0x7f800001
	v_cndmask_b32_e32 v0, v21, v0, vcc
; %bb.7806:                             ;   in Loop: Header=BB4_7733 Depth=3
	s_or_b64 exec, exec, s[72:73]
.LBB4_7807:                             ;   in Loop: Header=BB4_7733 Depth=3
	s_or_b64 exec, exec, s[30:31]
.LBB4_7808:                             ;   in Loop: Header=BB4_7733 Depth=3
	s_or_b64 exec, exec, s[70:71]
	v_cmp_ne_u16_e32 vcc, 0, v20
	s_and_saveexec_b64 s[30:31], vcc
	s_cbranch_execz .LBB4_7816
; %bb.7809:                             ;   in Loop: Header=BB4_7733 Depth=3
	v_cmp_ne_u16_e32 vcc, s97, v20
	v_bfrev_b32_e32 v7, 1
	s_and_saveexec_b64 s[70:71], vcc
	s_cbranch_execz .LBB4_7815
; %bb.7810:                             ;   in Loop: Header=BB4_7733 Depth=3
	v_and_b32_e32 v7, 0x7c, v20
	v_and_b32_e32 v22, 3, v20
	v_cmp_ne_u32_e32 vcc, s95, v7
                                        ; implicit-def: $vgpr7
	s_and_saveexec_b64 s[72:73], vcc
	s_xor_b64 s[72:73], exec, s[72:73]
	s_cbranch_execz .LBB4_7812
; %bb.7811:                             ;   in Loop: Header=BB4_7733 Depth=3
	v_ffbh_u32_e32 v23, v22
	v_min_u32_e32 v23, 32, v23
	v_mov_b32_e32 v21, v43
	v_subrev_u32_e32 v24, 29, v23
	v_bfe_u32 v7, v20, 2, 5
	v_lshlrev_b64 v[20:21], v24, v[20:21]
	v_sub_u32_e32 v21, 30, v23
	v_and_b32_e32 v20, 3, v20
	v_cmp_eq_u32_e32 vcc, 0, v7
	v_cndmask_b32_e32 v7, v7, v21, vcc
	v_cndmask_b32_e32 v20, v22, v20, vcc
	v_bfrev_b32_e32 v22, 28
	v_lshlrev_b32_e32 v21, 16, v8
	v_lshl_add_u32 v7, v7, 23, v22
	v_and_or_b32 v7, v21, s96, v7
	v_lshl_or_b32 v7, v20, 21, v7
                                        ; implicit-def: $vgpr22
.LBB4_7812:                             ;   in Loop: Header=BB4_7733 Depth=3
	s_andn2_saveexec_b64 s[72:73], s[72:73]
; %bb.7813:                             ;   in Loop: Header=BB4_7733 Depth=3
	v_cmp_lt_i16_e32 vcc, -1, v8
	v_cndmask_b32_e32 v7, v6, v1, vcc
	v_cmp_eq_u32_e32 vcc, 0, v22
	v_mov_b32_e32 v20, 0x7f800001
	v_cndmask_b32_e32 v7, v20, v7, vcc
; %bb.7814:                             ;   in Loop: Header=BB4_7733 Depth=3
	s_or_b64 exec, exec, s[72:73]
.LBB4_7815:                             ;   in Loop: Header=BB4_7733 Depth=3
	s_or_b64 exec, exec, s[70:71]
.LBB4_7816:                             ;   in Loop: Header=BB4_7733 Depth=3
	s_or_b64 exec, exec, s[30:31]
	v_max_f32_e32 v7, v7, v7
	v_max_f32_e32 v0, v0, v0
	v_min_f32_e32 v7, v0, v7
.LBB4_7817:                             ;   in Loop: Header=BB4_7733 Depth=3
	v_and_b32_sdwa v0, v7, s97 dst_sel:DWORD dst_unused:UNUSED_PAD src0_sel:BYTE_3 src1_sel:DWORD
	v_and_b32_e32 v20, 0x7f800000, v7
	v_mov_b32_e32 v21, v43
	v_and_b32_e32 v42, 0x7fffff, v7
	v_or_b32_e32 v39, 0x7b, v0
	v_cmp_ne_u64_e32 vcc, s[52:53], v[20:21]
	s_and_saveexec_b64 s[30:31], vcc
	s_xor_b64 s[70:71], exec, s[30:31]
	s_cbranch_execz .LBB4_7827
; %bb.7818:                             ;   in Loop: Header=BB4_7733 Depth=3
	v_and_b32_e32 v20, 0x7fffffff, v7
	v_mov_b32_e32 v21, v43
	v_cmp_gt_u64_e32 vcc, s[54:55], v[20:21]
	s_and_saveexec_b64 s[72:73], vcc
	s_cbranch_execz .LBB4_7826
; %bb.7819:                             ;   in Loop: Header=BB4_7733 Depth=3
	v_cmp_ne_u32_e32 vcc, 0, v7
	v_mov_b32_e32 v39, 0
	s_and_saveexec_b64 s[74:75], vcc
	s_cbranch_execz .LBB4_7825
; %bb.7820:                             ;   in Loop: Header=BB4_7733 Depth=3
	v_bfe_u32 v7, v7, 23, 8
	v_cmp_eq_u32_e32 vcc, 0, v7
	v_add_u32_e32 v20, 0xffffff81, v7
	v_cmp_gt_u32_e64 s[30:31], s38, v7
	v_sub_u32_e32 v7, 0x71, v7
	v_mov_b32_e32 v22, 0xffffff82
	v_cndmask_b32_e64 v7, 0, v7, s[30:31]
	v_cndmask_b32_e32 v24, v20, v22, vcc
	v_mov_b32_e32 v20, 0x70
	v_cndmask_b32_e32 v7, v7, v20, vcc
	v_or_b32_e32 v21, 0x800000, v42
	v_add_u32_e32 v20, 21, v7
	v_cndmask_b32_e32 v42, v21, v42, vcc
	v_lshlrev_b64 v[20:21], v20, -1
	v_not_b32_e32 v21, v21
	v_not_b32_e32 v20, v20
	v_add_u32_e32 v22, 20, v7
	v_and_b32_e32 v21, 0, v21
	v_and_b32_e32 v20, v42, v20
	v_lshlrev_b64 v[22:23], v22, 1
	v_cmp_eq_u64_e32 vcc, v[20:21], v[22:23]
	v_lshrrev_b64 v[20:21], v7, v[42:43]
	v_lshrrev_b32_e32 v22, 23, v20
	v_add3_u32 v23, v7, v24, v22
	v_bfe_u32 v7, v20, 21, 1
	v_add_u32_e32 v7, -1, v7
	v_cndmask_b32_e32 v7, 0, v7, vcc
	v_add_u32_e32 v7, v7, v20
	v_and_b32_e32 v7, 0x1fffff, v7
	v_add_co_u32_e32 v20, vcc, v7, v20
	v_add_u32_e32 v22, 14, v23
	v_addc_co_u32_e32 v21, vcc, 0, v21, vcc
	v_cmp_ne_u32_e32 vcc, 0, v22
                                        ; implicit-def: $vgpr7
	s_and_saveexec_b64 s[30:31], vcc
	s_xor_b64 s[30:31], exec, s[30:31]
; %bb.7821:                             ;   in Loop: Header=BB4_7733 Depth=3
	v_add_u32_e32 v7, 15, v23
	v_cmp_lt_u64_e32 vcc, s[56:57], v[20:21]
	v_cndmask_b32_e32 v7, v22, v7, vcc
	v_cndmask_b32_e64 v22, 0, 1, vcc
	v_lshrrev_b64 v[20:21], v22, v[20:21]
; %bb.7822:                             ;   in Loop: Header=BB4_7733 Depth=3
	s_andn2_saveexec_b64 vcc, s[30:31]
; %bb.7823:                             ;   in Loop: Header=BB4_7733 Depth=3
	v_bfe_u32 v7, v20, 23, 1
; %bb.7824:                             ;   in Loop: Header=BB4_7733 Depth=3
	s_or_b64 exec, exec, vcc
	v_lshrrev_b64 v[20:21], 21, v[20:21]
	v_cmp_gt_i32_e32 vcc, 32, v7
	v_cndmask_b32_e32 v21, 0, v21, vcc
	v_cndmask_b32_e32 v20, 3, v20, vcc
	v_cmp_eq_u32_e32 vcc, 0, v7
	v_min_i32_e32 v7, 31, v7
	v_cmp_eq_u64_e64 s[30:31], 0, v[20:21]
	v_lshlrev_b32_e32 v7, 2, v7
	v_and_or_b32 v7, v20, 3, v7
	s_and_b64 vcc, vcc, s[30:31]
	v_cndmask_b32_e64 v7, v7, 0, vcc
	v_or_b32_e32 v39, v7, v0
.LBB4_7825:                             ;   in Loop: Header=BB4_7733 Depth=3
	s_or_b64 exec, exec, s[74:75]
.LBB4_7826:                             ;   in Loop: Header=BB4_7733 Depth=3
	s_or_b64 exec, exec, s[72:73]
                                        ; implicit-def: $vgpr7
.LBB4_7827:                             ;   in Loop: Header=BB4_7733 Depth=3
	s_andn2_saveexec_b64 s[30:31], s[70:71]
; %bb.7828:                             ;   in Loop: Header=BB4_7733 Depth=3
	v_or_b32_sdwa v0, v7, s39 dst_sel:DWORD dst_unused:UNUSED_PAD src0_sel:BYTE_3 src1_sel:DWORD
	v_cmp_eq_u64_e32 vcc, 0, v[42:43]
	v_cndmask_b32_e32 v39, v0, v39, vcc
; %bb.7829:                             ;   in Loop: Header=BB4_7733 Depth=3
	s_or_b64 exec, exec, s[30:31]
	v_lshrrev_b32_e32 v22, 16, v12
	v_lshrrev_b32_e32 v20, 16, v8
	v_cmp_ne_u16_sdwa s[30:31], v22, v43 src0_sel:BYTE_0 src1_sel:DWORD
	s_and_b64 vcc, exec, s[68:69]
	s_cbranch_vccz .LBB4_7847
; %bb.7830:                             ;   in Loop: Header=BB4_7733 Depth=3
	v_mov_b32_e32 v7, 0
	v_mov_b32_e32 v0, 0
	s_and_saveexec_b64 s[70:71], s[30:31]
	s_cbranch_execz .LBB4_7838
; %bb.7831:                             ;   in Loop: Header=BB4_7733 Depth=3
	v_cmp_ne_u16_sdwa vcc, v22, s97 src0_sel:BYTE_0 src1_sel:DWORD
	v_bfrev_b32_e32 v0, 1
	s_and_saveexec_b64 s[72:73], vcc
	s_cbranch_execz .LBB4_7837
; %bb.7832:                             ;   in Loop: Header=BB4_7733 Depth=3
	v_and_b32_e32 v0, 0x7c0000, v12
	v_bfe_u32 v21, v12, 16, 2
	v_cmp_ne_u32_e32 vcc, s36, v0
                                        ; implicit-def: $vgpr0
	s_and_saveexec_b64 s[74:75], vcc
	s_xor_b64 s[74:75], exec, s[74:75]
	s_cbranch_execz .LBB4_7834
; %bb.7833:                             ;   in Loop: Header=BB4_7733 Depth=3
	v_ffbh_u32_e32 v23, v21
	v_min_u32_e32 v23, 32, v23
	v_subrev_u32_e32 v24, 29, v23
	v_bfe_u32 v0, v12, 18, 5
	v_lshlrev_b64 v[24:25], v24, v[22:23]
	v_sub_u32_e32 v23, 30, v23
	v_and_b32_e32 v24, 3, v24
	v_cmp_eq_u32_e32 vcc, 0, v0
	v_cndmask_b32_e32 v0, v0, v23, vcc
	v_cndmask_b32_e32 v21, v21, v24, vcc
	v_bfrev_b32_e32 v24, 28
	v_lshlrev_b32_e32 v23, 24, v22
	v_lshl_add_u32 v0, v0, 23, v24
	v_and_or_b32 v0, v23, s96, v0
	v_lshl_or_b32 v0, v21, 21, v0
                                        ; implicit-def: $vgpr21
.LBB4_7834:                             ;   in Loop: Header=BB4_7733 Depth=3
	s_andn2_saveexec_b64 s[74:75], s[74:75]
; %bb.7835:                             ;   in Loop: Header=BB4_7733 Depth=3
	v_mov_b32_e32 v0, -1
	v_cmp_gt_i16_sdwa vcc, sext(v22), v0 src0_sel:BYTE_0 src1_sel:DWORD
	v_cndmask_b32_e32 v0, v6, v1, vcc
	v_cmp_eq_u32_e32 vcc, 0, v21
	v_mov_b32_e32 v21, 0x7f800001
	v_cndmask_b32_e32 v0, v21, v0, vcc
; %bb.7836:                             ;   in Loop: Header=BB4_7733 Depth=3
	s_or_b64 exec, exec, s[74:75]
.LBB4_7837:                             ;   in Loop: Header=BB4_7733 Depth=3
	s_or_b64 exec, exec, s[72:73]
.LBB4_7838:                             ;   in Loop: Header=BB4_7733 Depth=3
	s_or_b64 exec, exec, s[70:71]
	v_cmp_ne_u16_sdwa vcc, v20, v43 src0_sel:BYTE_0 src1_sel:DWORD
	s_and_saveexec_b64 s[70:71], vcc
	s_cbranch_execz .LBB4_7846
; %bb.7839:                             ;   in Loop: Header=BB4_7733 Depth=3
	v_cmp_ne_u16_sdwa vcc, v20, s97 src0_sel:BYTE_0 src1_sel:DWORD
	v_bfrev_b32_e32 v7, 1
	s_and_saveexec_b64 s[72:73], vcc
	s_cbranch_execz .LBB4_7845
; %bb.7840:                             ;   in Loop: Header=BB4_7733 Depth=3
	v_and_b32_e32 v7, 0x7c0000, v8
	v_bfe_u32 v21, v8, 16, 2
	v_cmp_ne_u32_e32 vcc, s36, v7
                                        ; implicit-def: $vgpr7
	s_and_saveexec_b64 s[74:75], vcc
	s_xor_b64 s[74:75], exec, s[74:75]
	s_cbranch_execz .LBB4_7842
; %bb.7841:                             ;   in Loop: Header=BB4_7733 Depth=3
	v_ffbh_u32_e32 v23, v21
	v_min_u32_e32 v23, 32, v23
	v_subrev_u32_e32 v24, 29, v23
	v_bfe_u32 v7, v8, 18, 5
	v_lshlrev_b64 v[24:25], v24, v[20:21]
	v_sub_u32_e32 v23, 30, v23
	v_and_b32_e32 v24, 3, v24
	v_cmp_eq_u32_e32 vcc, 0, v7
	v_cndmask_b32_e32 v7, v7, v23, vcc
	v_cndmask_b32_e32 v21, v21, v24, vcc
	v_bfrev_b32_e32 v24, 28
	v_lshlrev_b32_e32 v23, 24, v20
	v_lshl_add_u32 v7, v7, 23, v24
	v_and_or_b32 v7, v23, s96, v7
	v_lshl_or_b32 v7, v21, 21, v7
                                        ; implicit-def: $vgpr21
.LBB4_7842:                             ;   in Loop: Header=BB4_7733 Depth=3
	s_andn2_saveexec_b64 s[74:75], s[74:75]
; %bb.7843:                             ;   in Loop: Header=BB4_7733 Depth=3
	v_mov_b32_e32 v7, -1
	v_cmp_gt_i16_sdwa vcc, sext(v20), v7 src0_sel:BYTE_0 src1_sel:DWORD
	v_cndmask_b32_e32 v7, v6, v1, vcc
	v_cmp_eq_u32_e32 vcc, 0, v21
	v_mov_b32_e32 v21, 0x7f800001
	v_cndmask_b32_e32 v7, v21, v7, vcc
; %bb.7844:                             ;   in Loop: Header=BB4_7733 Depth=3
	s_or_b64 exec, exec, s[74:75]
.LBB4_7845:                             ;   in Loop: Header=BB4_7733 Depth=3
	s_or_b64 exec, exec, s[72:73]
.LBB4_7846:                             ;   in Loop: Header=BB4_7733 Depth=3
	s_or_b64 exec, exec, s[70:71]
	v_max_f32_e32 v7, v7, v7
	v_max_f32_e32 v0, v0, v0
	;; [unrolled: 1-line block ×3, first 2 shown]
	s_branch .LBB4_7865
.LBB4_7847:                             ;   in Loop: Header=BB4_7733 Depth=3
                                        ; implicit-def: $vgpr21
	s_cbranch_execz .LBB4_7865
; %bb.7848:                             ;   in Loop: Header=BB4_7733 Depth=3
	v_mov_b32_e32 v7, 0
	v_mov_b32_e32 v0, 0
	s_and_saveexec_b64 s[70:71], s[30:31]
	s_cbranch_execz .LBB4_7856
; %bb.7849:                             ;   in Loop: Header=BB4_7733 Depth=3
	v_cmp_ne_u16_sdwa vcc, v22, s97 src0_sel:BYTE_0 src1_sel:DWORD
	v_bfrev_b32_e32 v0, 1
	s_and_saveexec_b64 s[30:31], vcc
	s_cbranch_execz .LBB4_7855
; %bb.7850:                             ;   in Loop: Header=BB4_7733 Depth=3
	v_and_b32_e32 v0, 0x7c0000, v12
	v_bfe_u32 v21, v12, 16, 2
	v_cmp_ne_u32_e32 vcc, s36, v0
                                        ; implicit-def: $vgpr0
	s_and_saveexec_b64 s[72:73], vcc
	s_xor_b64 s[72:73], exec, s[72:73]
	s_cbranch_execz .LBB4_7852
; %bb.7851:                             ;   in Loop: Header=BB4_7733 Depth=3
	v_ffbh_u32_e32 v23, v21
	v_min_u32_e32 v23, 32, v23
	v_bfe_u32 v0, v12, 18, 5
	v_subrev_u32_e32 v24, 29, v23
	v_lshlrev_b64 v[24:25], v24, v[22:23]
	v_sub_u32_e32 v23, 30, v23
	v_cmp_eq_u32_e32 vcc, 0, v0
	v_cndmask_b32_e32 v0, v0, v23, vcc
	v_bfrev_b32_e32 v23, 28
	v_and_b32_e32 v24, 3, v24
	v_lshlrev_b32_e32 v22, 24, v22
	v_lshl_add_u32 v0, v0, 23, v23
	v_cndmask_b32_e32 v21, v21, v24, vcc
	v_and_or_b32 v0, v22, s96, v0
	v_lshl_or_b32 v0, v21, 21, v0
                                        ; implicit-def: $vgpr21
                                        ; implicit-def: $vgpr22
.LBB4_7852:                             ;   in Loop: Header=BB4_7733 Depth=3
	s_andn2_saveexec_b64 s[72:73], s[72:73]
; %bb.7853:                             ;   in Loop: Header=BB4_7733 Depth=3
	v_mov_b32_e32 v0, -1
	v_cmp_gt_i16_sdwa vcc, sext(v22), v0 src0_sel:BYTE_0 src1_sel:DWORD
	v_cndmask_b32_e32 v0, v6, v1, vcc
	v_cmp_eq_u32_e32 vcc, 0, v21
	v_mov_b32_e32 v21, 0x7f800001
	v_cndmask_b32_e32 v0, v21, v0, vcc
; %bb.7854:                             ;   in Loop: Header=BB4_7733 Depth=3
	s_or_b64 exec, exec, s[72:73]
.LBB4_7855:                             ;   in Loop: Header=BB4_7733 Depth=3
	s_or_b64 exec, exec, s[30:31]
.LBB4_7856:                             ;   in Loop: Header=BB4_7733 Depth=3
	s_or_b64 exec, exec, s[70:71]
	v_cmp_ne_u16_sdwa vcc, v20, v43 src0_sel:BYTE_0 src1_sel:DWORD
	s_and_saveexec_b64 s[30:31], vcc
	s_cbranch_execz .LBB4_7864
; %bb.7857:                             ;   in Loop: Header=BB4_7733 Depth=3
	v_cmp_ne_u16_sdwa vcc, v20, s97 src0_sel:BYTE_0 src1_sel:DWORD
	v_bfrev_b32_e32 v7, 1
	s_and_saveexec_b64 s[70:71], vcc
	s_cbranch_execz .LBB4_7863
; %bb.7858:                             ;   in Loop: Header=BB4_7733 Depth=3
	v_and_b32_e32 v7, 0x7c0000, v8
	v_bfe_u32 v21, v8, 16, 2
	v_cmp_ne_u32_e32 vcc, s36, v7
                                        ; implicit-def: $vgpr7
	s_and_saveexec_b64 s[72:73], vcc
	s_xor_b64 s[72:73], exec, s[72:73]
	s_cbranch_execz .LBB4_7860
; %bb.7859:                             ;   in Loop: Header=BB4_7733 Depth=3
	v_ffbh_u32_e32 v22, v21
	v_min_u32_e32 v24, 32, v22
	v_subrev_u32_e32 v22, 29, v24
	v_bfe_u32 v7, v8, 18, 5
	v_lshlrev_b64 v[22:23], v22, v[20:21]
	v_sub_u32_e32 v23, 30, v24
	v_and_b32_e32 v22, 3, v22
	v_cmp_eq_u32_e32 vcc, 0, v7
	v_cndmask_b32_e32 v7, v7, v23, vcc
	v_cndmask_b32_e32 v21, v21, v22, vcc
	v_bfrev_b32_e32 v22, 28
	v_lshlrev_b32_e32 v20, 24, v20
	v_lshl_add_u32 v7, v7, 23, v22
	v_and_or_b32 v7, v20, s96, v7
	v_lshl_or_b32 v7, v21, 21, v7
                                        ; implicit-def: $vgpr21
                                        ; implicit-def: $vgpr20
.LBB4_7860:                             ;   in Loop: Header=BB4_7733 Depth=3
	s_andn2_saveexec_b64 s[72:73], s[72:73]
; %bb.7861:                             ;   in Loop: Header=BB4_7733 Depth=3
	v_mov_b32_e32 v7, -1
	v_cmp_gt_i16_sdwa vcc, sext(v20), v7 src0_sel:BYTE_0 src1_sel:DWORD
	v_cndmask_b32_e32 v7, v6, v1, vcc
	v_cmp_eq_u32_e32 vcc, 0, v21
	v_mov_b32_e32 v20, 0x7f800001
	v_cndmask_b32_e32 v7, v20, v7, vcc
; %bb.7862:                             ;   in Loop: Header=BB4_7733 Depth=3
	s_or_b64 exec, exec, s[72:73]
.LBB4_7863:                             ;   in Loop: Header=BB4_7733 Depth=3
	s_or_b64 exec, exec, s[70:71]
.LBB4_7864:                             ;   in Loop: Header=BB4_7733 Depth=3
	s_or_b64 exec, exec, s[30:31]
	v_max_f32_e32 v7, v7, v7
	v_max_f32_e32 v0, v0, v0
	v_min_f32_e32 v21, v0, v7
.LBB4_7865:                             ;   in Loop: Header=BB4_7733 Depth=3
	v_and_b32_sdwa v0, v21, s97 dst_sel:DWORD dst_unused:UNUSED_PAD src0_sel:BYTE_3 src1_sel:DWORD
	v_and_b32_e32 v22, 0x7f800000, v21
	v_mov_b32_e32 v23, v43
	v_and_b32_e32 v42, 0x7fffff, v21
	v_or_b32_e32 v7, 0x7b, v0
	v_cmp_ne_u64_e32 vcc, s[52:53], v[22:23]
	s_and_saveexec_b64 s[30:31], vcc
	s_xor_b64 s[70:71], exec, s[30:31]
	s_cbranch_execz .LBB4_7875
; %bb.7866:                             ;   in Loop: Header=BB4_7733 Depth=3
	v_and_b32_e32 v22, 0x7fffffff, v21
	v_mov_b32_e32 v23, v43
	v_cmp_gt_u64_e32 vcc, s[54:55], v[22:23]
	s_and_saveexec_b64 s[72:73], vcc
	s_cbranch_execz .LBB4_7874
; %bb.7867:                             ;   in Loop: Header=BB4_7733 Depth=3
	v_cmp_ne_u32_e32 vcc, 0, v21
	v_mov_b32_e32 v7, 0
	s_and_saveexec_b64 s[74:75], vcc
	s_cbranch_execz .LBB4_7873
; %bb.7868:                             ;   in Loop: Header=BB4_7733 Depth=3
	v_bfe_u32 v7, v21, 23, 8
	v_cmp_eq_u32_e32 vcc, 0, v7
	v_add_u32_e32 v20, 0xffffff81, v7
	v_cmp_gt_u32_e64 s[30:31], s38, v7
	v_sub_u32_e32 v7, 0x71, v7
	v_mov_b32_e32 v22, 0xffffff82
	v_cndmask_b32_e64 v7, 0, v7, s[30:31]
	v_cndmask_b32_e32 v24, v20, v22, vcc
	v_mov_b32_e32 v20, 0x70
	v_cndmask_b32_e32 v7, v7, v20, vcc
	v_or_b32_e32 v21, 0x800000, v42
	v_add_u32_e32 v20, 21, v7
	v_cndmask_b32_e32 v42, v21, v42, vcc
	v_lshlrev_b64 v[20:21], v20, -1
	v_not_b32_e32 v21, v21
	v_not_b32_e32 v20, v20
	v_add_u32_e32 v22, 20, v7
	v_and_b32_e32 v21, 0, v21
	v_and_b32_e32 v20, v42, v20
	v_lshlrev_b64 v[22:23], v22, 1
	v_cmp_eq_u64_e32 vcc, v[20:21], v[22:23]
	v_lshrrev_b64 v[20:21], v7, v[42:43]
	v_lshrrev_b32_e32 v22, 23, v20
	v_add3_u32 v23, v7, v24, v22
	v_bfe_u32 v7, v20, 21, 1
	v_add_u32_e32 v7, -1, v7
	v_cndmask_b32_e32 v7, 0, v7, vcc
	v_add_u32_e32 v7, v7, v20
	v_and_b32_e32 v7, 0x1fffff, v7
	v_add_co_u32_e32 v20, vcc, v7, v20
	v_add_u32_e32 v22, 14, v23
	v_addc_co_u32_e32 v21, vcc, 0, v21, vcc
	v_cmp_ne_u32_e32 vcc, 0, v22
                                        ; implicit-def: $vgpr7
	s_and_saveexec_b64 s[30:31], vcc
	s_xor_b64 s[30:31], exec, s[30:31]
; %bb.7869:                             ;   in Loop: Header=BB4_7733 Depth=3
	v_add_u32_e32 v7, 15, v23
	v_cmp_lt_u64_e32 vcc, s[56:57], v[20:21]
	v_cndmask_b32_e32 v7, v22, v7, vcc
	v_cndmask_b32_e64 v22, 0, 1, vcc
	v_lshrrev_b64 v[20:21], v22, v[20:21]
; %bb.7870:                             ;   in Loop: Header=BB4_7733 Depth=3
	s_andn2_saveexec_b64 vcc, s[30:31]
; %bb.7871:                             ;   in Loop: Header=BB4_7733 Depth=3
	v_bfe_u32 v7, v20, 23, 1
; %bb.7872:                             ;   in Loop: Header=BB4_7733 Depth=3
	s_or_b64 exec, exec, vcc
	v_lshrrev_b64 v[20:21], 21, v[20:21]
	v_cmp_gt_i32_e32 vcc, 32, v7
	v_cndmask_b32_e32 v21, 0, v21, vcc
	v_cndmask_b32_e32 v20, 3, v20, vcc
	v_cmp_eq_u32_e32 vcc, 0, v7
	v_min_i32_e32 v7, 31, v7
	v_cmp_eq_u64_e64 s[30:31], 0, v[20:21]
	v_lshlrev_b32_e32 v7, 2, v7
	v_and_or_b32 v7, v20, 3, v7
	s_and_b64 vcc, vcc, s[30:31]
	v_cndmask_b32_e64 v7, v7, 0, vcc
	v_or_b32_e32 v7, v7, v0
.LBB4_7873:                             ;   in Loop: Header=BB4_7733 Depth=3
	s_or_b64 exec, exec, s[74:75]
.LBB4_7874:                             ;   in Loop: Header=BB4_7733 Depth=3
	s_or_b64 exec, exec, s[72:73]
                                        ; implicit-def: $vgpr21
.LBB4_7875:                             ;   in Loop: Header=BB4_7733 Depth=3
	s_andn2_saveexec_b64 s[30:31], s[70:71]
; %bb.7876:                             ;   in Loop: Header=BB4_7733 Depth=3
	v_or_b32_sdwa v0, v21, s39 dst_sel:DWORD dst_unused:UNUSED_PAD src0_sel:BYTE_3 src1_sel:DWORD
	v_cmp_eq_u64_e32 vcc, 0, v[42:43]
	v_cndmask_b32_e32 v7, v0, v7, vcc
; %bb.7877:                             ;   in Loop: Header=BB4_7733 Depth=3
	s_or_b64 exec, exec, s[30:31]
	v_lshrrev_b32_e32 v22, 24, v12
	v_lshrrev_b32_e32 v20, 24, v8
	v_cmp_lt_u32_e64 s[30:31], s43, v12
	s_and_b64 vcc, exec, s[68:69]
	s_cbranch_vccz .LBB4_7895
; %bb.7878:                             ;   in Loop: Header=BB4_7733 Depth=3
	v_mov_b32_e32 v21, 0
	v_mov_b32_e32 v0, 0
	s_and_saveexec_b64 s[70:71], s[30:31]
	s_cbranch_execz .LBB4_7886
; %bb.7879:                             ;   in Loop: Header=BB4_7733 Depth=3
	v_cmp_ne_u32_e32 vcc, s97, v22
	v_bfrev_b32_e32 v0, 1
	s_and_saveexec_b64 s[72:73], vcc
	s_cbranch_execz .LBB4_7885
; %bb.7880:                             ;   in Loop: Header=BB4_7733 Depth=3
	v_and_b32_e32 v0, 0x7c000000, v12
	v_bfe_u32 v23, v12, 24, 2
	v_cmp_ne_u32_e32 vcc, s37, v0
                                        ; implicit-def: $vgpr0
	s_and_saveexec_b64 s[74:75], vcc
	s_xor_b64 s[74:75], exec, s[74:75]
	s_cbranch_execz .LBB4_7882
; %bb.7881:                             ;   in Loop: Header=BB4_7733 Depth=3
	v_ffbh_u32_e32 v24, v23
	v_min_u32_e32 v30, 32, v24
	v_subrev_u32_e32 v24, 29, v30
	v_bfe_u32 v0, v12, 26, 5
	v_lshlrev_b64 v[24:25], v24, v[22:23]
	v_sub_u32_e32 v25, 30, v30
	v_and_b32_e32 v24, 3, v24
	v_cmp_eq_u32_e32 vcc, 0, v0
	v_cndmask_b32_e32 v0, v0, v25, vcc
	v_cndmask_b32_e32 v23, v23, v24, vcc
	v_bfrev_b32_e32 v24, 28
	v_lshl_add_u32 v0, v0, 23, v24
	v_and_or_b32 v0, v12, s96, v0
	v_lshl_or_b32 v0, v23, 21, v0
                                        ; implicit-def: $vgpr23
.LBB4_7882:                             ;   in Loop: Header=BB4_7733 Depth=3
	s_andn2_saveexec_b64 s[74:75], s[74:75]
; %bb.7883:                             ;   in Loop: Header=BB4_7733 Depth=3
	v_cmp_lt_i32_e32 vcc, -1, v12
	v_cndmask_b32_e32 v0, v6, v1, vcc
	v_cmp_eq_u32_e32 vcc, 0, v23
	v_mov_b32_e32 v23, 0x7f800001
	v_cndmask_b32_e32 v0, v23, v0, vcc
; %bb.7884:                             ;   in Loop: Header=BB4_7733 Depth=3
	s_or_b64 exec, exec, s[74:75]
.LBB4_7885:                             ;   in Loop: Header=BB4_7733 Depth=3
	s_or_b64 exec, exec, s[72:73]
.LBB4_7886:                             ;   in Loop: Header=BB4_7733 Depth=3
	s_or_b64 exec, exec, s[70:71]
	v_cmp_lt_u32_e32 vcc, s43, v8
	s_and_saveexec_b64 s[70:71], vcc
	s_cbranch_execz .LBB4_7894
; %bb.7887:                             ;   in Loop: Header=BB4_7733 Depth=3
	v_cmp_ne_u32_e32 vcc, s97, v20
	v_bfrev_b32_e32 v21, 1
	s_and_saveexec_b64 s[72:73], vcc
	s_cbranch_execz .LBB4_7893
; %bb.7888:                             ;   in Loop: Header=BB4_7733 Depth=3
	v_and_b32_e32 v21, 0x7c000000, v8
	v_bfe_u32 v23, v8, 24, 2
	v_cmp_ne_u32_e32 vcc, s37, v21
                                        ; implicit-def: $vgpr21
	s_and_saveexec_b64 s[74:75], vcc
	s_xor_b64 s[74:75], exec, s[74:75]
	s_cbranch_execz .LBB4_7890
; %bb.7889:                             ;   in Loop: Header=BB4_7733 Depth=3
	v_ffbh_u32_e32 v24, v23
	v_min_u32_e32 v30, 32, v24
	v_bfe_u32 v21, v8, 26, 5
	v_subrev_u32_e32 v24, 29, v30
	v_lshlrev_b64 v[24:25], v24, v[20:21]
	v_sub_u32_e32 v25, 30, v30
	v_and_b32_e32 v24, 3, v24
	v_cmp_eq_u32_e32 vcc, 0, v21
	v_cndmask_b32_e32 v21, v21, v25, vcc
	v_cndmask_b32_e32 v23, v23, v24, vcc
	v_bfrev_b32_e32 v24, 28
	v_lshl_add_u32 v21, v21, 23, v24
	v_and_or_b32 v21, v8, s96, v21
	v_lshl_or_b32 v21, v23, 21, v21
                                        ; implicit-def: $vgpr23
.LBB4_7890:                             ;   in Loop: Header=BB4_7733 Depth=3
	s_andn2_saveexec_b64 s[74:75], s[74:75]
; %bb.7891:                             ;   in Loop: Header=BB4_7733 Depth=3
	v_cmp_lt_i32_e32 vcc, -1, v8
	v_cndmask_b32_e32 v21, v6, v1, vcc
	v_cmp_eq_u32_e32 vcc, 0, v23
	v_mov_b32_e32 v23, 0x7f800001
	v_cndmask_b32_e32 v21, v23, v21, vcc
; %bb.7892:                             ;   in Loop: Header=BB4_7733 Depth=3
	s_or_b64 exec, exec, s[74:75]
.LBB4_7893:                             ;   in Loop: Header=BB4_7733 Depth=3
	s_or_b64 exec, exec, s[72:73]
.LBB4_7894:                             ;   in Loop: Header=BB4_7733 Depth=3
	s_or_b64 exec, exec, s[70:71]
	v_max_f32_e32 v21, v21, v21
	v_max_f32_e32 v0, v0, v0
	;; [unrolled: 1-line block ×3, first 2 shown]
	s_branch .LBB4_7913
.LBB4_7895:                             ;   in Loop: Header=BB4_7733 Depth=3
                                        ; implicit-def: $vgpr21
	s_cbranch_execz .LBB4_7913
; %bb.7896:                             ;   in Loop: Header=BB4_7733 Depth=3
	v_mov_b32_e32 v21, 0
	v_mov_b32_e32 v0, 0
	s_and_saveexec_b64 s[70:71], s[30:31]
	s_cbranch_execz .LBB4_7904
; %bb.7897:                             ;   in Loop: Header=BB4_7733 Depth=3
	v_cmp_ne_u32_e32 vcc, s97, v22
	v_bfrev_b32_e32 v0, 1
	s_and_saveexec_b64 s[30:31], vcc
	s_cbranch_execz .LBB4_7903
; %bb.7898:                             ;   in Loop: Header=BB4_7733 Depth=3
	v_and_b32_e32 v0, 0x7c000000, v12
	v_bfe_u32 v23, v12, 24, 2
	v_cmp_ne_u32_e32 vcc, s37, v0
                                        ; implicit-def: $vgpr0
	s_and_saveexec_b64 s[72:73], vcc
	s_xor_b64 s[72:73], exec, s[72:73]
	s_cbranch_execz .LBB4_7900
; %bb.7899:                             ;   in Loop: Header=BB4_7733 Depth=3
	v_ffbh_u32_e32 v24, v23
	v_min_u32_e32 v30, 32, v24
	v_subrev_u32_e32 v24, 29, v30
	v_bfe_u32 v0, v12, 26, 5
	v_lshlrev_b64 v[24:25], v24, v[22:23]
	v_sub_u32_e32 v22, 30, v30
	v_and_b32_e32 v24, 3, v24
	v_cmp_eq_u32_e32 vcc, 0, v0
	v_cndmask_b32_e32 v0, v0, v22, vcc
	v_cndmask_b32_e32 v22, v23, v24, vcc
	v_bfrev_b32_e32 v23, 28
	v_lshl_add_u32 v0, v0, 23, v23
	v_and_or_b32 v0, v12, s96, v0
	v_lshl_or_b32 v0, v22, 21, v0
                                        ; implicit-def: $vgpr23
.LBB4_7900:                             ;   in Loop: Header=BB4_7733 Depth=3
	s_andn2_saveexec_b64 s[72:73], s[72:73]
; %bb.7901:                             ;   in Loop: Header=BB4_7733 Depth=3
	v_cmp_lt_i32_e32 vcc, -1, v12
	v_cndmask_b32_e32 v0, v6, v1, vcc
	v_cmp_eq_u32_e32 vcc, 0, v23
	v_mov_b32_e32 v22, 0x7f800001
	v_cndmask_b32_e32 v0, v22, v0, vcc
; %bb.7902:                             ;   in Loop: Header=BB4_7733 Depth=3
	s_or_b64 exec, exec, s[72:73]
.LBB4_7903:                             ;   in Loop: Header=BB4_7733 Depth=3
	s_or_b64 exec, exec, s[30:31]
.LBB4_7904:                             ;   in Loop: Header=BB4_7733 Depth=3
	s_or_b64 exec, exec, s[70:71]
	v_cmp_lt_u32_e32 vcc, s43, v8
	s_and_saveexec_b64 s[30:31], vcc
	s_cbranch_execz .LBB4_7912
; %bb.7905:                             ;   in Loop: Header=BB4_7733 Depth=3
	v_cmp_ne_u32_e32 vcc, s97, v20
	v_bfrev_b32_e32 v21, 1
	s_and_saveexec_b64 s[70:71], vcc
	s_cbranch_execz .LBB4_7911
; %bb.7906:                             ;   in Loop: Header=BB4_7733 Depth=3
	v_and_b32_e32 v21, 0x7c000000, v8
	v_bfe_u32 v22, v8, 24, 2
	v_cmp_ne_u32_e32 vcc, s37, v21
                                        ; implicit-def: $vgpr21
	s_and_saveexec_b64 s[72:73], vcc
	s_xor_b64 s[72:73], exec, s[72:73]
	s_cbranch_execz .LBB4_7908
; %bb.7907:                             ;   in Loop: Header=BB4_7733 Depth=3
	v_ffbh_u32_e32 v21, v22
	v_min_u32_e32 v24, 32, v21
	v_subrev_u32_e32 v21, 29, v24
	v_bfe_u32 v23, v8, 26, 5
	v_lshlrev_b64 v[20:21], v21, v[20:21]
	v_sub_u32_e32 v21, 30, v24
	v_and_b32_e32 v20, 3, v20
	v_cmp_eq_u32_e32 vcc, 0, v23
	v_cndmask_b32_e32 v21, v23, v21, vcc
	v_cndmask_b32_e32 v20, v22, v20, vcc
	v_bfrev_b32_e32 v22, 28
	v_lshl_add_u32 v21, v21, 23, v22
	v_and_or_b32 v21, v8, s96, v21
	v_lshl_or_b32 v21, v20, 21, v21
                                        ; implicit-def: $vgpr22
.LBB4_7908:                             ;   in Loop: Header=BB4_7733 Depth=3
	s_andn2_saveexec_b64 s[72:73], s[72:73]
; %bb.7909:                             ;   in Loop: Header=BB4_7733 Depth=3
	v_cmp_lt_i32_e32 vcc, -1, v8
	v_cndmask_b32_e32 v20, v6, v1, vcc
	v_cmp_eq_u32_e32 vcc, 0, v22
	v_mov_b32_e32 v21, 0x7f800001
	v_cndmask_b32_e32 v21, v21, v20, vcc
; %bb.7910:                             ;   in Loop: Header=BB4_7733 Depth=3
	s_or_b64 exec, exec, s[72:73]
.LBB4_7911:                             ;   in Loop: Header=BB4_7733 Depth=3
	s_or_b64 exec, exec, s[70:71]
.LBB4_7912:                             ;   in Loop: Header=BB4_7733 Depth=3
	s_or_b64 exec, exec, s[30:31]
	v_max_f32_e32 v20, v21, v21
	v_max_f32_e32 v0, v0, v0
	v_min_f32_e32 v21, v0, v20
.LBB4_7913:                             ;   in Loop: Header=BB4_7733 Depth=3
	v_and_b32_sdwa v0, v21, s97 dst_sel:DWORD dst_unused:UNUSED_PAD src0_sel:BYTE_3 src1_sel:DWORD
	v_and_b32_e32 v22, 0x7f800000, v21
	v_mov_b32_e32 v23, v43
	v_and_b32_e32 v42, 0x7fffff, v21
	v_or_b32_e32 v30, 0x7b, v0
	v_cmp_ne_u64_e32 vcc, s[52:53], v[22:23]
	s_and_saveexec_b64 s[30:31], vcc
	s_xor_b64 s[70:71], exec, s[30:31]
	s_cbranch_execz .LBB4_7923
; %bb.7914:                             ;   in Loop: Header=BB4_7733 Depth=3
	v_and_b32_e32 v22, 0x7fffffff, v21
	v_mov_b32_e32 v23, v43
	v_cmp_gt_u64_e32 vcc, s[54:55], v[22:23]
	s_and_saveexec_b64 s[72:73], vcc
	s_cbranch_execz .LBB4_7922
; %bb.7915:                             ;   in Loop: Header=BB4_7733 Depth=3
	v_cmp_ne_u32_e32 vcc, 0, v21
	v_mov_b32_e32 v30, 0
	s_and_saveexec_b64 s[74:75], vcc
	s_cbranch_execz .LBB4_7921
; %bb.7916:                             ;   in Loop: Header=BB4_7733 Depth=3
	v_bfe_u32 v20, v21, 23, 8
	v_cmp_eq_u32_e32 vcc, 0, v20
	v_add_u32_e32 v21, 0xffffff81, v20
	v_cmp_gt_u32_e64 s[30:31], s38, v20
	v_sub_u32_e32 v20, 0x71, v20
	v_mov_b32_e32 v23, 0xffffff82
	v_cndmask_b32_e64 v20, 0, v20, s[30:31]
	v_cndmask_b32_e32 v24, v21, v23, vcc
	v_mov_b32_e32 v21, 0x70
	v_cndmask_b32_e32 v25, v20, v21, vcc
	v_add_u32_e32 v20, 21, v25
	v_or_b32_e32 v22, 0x800000, v42
	v_lshlrev_b64 v[20:21], v20, -1
	v_cndmask_b32_e32 v42, v22, v42, vcc
	v_not_b32_e32 v21, v21
	v_not_b32_e32 v20, v20
	v_add_u32_e32 v22, 20, v25
	v_and_b32_e32 v21, 0, v21
	v_and_b32_e32 v20, v42, v20
	v_lshlrev_b64 v[22:23], v22, 1
	v_cmp_eq_u64_e32 vcc, v[20:21], v[22:23]
	v_lshrrev_b64 v[20:21], v25, v[42:43]
	v_lshrrev_b32_e32 v22, 23, v20
	v_add3_u32 v24, v25, v24, v22
	v_bfe_u32 v22, v20, 21, 1
	v_add_u32_e32 v22, -1, v22
	v_cndmask_b32_e32 v22, 0, v22, vcc
	v_add_u32_e32 v22, v22, v20
	v_and_b32_e32 v22, 0x1fffff, v22
	v_add_co_u32_e32 v20, vcc, v22, v20
	v_add_u32_e32 v23, 14, v24
	v_addc_co_u32_e32 v21, vcc, 0, v21, vcc
	v_cmp_ne_u32_e32 vcc, 0, v23
                                        ; implicit-def: $vgpr22
	s_and_saveexec_b64 s[30:31], vcc
	s_xor_b64 s[30:31], exec, s[30:31]
; %bb.7917:                             ;   in Loop: Header=BB4_7733 Depth=3
	v_add_u32_e32 v22, 15, v24
	v_cmp_lt_u64_e32 vcc, s[56:57], v[20:21]
	v_cndmask_b32_e32 v22, v23, v22, vcc
	v_cndmask_b32_e64 v23, 0, 1, vcc
	v_lshrrev_b64 v[20:21], v23, v[20:21]
; %bb.7918:                             ;   in Loop: Header=BB4_7733 Depth=3
	s_andn2_saveexec_b64 vcc, s[30:31]
; %bb.7919:                             ;   in Loop: Header=BB4_7733 Depth=3
	v_bfe_u32 v22, v20, 23, 1
; %bb.7920:                             ;   in Loop: Header=BB4_7733 Depth=3
	s_or_b64 exec, exec, vcc
	v_lshrrev_b64 v[20:21], 21, v[20:21]
	v_cmp_gt_i32_e32 vcc, 32, v22
	v_cndmask_b32_e32 v21, 0, v21, vcc
	v_cndmask_b32_e32 v20, 3, v20, vcc
	v_cmp_eq_u64_e64 s[30:31], 0, v[20:21]
	v_min_i32_e32 v21, 31, v22
	v_cmp_eq_u32_e32 vcc, 0, v22
	v_lshlrev_b32_e32 v21, 2, v21
	v_and_or_b32 v20, v20, 3, v21
	s_and_b64 vcc, vcc, s[30:31]
	v_cndmask_b32_e64 v20, v20, 0, vcc
	v_or_b32_e32 v30, v20, v0
.LBB4_7921:                             ;   in Loop: Header=BB4_7733 Depth=3
	s_or_b64 exec, exec, s[74:75]
.LBB4_7922:                             ;   in Loop: Header=BB4_7733 Depth=3
	s_or_b64 exec, exec, s[72:73]
                                        ; implicit-def: $vgpr21
.LBB4_7923:                             ;   in Loop: Header=BB4_7733 Depth=3
	s_andn2_saveexec_b64 s[30:31], s[70:71]
; %bb.7924:                             ;   in Loop: Header=BB4_7733 Depth=3
	v_or_b32_sdwa v0, v21, s39 dst_sel:DWORD dst_unused:UNUSED_PAD src0_sel:BYTE_3 src1_sel:DWORD
	v_cmp_eq_u64_e32 vcc, 0, v[42:43]
	v_cndmask_b32_e32 v30, v0, v30, vcc
; %bb.7925:                             ;   in Loop: Header=BB4_7733 Depth=3
	s_or_b64 exec, exec, s[30:31]
	v_mov_b32_e32 v42, v13
	v_mov_b32_e32 v20, v9
	;; [unrolled: 1-line block ×3, first 2 shown]
	v_cmp_ne_u16_sdwa s[30:31], v13, v43 src0_sel:BYTE_0 src1_sel:DWORD
	s_and_b64 vcc, exec, s[68:69]
	s_cbranch_vccz .LBB4_7943
; %bb.7926:                             ;   in Loop: Header=BB4_7733 Depth=3
	v_mov_b32_e32 v22, 0
	v_mov_b32_e32 v0, 0
	s_and_saveexec_b64 s[70:71], s[30:31]
	s_cbranch_execz .LBB4_7934
; %bb.7927:                             ;   in Loop: Header=BB4_7733 Depth=3
	v_cmp_ne_u16_sdwa vcc, v13, s97 src0_sel:BYTE_0 src1_sel:DWORD
	v_bfrev_b32_e32 v0, 1
	s_and_saveexec_b64 s[72:73], vcc
	s_cbranch_execz .LBB4_7933
; %bb.7928:                             ;   in Loop: Header=BB4_7733 Depth=3
	v_and_b32_e32 v0, 0x7c, v13
	v_and_b32_e32 v23, 3, v13
	v_cmp_ne_u32_e32 vcc, s95, v0
                                        ; implicit-def: $vgpr0
	s_and_saveexec_b64 s[74:75], vcc
	s_xor_b64 s[74:75], exec, s[74:75]
	s_cbranch_execz .LBB4_7930
; %bb.7929:                             ;   in Loop: Header=BB4_7733 Depth=3
	v_ffbh_u32_e32 v24, v23
	v_min_u32_e32 v32, 32, v24
	v_subrev_u32_e32 v24, 29, v32
	v_bfe_u32 v0, v13, 2, 5
	v_lshlrev_b64 v[24:25], v24, v[42:43]
	v_sub_u32_e32 v25, 30, v32
	v_cmp_eq_u32_e32 vcc, 0, v0
	v_and_b32_e32 v24, 3, v24
	v_cndmask_b32_e32 v0, v0, v25, vcc
	v_bfrev_b32_e32 v25, 28
	v_cndmask_b32_e32 v23, v23, v24, vcc
	v_lshlrev_b32_e32 v24, 24, v13
	v_lshl_add_u32 v0, v0, 23, v25
	v_and_or_b32 v0, v24, s96, v0
	v_lshl_or_b32 v0, v23, 21, v0
                                        ; implicit-def: $vgpr23
.LBB4_7930:                             ;   in Loop: Header=BB4_7733 Depth=3
	s_andn2_saveexec_b64 s[74:75], s[74:75]
; %bb.7931:                             ;   in Loop: Header=BB4_7733 Depth=3
	v_mov_b32_e32 v0, -1
	v_cmp_gt_i16_sdwa vcc, sext(v13), v0 src0_sel:BYTE_0 src1_sel:DWORD
	v_cndmask_b32_e32 v0, v6, v1, vcc
	v_cmp_eq_u32_e32 vcc, 0, v23
	v_mov_b32_e32 v23, 0x7f800001
	v_cndmask_b32_e32 v0, v23, v0, vcc
; %bb.7932:                             ;   in Loop: Header=BB4_7733 Depth=3
	s_or_b64 exec, exec, s[74:75]
.LBB4_7933:                             ;   in Loop: Header=BB4_7733 Depth=3
	s_or_b64 exec, exec, s[72:73]
.LBB4_7934:                             ;   in Loop: Header=BB4_7733 Depth=3
	s_or_b64 exec, exec, s[70:71]
	v_cmp_ne_u16_sdwa vcc, v9, v43 src0_sel:BYTE_0 src1_sel:DWORD
	s_and_saveexec_b64 s[70:71], vcc
	s_cbranch_execz .LBB4_7942
; %bb.7935:                             ;   in Loop: Header=BB4_7733 Depth=3
	v_cmp_ne_u16_sdwa vcc, v9, s97 src0_sel:BYTE_0 src1_sel:DWORD
	v_bfrev_b32_e32 v22, 1
	s_and_saveexec_b64 s[72:73], vcc
	s_cbranch_execz .LBB4_7941
; %bb.7936:                             ;   in Loop: Header=BB4_7733 Depth=3
	v_and_b32_e32 v22, 0x7c, v9
	v_and_b32_e32 v23, 3, v9
	v_cmp_ne_u32_e32 vcc, s95, v22
                                        ; implicit-def: $vgpr22
	s_and_saveexec_b64 s[74:75], vcc
	s_xor_b64 s[74:75], exec, s[74:75]
	s_cbranch_execz .LBB4_7938
; %bb.7937:                             ;   in Loop: Header=BB4_7733 Depth=3
	v_ffbh_u32_e32 v24, v23
	v_min_u32_e32 v32, 32, v24
	v_subrev_u32_e32 v24, 29, v32
	v_bfe_u32 v22, v9, 2, 5
	v_lshlrev_b64 v[24:25], v24, v[20:21]
	v_sub_u32_e32 v25, 30, v32
	v_cmp_eq_u32_e32 vcc, 0, v22
	v_and_b32_e32 v24, 3, v24
	v_cndmask_b32_e32 v22, v22, v25, vcc
	v_bfrev_b32_e32 v25, 28
	v_cndmask_b32_e32 v23, v23, v24, vcc
	v_lshlrev_b32_e32 v24, 24, v9
	v_lshl_add_u32 v22, v22, 23, v25
	v_and_or_b32 v22, v24, s96, v22
	v_lshl_or_b32 v22, v23, 21, v22
                                        ; implicit-def: $vgpr23
.LBB4_7938:                             ;   in Loop: Header=BB4_7733 Depth=3
	s_andn2_saveexec_b64 s[74:75], s[74:75]
; %bb.7939:                             ;   in Loop: Header=BB4_7733 Depth=3
	v_mov_b32_e32 v22, -1
	v_cmp_gt_i16_sdwa vcc, sext(v9), v22 src0_sel:BYTE_0 src1_sel:DWORD
	v_cndmask_b32_e32 v22, v6, v1, vcc
	v_cmp_eq_u32_e32 vcc, 0, v23
	v_mov_b32_e32 v23, 0x7f800001
	v_cndmask_b32_e32 v22, v23, v22, vcc
; %bb.7940:                             ;   in Loop: Header=BB4_7733 Depth=3
	s_or_b64 exec, exec, s[74:75]
.LBB4_7941:                             ;   in Loop: Header=BB4_7733 Depth=3
	s_or_b64 exec, exec, s[72:73]
.LBB4_7942:                             ;   in Loop: Header=BB4_7733 Depth=3
	s_or_b64 exec, exec, s[70:71]
	v_max_f32_e32 v22, v22, v22
	v_max_f32_e32 v0, v0, v0
	;; [unrolled: 1-line block ×3, first 2 shown]
	s_branch .LBB4_7961
.LBB4_7943:                             ;   in Loop: Header=BB4_7733 Depth=3
                                        ; implicit-def: $vgpr24
	s_cbranch_execz .LBB4_7961
; %bb.7944:                             ;   in Loop: Header=BB4_7733 Depth=3
	v_mov_b32_e32 v22, 0
	v_mov_b32_e32 v0, 0
	s_and_saveexec_b64 s[70:71], s[30:31]
	s_cbranch_execz .LBB4_7952
; %bb.7945:                             ;   in Loop: Header=BB4_7733 Depth=3
	v_cmp_ne_u16_sdwa vcc, v13, s97 src0_sel:BYTE_0 src1_sel:DWORD
	v_bfrev_b32_e32 v0, 1
	s_and_saveexec_b64 s[30:31], vcc
	s_cbranch_execz .LBB4_7951
; %bb.7946:                             ;   in Loop: Header=BB4_7733 Depth=3
	v_and_b32_e32 v0, 0x7c, v13
	v_and_b32_e32 v23, 3, v13
	v_cmp_ne_u32_e32 vcc, s95, v0
                                        ; implicit-def: $vgpr0
	s_and_saveexec_b64 s[72:73], vcc
	s_xor_b64 s[72:73], exec, s[72:73]
	s_cbranch_execz .LBB4_7948
; %bb.7947:                             ;   in Loop: Header=BB4_7733 Depth=3
	v_ffbh_u32_e32 v24, v23
	v_min_u32_e32 v32, 32, v24
	v_subrev_u32_e32 v24, 29, v32
	v_bfe_u32 v0, v13, 2, 5
	v_lshlrev_b64 v[24:25], v24, v[42:43]
	v_sub_u32_e32 v25, 30, v32
	v_cmp_eq_u32_e32 vcc, 0, v0
	v_and_b32_e32 v24, 3, v24
	v_cndmask_b32_e32 v0, v0, v25, vcc
	v_bfrev_b32_e32 v25, 28
	v_cndmask_b32_e32 v23, v23, v24, vcc
	v_lshlrev_b32_e32 v24, 24, v13
	v_lshl_add_u32 v0, v0, 23, v25
	v_and_or_b32 v0, v24, s96, v0
	v_lshl_or_b32 v0, v23, 21, v0
                                        ; implicit-def: $vgpr23
.LBB4_7948:                             ;   in Loop: Header=BB4_7733 Depth=3
	s_andn2_saveexec_b64 s[72:73], s[72:73]
; %bb.7949:                             ;   in Loop: Header=BB4_7733 Depth=3
	v_mov_b32_e32 v0, -1
	v_cmp_gt_i16_sdwa vcc, sext(v13), v0 src0_sel:BYTE_0 src1_sel:DWORD
	v_cndmask_b32_e32 v0, v6, v1, vcc
	v_cmp_eq_u32_e32 vcc, 0, v23
	v_mov_b32_e32 v23, 0x7f800001
	v_cndmask_b32_e32 v0, v23, v0, vcc
; %bb.7950:                             ;   in Loop: Header=BB4_7733 Depth=3
	s_or_b64 exec, exec, s[72:73]
.LBB4_7951:                             ;   in Loop: Header=BB4_7733 Depth=3
	s_or_b64 exec, exec, s[30:31]
.LBB4_7952:                             ;   in Loop: Header=BB4_7733 Depth=3
	s_or_b64 exec, exec, s[70:71]
	v_cmp_ne_u16_sdwa vcc, v9, v43 src0_sel:BYTE_0 src1_sel:DWORD
	s_and_saveexec_b64 s[30:31], vcc
	s_cbranch_execz .LBB4_7960
; %bb.7953:                             ;   in Loop: Header=BB4_7733 Depth=3
	v_cmp_ne_u16_sdwa vcc, v9, s97 src0_sel:BYTE_0 src1_sel:DWORD
	v_bfrev_b32_e32 v22, 1
	s_and_saveexec_b64 s[70:71], vcc
	s_cbranch_execz .LBB4_7959
; %bb.7954:                             ;   in Loop: Header=BB4_7733 Depth=3
	v_and_b32_e32 v22, 0x7c, v9
	v_and_b32_e32 v23, 3, v9
	v_cmp_ne_u32_e32 vcc, s95, v22
                                        ; implicit-def: $vgpr22
	s_and_saveexec_b64 s[72:73], vcc
	s_xor_b64 s[72:73], exec, s[72:73]
	s_cbranch_execz .LBB4_7956
; %bb.7955:                             ;   in Loop: Header=BB4_7733 Depth=3
	v_ffbh_u32_e32 v24, v23
	v_min_u32_e32 v32, 32, v24
	v_subrev_u32_e32 v24, 29, v32
	v_bfe_u32 v22, v9, 2, 5
	v_lshlrev_b64 v[24:25], v24, v[20:21]
	v_sub_u32_e32 v21, 30, v32
	v_and_b32_e32 v24, 3, v24
	v_cmp_eq_u32_e32 vcc, 0, v22
	v_cndmask_b32_e32 v21, v22, v21, vcc
	v_cndmask_b32_e32 v22, v23, v24, vcc
	v_bfrev_b32_e32 v24, 28
	v_lshlrev_b32_e32 v23, 24, v9
	v_lshl_add_u32 v21, v21, 23, v24
	v_and_or_b32 v21, v23, s96, v21
	v_lshl_or_b32 v22, v22, 21, v21
                                        ; implicit-def: $vgpr23
.LBB4_7956:                             ;   in Loop: Header=BB4_7733 Depth=3
	s_andn2_saveexec_b64 s[72:73], s[72:73]
; %bb.7957:                             ;   in Loop: Header=BB4_7733 Depth=3
	v_mov_b32_e32 v21, -1
	v_cmp_gt_i16_sdwa vcc, sext(v9), v21 src0_sel:BYTE_0 src1_sel:DWORD
	v_cndmask_b32_e32 v21, v6, v1, vcc
	v_cmp_eq_u32_e32 vcc, 0, v23
	v_mov_b32_e32 v22, 0x7f800001
	v_cndmask_b32_e32 v22, v22, v21, vcc
; %bb.7958:                             ;   in Loop: Header=BB4_7733 Depth=3
	s_or_b64 exec, exec, s[72:73]
.LBB4_7959:                             ;   in Loop: Header=BB4_7733 Depth=3
	s_or_b64 exec, exec, s[70:71]
.LBB4_7960:                             ;   in Loop: Header=BB4_7733 Depth=3
	s_or_b64 exec, exec, s[30:31]
	v_max_f32_e32 v21, v22, v22
	v_max_f32_e32 v0, v0, v0
	v_min_f32_e32 v24, v0, v21
.LBB4_7961:                             ;   in Loop: Header=BB4_7733 Depth=3
	v_and_b32_sdwa v0, v24, s97 dst_sel:DWORD dst_unused:UNUSED_PAD src0_sel:BYTE_3 src1_sel:DWORD
	v_and_b32_e32 v36, 0x7f800000, v24
	v_mov_b32_e32 v37, v43
	v_and_b32_e32 v22, 0x7fffff, v24
	v_mov_b32_e32 v23, v43
	v_or_b32_e32 v52, 0x7b, v0
	v_cmp_ne_u64_e32 vcc, s[52:53], v[36:37]
	s_and_saveexec_b64 s[30:31], vcc
	s_xor_b64 s[70:71], exec, s[30:31]
	s_cbranch_execz .LBB4_7971
; %bb.7962:                             ;   in Loop: Header=BB4_7733 Depth=3
	v_and_b32_e32 v36, 0x7fffffff, v24
	v_mov_b32_e32 v37, v43
	v_cmp_gt_u64_e32 vcc, s[54:55], v[36:37]
	s_and_saveexec_b64 s[72:73], vcc
	s_cbranch_execz .LBB4_7970
; %bb.7963:                             ;   in Loop: Header=BB4_7733 Depth=3
	v_cmp_ne_u32_e32 vcc, 0, v24
	v_mov_b32_e32 v52, 0
	s_and_saveexec_b64 s[74:75], vcc
	s_cbranch_execz .LBB4_7969
; %bb.7964:                             ;   in Loop: Header=BB4_7733 Depth=3
	v_bfe_u32 v21, v24, 23, 8
	v_cmp_eq_u32_e32 vcc, 0, v21
	v_add_u32_e32 v24, 0xffffff81, v21
	v_cmp_gt_u32_e64 s[30:31], s38, v21
	v_sub_u32_e32 v21, 0x71, v21
	v_mov_b32_e32 v32, 0xffffff82
	v_cndmask_b32_e64 v21, 0, v21, s[30:31]
	v_cndmask_b32_e32 v32, v24, v32, vcc
	v_mov_b32_e32 v24, 0x70
	v_cndmask_b32_e32 v21, v21, v24, vcc
	v_or_b32_e32 v25, 0x800000, v22
	v_add_u32_e32 v24, 21, v21
	v_cndmask_b32_e32 v22, v25, v22, vcc
	v_lshlrev_b64 v[24:25], v24, -1
	v_not_b32_e32 v25, v25
	v_not_b32_e32 v24, v24
	v_add_u32_e32 v33, 20, v21
	v_and_b32_e32 v25, 0, v25
	v_and_b32_e32 v24, v22, v24
	v_lshlrev_b64 v[36:37], v33, 1
	v_lshrrev_b64 v[22:23], v21, v[22:23]
	v_cmp_eq_u64_e32 vcc, v[24:25], v[36:37]
	v_lshrrev_b32_e32 v24, 23, v22
	v_add3_u32 v25, v21, v32, v24
	v_bfe_u32 v21, v22, 21, 1
	v_add_u32_e32 v21, -1, v21
	v_cndmask_b32_e32 v21, 0, v21, vcc
	v_add_u32_e32 v21, v21, v22
	v_and_b32_e32 v21, 0x1fffff, v21
	v_add_co_u32_e32 v22, vcc, v21, v22
	v_add_u32_e32 v24, 14, v25
	v_addc_co_u32_e32 v23, vcc, 0, v23, vcc
	v_cmp_ne_u32_e32 vcc, 0, v24
                                        ; implicit-def: $vgpr21
	s_and_saveexec_b64 s[30:31], vcc
	s_xor_b64 s[30:31], exec, s[30:31]
; %bb.7965:                             ;   in Loop: Header=BB4_7733 Depth=3
	v_add_u32_e32 v21, 15, v25
	v_cmp_lt_u64_e32 vcc, s[56:57], v[22:23]
	v_cndmask_b32_e32 v21, v24, v21, vcc
	v_cndmask_b32_e64 v24, 0, 1, vcc
	v_lshrrev_b64 v[22:23], v24, v[22:23]
; %bb.7966:                             ;   in Loop: Header=BB4_7733 Depth=3
	s_andn2_saveexec_b64 vcc, s[30:31]
; %bb.7967:                             ;   in Loop: Header=BB4_7733 Depth=3
	v_bfe_u32 v21, v22, 23, 1
; %bb.7968:                             ;   in Loop: Header=BB4_7733 Depth=3
	s_or_b64 exec, exec, vcc
	v_lshrrev_b64 v[22:23], 21, v[22:23]
	v_cmp_gt_i32_e32 vcc, 32, v21
	v_cndmask_b32_e32 v23, 0, v23, vcc
	v_cndmask_b32_e32 v22, 3, v22, vcc
	v_cmp_eq_u32_e32 vcc, 0, v21
	v_min_i32_e32 v21, 31, v21
	v_cmp_eq_u64_e64 s[30:31], 0, v[22:23]
	v_lshlrev_b32_e32 v21, 2, v21
	v_and_or_b32 v21, v22, 3, v21
	s_and_b64 vcc, vcc, s[30:31]
	v_cndmask_b32_e64 v21, v21, 0, vcc
	v_or_b32_e32 v52, v21, v0
.LBB4_7969:                             ;   in Loop: Header=BB4_7733 Depth=3
	s_or_b64 exec, exec, s[74:75]
.LBB4_7970:                             ;   in Loop: Header=BB4_7733 Depth=3
	s_or_b64 exec, exec, s[72:73]
                                        ; implicit-def: $vgpr24
                                        ; implicit-def: $vgpr22_vgpr23
.LBB4_7971:                             ;   in Loop: Header=BB4_7733 Depth=3
	s_andn2_saveexec_b64 s[30:31], s[70:71]
; %bb.7972:                             ;   in Loop: Header=BB4_7733 Depth=3
	v_or_b32_sdwa v0, v24, s39 dst_sel:DWORD dst_unused:UNUSED_PAD src0_sel:BYTE_3 src1_sel:DWORD
	v_cmp_eq_u64_e32 vcc, 0, v[22:23]
	v_cndmask_b32_e32 v52, v0, v52, vcc
; %bb.7973:                             ;   in Loop: Header=BB4_7733 Depth=3
	s_or_b64 exec, exec, s[30:31]
	v_lshrrev_b16_e32 v24, 8, v42
	v_lshrrev_b16_e32 v22, 8, v20
	v_cmp_ne_u16_e64 s[30:31], 0, v24
	s_and_b64 vcc, exec, s[68:69]
	s_cbranch_vccz .LBB4_7991
; %bb.7974:                             ;   in Loop: Header=BB4_7733 Depth=3
	v_mov_b32_e32 v21, 0
	v_mov_b32_e32 v0, 0
	s_and_saveexec_b64 s[70:71], s[30:31]
	s_cbranch_execz .LBB4_7982
; %bb.7975:                             ;   in Loop: Header=BB4_7733 Depth=3
	v_cmp_ne_u16_e32 vcc, s97, v24
	v_bfrev_b32_e32 v0, 1
	s_and_saveexec_b64 s[72:73], vcc
	s_cbranch_execz .LBB4_7981
; %bb.7976:                             ;   in Loop: Header=BB4_7733 Depth=3
	v_and_b32_e32 v0, 0x7c, v24
	v_and_b32_e32 v23, 3, v24
	v_cmp_ne_u32_e32 vcc, s95, v0
                                        ; implicit-def: $vgpr0
	s_and_saveexec_b64 s[74:75], vcc
	s_xor_b64 s[74:75], exec, s[74:75]
	s_cbranch_execz .LBB4_7978
; %bb.7977:                             ;   in Loop: Header=BB4_7733 Depth=3
	v_ffbh_u32_e32 v32, v23
	v_min_u32_e32 v32, 32, v32
	v_mov_b32_e32 v25, v43
	v_subrev_u32_e32 v33, 29, v32
	v_bfe_u32 v0, v24, 2, 5
	v_lshlrev_b64 v[36:37], v33, v[24:25]
	v_sub_u32_e32 v25, 30, v32
	v_and_b32_e32 v32, 3, v36
	v_cmp_eq_u32_e32 vcc, 0, v0
	v_cndmask_b32_e32 v0, v0, v25, vcc
	v_cndmask_b32_e32 v23, v23, v32, vcc
	v_bfrev_b32_e32 v32, 28
	v_lshlrev_b32_e32 v25, 16, v42
	v_lshl_add_u32 v0, v0, 23, v32
	v_and_or_b32 v0, v25, s96, v0
	v_lshl_or_b32 v0, v23, 21, v0
                                        ; implicit-def: $vgpr23
.LBB4_7978:                             ;   in Loop: Header=BB4_7733 Depth=3
	s_andn2_saveexec_b64 s[74:75], s[74:75]
; %bb.7979:                             ;   in Loop: Header=BB4_7733 Depth=3
	v_cmp_lt_i16_e32 vcc, -1, v42
	v_cndmask_b32_e32 v0, v6, v1, vcc
	v_cmp_eq_u32_e32 vcc, 0, v23
	v_mov_b32_e32 v23, 0x7f800001
	v_cndmask_b32_e32 v0, v23, v0, vcc
; %bb.7980:                             ;   in Loop: Header=BB4_7733 Depth=3
	s_or_b64 exec, exec, s[74:75]
.LBB4_7981:                             ;   in Loop: Header=BB4_7733 Depth=3
	s_or_b64 exec, exec, s[72:73]
.LBB4_7982:                             ;   in Loop: Header=BB4_7733 Depth=3
	s_or_b64 exec, exec, s[70:71]
	v_cmp_ne_u16_e32 vcc, 0, v22
	s_and_saveexec_b64 s[70:71], vcc
	s_cbranch_execz .LBB4_7990
; %bb.7983:                             ;   in Loop: Header=BB4_7733 Depth=3
	v_cmp_ne_u16_e32 vcc, s97, v22
	v_bfrev_b32_e32 v21, 1
	s_and_saveexec_b64 s[72:73], vcc
	s_cbranch_execz .LBB4_7989
; %bb.7984:                             ;   in Loop: Header=BB4_7733 Depth=3
	v_and_b32_e32 v21, 0x7c, v22
	v_and_b32_e32 v25, 3, v22
	v_cmp_ne_u32_e32 vcc, s95, v21
                                        ; implicit-def: $vgpr21
	s_and_saveexec_b64 s[74:75], vcc
	s_xor_b64 s[74:75], exec, s[74:75]
	s_cbranch_execz .LBB4_7986
; %bb.7985:                             ;   in Loop: Header=BB4_7733 Depth=3
	v_ffbh_u32_e32 v32, v25
	v_min_u32_e32 v32, 32, v32
	v_mov_b32_e32 v23, v43
	v_subrev_u32_e32 v33, 29, v32
	v_bfe_u32 v21, v22, 2, 5
	v_lshlrev_b64 v[36:37], v33, v[22:23]
	v_sub_u32_e32 v23, 30, v32
	v_and_b32_e32 v32, 3, v36
	v_cmp_eq_u32_e32 vcc, 0, v21
	v_cndmask_b32_e32 v21, v21, v23, vcc
	v_cndmask_b32_e32 v23, v25, v32, vcc
	v_bfrev_b32_e32 v32, 28
	v_lshlrev_b32_e32 v25, 16, v20
	v_lshl_add_u32 v21, v21, 23, v32
	v_and_or_b32 v21, v25, s96, v21
	v_lshl_or_b32 v21, v23, 21, v21
                                        ; implicit-def: $vgpr25
.LBB4_7986:                             ;   in Loop: Header=BB4_7733 Depth=3
	s_andn2_saveexec_b64 s[74:75], s[74:75]
; %bb.7987:                             ;   in Loop: Header=BB4_7733 Depth=3
	v_cmp_lt_i16_e32 vcc, -1, v20
	v_cndmask_b32_e32 v21, v6, v1, vcc
	v_cmp_eq_u32_e32 vcc, 0, v25
	v_mov_b32_e32 v23, 0x7f800001
	v_cndmask_b32_e32 v21, v23, v21, vcc
; %bb.7988:                             ;   in Loop: Header=BB4_7733 Depth=3
	s_or_b64 exec, exec, s[74:75]
.LBB4_7989:                             ;   in Loop: Header=BB4_7733 Depth=3
	s_or_b64 exec, exec, s[72:73]
.LBB4_7990:                             ;   in Loop: Header=BB4_7733 Depth=3
	s_or_b64 exec, exec, s[70:71]
	v_max_f32_e32 v21, v21, v21
	v_max_f32_e32 v0, v0, v0
	;; [unrolled: 1-line block ×3, first 2 shown]
	s_branch .LBB4_8009
.LBB4_7991:                             ;   in Loop: Header=BB4_7733 Depth=3
                                        ; implicit-def: $vgpr21
	s_cbranch_execz .LBB4_8009
; %bb.7992:                             ;   in Loop: Header=BB4_7733 Depth=3
	v_mov_b32_e32 v23, 0
	v_mov_b32_e32 v0, 0
	s_and_saveexec_b64 s[70:71], s[30:31]
	s_cbranch_execz .LBB4_8000
; %bb.7993:                             ;   in Loop: Header=BB4_7733 Depth=3
	v_cmp_ne_u16_e32 vcc, s97, v24
	v_bfrev_b32_e32 v0, 1
	s_and_saveexec_b64 s[30:31], vcc
	s_cbranch_execz .LBB4_7999
; %bb.7994:                             ;   in Loop: Header=BB4_7733 Depth=3
	v_and_b32_e32 v0, 0x7c, v24
	v_and_b32_e32 v21, 3, v24
	v_cmp_ne_u32_e32 vcc, s95, v0
                                        ; implicit-def: $vgpr0
	s_and_saveexec_b64 s[72:73], vcc
	s_xor_b64 s[72:73], exec, s[72:73]
	s_cbranch_execz .LBB4_7996
; %bb.7995:                             ;   in Loop: Header=BB4_7733 Depth=3
	v_ffbh_u32_e32 v32, v21
	v_min_u32_e32 v32, 32, v32
	v_mov_b32_e32 v25, v43
	v_subrev_u32_e32 v33, 29, v32
	v_bfe_u32 v0, v24, 2, 5
	v_lshlrev_b64 v[24:25], v33, v[24:25]
	v_sub_u32_e32 v25, 30, v32
	v_cmp_eq_u32_e32 vcc, 0, v0
	v_and_b32_e32 v24, 3, v24
	v_cndmask_b32_e32 v0, v0, v25, vcc
	v_bfrev_b32_e32 v25, 28
	v_cndmask_b32_e32 v21, v21, v24, vcc
	v_lshlrev_b32_e32 v24, 16, v42
	v_lshl_add_u32 v0, v0, 23, v25
	v_and_or_b32 v0, v24, s96, v0
	v_lshl_or_b32 v0, v21, 21, v0
                                        ; implicit-def: $vgpr21
.LBB4_7996:                             ;   in Loop: Header=BB4_7733 Depth=3
	s_andn2_saveexec_b64 s[72:73], s[72:73]
; %bb.7997:                             ;   in Loop: Header=BB4_7733 Depth=3
	v_cmp_lt_i16_e32 vcc, -1, v42
	v_cndmask_b32_e32 v0, v6, v1, vcc
	v_cmp_eq_u32_e32 vcc, 0, v21
	v_mov_b32_e32 v21, 0x7f800001
	v_cndmask_b32_e32 v0, v21, v0, vcc
; %bb.7998:                             ;   in Loop: Header=BB4_7733 Depth=3
	s_or_b64 exec, exec, s[72:73]
.LBB4_7999:                             ;   in Loop: Header=BB4_7733 Depth=3
	s_or_b64 exec, exec, s[30:31]
.LBB4_8000:                             ;   in Loop: Header=BB4_7733 Depth=3
	s_or_b64 exec, exec, s[70:71]
	v_cmp_ne_u16_e32 vcc, 0, v22
	s_and_saveexec_b64 s[30:31], vcc
	s_cbranch_execz .LBB4_8008
; %bb.8001:                             ;   in Loop: Header=BB4_7733 Depth=3
	v_cmp_ne_u16_e32 vcc, s97, v22
	v_bfrev_b32_e32 v23, 1
	s_and_saveexec_b64 s[70:71], vcc
	s_cbranch_execz .LBB4_8007
; %bb.8002:                             ;   in Loop: Header=BB4_7733 Depth=3
	v_and_b32_e32 v21, 0x7c, v22
	v_and_b32_e32 v24, 3, v22
	v_cmp_ne_u32_e32 vcc, s95, v21
                                        ; implicit-def: $vgpr23
	s_and_saveexec_b64 s[72:73], vcc
	s_xor_b64 s[72:73], exec, s[72:73]
	s_cbranch_execz .LBB4_8004
; %bb.8003:                             ;   in Loop: Header=BB4_7733 Depth=3
	v_ffbh_u32_e32 v25, v24
	v_min_u32_e32 v25, 32, v25
	v_mov_b32_e32 v23, v43
	v_subrev_u32_e32 v32, 29, v25
	v_bfe_u32 v21, v22, 2, 5
	v_lshlrev_b64 v[22:23], v32, v[22:23]
	v_sub_u32_e32 v23, 30, v25
	v_cmp_eq_u32_e32 vcc, 0, v21
	v_cndmask_b32_e32 v21, v21, v23, vcc
	v_bfrev_b32_e32 v23, 28
	v_and_b32_e32 v22, 3, v22
	v_lshlrev_b32_e32 v20, 16, v20
	v_lshl_add_u32 v21, v21, 23, v23
	v_cndmask_b32_e32 v22, v24, v22, vcc
	v_and_or_b32 v20, v20, s96, v21
	v_lshl_or_b32 v23, v22, 21, v20
                                        ; implicit-def: $vgpr24
                                        ; implicit-def: $vgpr20_vgpr21
.LBB4_8004:                             ;   in Loop: Header=BB4_7733 Depth=3
	s_andn2_saveexec_b64 s[72:73], s[72:73]
; %bb.8005:                             ;   in Loop: Header=BB4_7733 Depth=3
	v_cmp_lt_i16_e32 vcc, -1, v20
	v_cndmask_b32_e32 v20, v6, v1, vcc
	v_cmp_eq_u32_e32 vcc, 0, v24
	v_mov_b32_e32 v21, 0x7f800001
	v_cndmask_b32_e32 v23, v21, v20, vcc
; %bb.8006:                             ;   in Loop: Header=BB4_7733 Depth=3
	s_or_b64 exec, exec, s[72:73]
.LBB4_8007:                             ;   in Loop: Header=BB4_7733 Depth=3
	s_or_b64 exec, exec, s[70:71]
.LBB4_8008:                             ;   in Loop: Header=BB4_7733 Depth=3
	s_or_b64 exec, exec, s[30:31]
	v_max_f32_e32 v20, v23, v23
	v_max_f32_e32 v0, v0, v0
	v_min_f32_e32 v21, v0, v20
.LBB4_8009:                             ;   in Loop: Header=BB4_7733 Depth=3
	v_and_b32_sdwa v22, v21, s97 dst_sel:DWORD dst_unused:UNUSED_PAD src0_sel:BYTE_3 src1_sel:DWORD
	v_and_b32_e32 v24, 0x7f800000, v21
	v_mov_b32_e32 v25, v43
	v_and_b32_e32 v42, 0x7fffff, v21
	v_or_b32_e32 v0, 0x7b, v22
	v_cmp_ne_u64_e32 vcc, s[52:53], v[24:25]
	s_and_saveexec_b64 s[30:31], vcc
	s_xor_b64 s[70:71], exec, s[30:31]
	s_cbranch_execz .LBB4_8019
; %bb.8010:                             ;   in Loop: Header=BB4_7733 Depth=3
	v_and_b32_e32 v24, 0x7fffffff, v21
	v_mov_b32_e32 v25, v43
	v_cmp_gt_u64_e32 vcc, s[54:55], v[24:25]
	s_and_saveexec_b64 s[72:73], vcc
	s_cbranch_execz .LBB4_8018
; %bb.8011:                             ;   in Loop: Header=BB4_7733 Depth=3
	v_cmp_ne_u32_e32 vcc, 0, v21
	v_mov_b32_e32 v0, 0
	s_and_saveexec_b64 s[74:75], vcc
	s_cbranch_execz .LBB4_8017
; %bb.8012:                             ;   in Loop: Header=BB4_7733 Depth=3
	v_bfe_u32 v0, v21, 23, 8
	v_cmp_eq_u32_e32 vcc, 0, v0
	v_add_u32_e32 v20, 0xffffff81, v0
	v_cmp_gt_u32_e64 s[30:31], s38, v0
	v_sub_u32_e32 v0, 0x71, v0
	v_mov_b32_e32 v23, 0xffffff82
	v_cndmask_b32_e64 v0, 0, v0, s[30:31]
	v_cndmask_b32_e32 v23, v20, v23, vcc
	v_mov_b32_e32 v20, 0x70
	v_cndmask_b32_e32 v0, v0, v20, vcc
	v_or_b32_e32 v21, 0x800000, v42
	v_add_u32_e32 v20, 21, v0
	v_cndmask_b32_e32 v42, v21, v42, vcc
	v_lshlrev_b64 v[20:21], v20, -1
	v_not_b32_e32 v21, v21
	v_not_b32_e32 v20, v20
	v_add_u32_e32 v24, 20, v0
	v_and_b32_e32 v21, 0, v21
	v_and_b32_e32 v20, v42, v20
	v_lshlrev_b64 v[24:25], v24, 1
	v_cmp_eq_u64_e32 vcc, v[20:21], v[24:25]
	v_lshrrev_b64 v[20:21], v0, v[42:43]
	v_lshrrev_b32_e32 v24, 23, v20
	v_add3_u32 v24, v0, v23, v24
	v_bfe_u32 v0, v20, 21, 1
	v_add_u32_e32 v0, -1, v0
	v_cndmask_b32_e32 v0, 0, v0, vcc
	v_add_u32_e32 v0, v0, v20
	v_and_b32_e32 v0, 0x1fffff, v0
	v_add_co_u32_e32 v20, vcc, v0, v20
	v_add_u32_e32 v23, 14, v24
	v_addc_co_u32_e32 v21, vcc, 0, v21, vcc
	v_cmp_ne_u32_e32 vcc, 0, v23
                                        ; implicit-def: $vgpr0
	s_and_saveexec_b64 s[30:31], vcc
	s_xor_b64 s[30:31], exec, s[30:31]
; %bb.8013:                             ;   in Loop: Header=BB4_7733 Depth=3
	v_add_u32_e32 v0, 15, v24
	v_cmp_lt_u64_e32 vcc, s[56:57], v[20:21]
	v_cndmask_b32_e32 v0, v23, v0, vcc
	v_cndmask_b32_e64 v23, 0, 1, vcc
	v_lshrrev_b64 v[20:21], v23, v[20:21]
; %bb.8014:                             ;   in Loop: Header=BB4_7733 Depth=3
	s_andn2_saveexec_b64 vcc, s[30:31]
; %bb.8015:                             ;   in Loop: Header=BB4_7733 Depth=3
	v_bfe_u32 v0, v20, 23, 1
; %bb.8016:                             ;   in Loop: Header=BB4_7733 Depth=3
	s_or_b64 exec, exec, vcc
	v_lshrrev_b64 v[20:21], 21, v[20:21]
	v_cmp_gt_i32_e32 vcc, 32, v0
	v_cndmask_b32_e32 v21, 0, v21, vcc
	v_cndmask_b32_e32 v20, 3, v20, vcc
	v_cmp_eq_u32_e32 vcc, 0, v0
	v_min_i32_e32 v0, 31, v0
	v_cmp_eq_u64_e64 s[30:31], 0, v[20:21]
	v_lshlrev_b32_e32 v0, 2, v0
	v_and_or_b32 v0, v20, 3, v0
	s_and_b64 vcc, vcc, s[30:31]
	v_cndmask_b32_e64 v0, v0, 0, vcc
	v_or_b32_e32 v0, v0, v22
.LBB4_8017:                             ;   in Loop: Header=BB4_7733 Depth=3
	s_or_b64 exec, exec, s[74:75]
.LBB4_8018:                             ;   in Loop: Header=BB4_7733 Depth=3
	s_or_b64 exec, exec, s[72:73]
                                        ; implicit-def: $vgpr21
.LBB4_8019:                             ;   in Loop: Header=BB4_7733 Depth=3
	s_andn2_saveexec_b64 s[30:31], s[70:71]
; %bb.8020:                             ;   in Loop: Header=BB4_7733 Depth=3
	v_or_b32_sdwa v20, v21, s39 dst_sel:DWORD dst_unused:UNUSED_PAD src0_sel:BYTE_3 src1_sel:DWORD
	v_cmp_eq_u64_e32 vcc, 0, v[42:43]
	v_cndmask_b32_e32 v0, v20, v0, vcc
; %bb.8021:                             ;   in Loop: Header=BB4_7733 Depth=3
	s_or_b64 exec, exec, s[30:31]
	v_lshrrev_b32_e32 v22, 16, v13
	v_lshrrev_b32_e32 v20, 16, v9
	v_cmp_ne_u16_sdwa s[30:31], v22, v43 src0_sel:BYTE_0 src1_sel:DWORD
	s_and_b64 vcc, exec, s[68:69]
	s_cbranch_vccz .LBB4_8039
; %bb.8022:                             ;   in Loop: Header=BB4_7733 Depth=3
	v_mov_b32_e32 v23, 0
	v_mov_b32_e32 v21, 0
	s_and_saveexec_b64 s[70:71], s[30:31]
	s_cbranch_execz .LBB4_8030
; %bb.8023:                             ;   in Loop: Header=BB4_7733 Depth=3
	v_cmp_ne_u16_sdwa vcc, v22, s97 src0_sel:BYTE_0 src1_sel:DWORD
	v_bfrev_b32_e32 v21, 1
	s_and_saveexec_b64 s[72:73], vcc
	s_cbranch_execz .LBB4_8029
; %bb.8024:                             ;   in Loop: Header=BB4_7733 Depth=3
	v_and_b32_e32 v21, 0x7c0000, v13
	v_bfe_u32 v24, v13, 16, 2
	v_cmp_ne_u32_e32 vcc, s36, v21
                                        ; implicit-def: $vgpr21
	s_and_saveexec_b64 s[74:75], vcc
	s_xor_b64 s[74:75], exec, s[74:75]
	s_cbranch_execz .LBB4_8026
; %bb.8025:                             ;   in Loop: Header=BB4_7733 Depth=3
	v_ffbh_u32_e32 v25, v24
	v_min_u32_e32 v25, 32, v25
	v_subrev_u32_e32 v32, 29, v25
	v_bfe_u32 v21, v13, 18, 5
	v_lshlrev_b64 v[36:37], v32, v[22:23]
	v_sub_u32_e32 v25, 30, v25
	v_and_b32_e32 v32, 3, v36
	v_cmp_eq_u32_e32 vcc, 0, v21
	v_cndmask_b32_e32 v21, v21, v25, vcc
	v_cndmask_b32_e32 v24, v24, v32, vcc
	v_bfrev_b32_e32 v32, 28
	v_lshlrev_b32_e32 v25, 24, v22
	v_lshl_add_u32 v21, v21, 23, v32
	v_and_or_b32 v21, v25, s96, v21
	v_lshl_or_b32 v21, v24, 21, v21
                                        ; implicit-def: $vgpr24
.LBB4_8026:                             ;   in Loop: Header=BB4_7733 Depth=3
	s_andn2_saveexec_b64 s[74:75], s[74:75]
; %bb.8027:                             ;   in Loop: Header=BB4_7733 Depth=3
	v_mov_b32_e32 v21, -1
	v_cmp_gt_i16_sdwa vcc, sext(v22), v21 src0_sel:BYTE_0 src1_sel:DWORD
	v_cndmask_b32_e32 v21, v6, v1, vcc
	v_cmp_eq_u32_e32 vcc, 0, v24
	v_mov_b32_e32 v24, 0x7f800001
	v_cndmask_b32_e32 v21, v24, v21, vcc
; %bb.8028:                             ;   in Loop: Header=BB4_7733 Depth=3
	s_or_b64 exec, exec, s[74:75]
.LBB4_8029:                             ;   in Loop: Header=BB4_7733 Depth=3
	s_or_b64 exec, exec, s[72:73]
.LBB4_8030:                             ;   in Loop: Header=BB4_7733 Depth=3
	s_or_b64 exec, exec, s[70:71]
	v_cmp_ne_u16_sdwa vcc, v20, v43 src0_sel:BYTE_0 src1_sel:DWORD
	s_and_saveexec_b64 s[70:71], vcc
	s_cbranch_execz .LBB4_8038
; %bb.8031:                             ;   in Loop: Header=BB4_7733 Depth=3
	v_cmp_ne_u16_sdwa vcc, v20, s97 src0_sel:BYTE_0 src1_sel:DWORD
	v_bfrev_b32_e32 v23, 1
	s_and_saveexec_b64 s[72:73], vcc
	s_cbranch_execz .LBB4_8037
; %bb.8032:                             ;   in Loop: Header=BB4_7733 Depth=3
	v_and_b32_e32 v23, 0x7c0000, v9
	v_bfe_u32 v24, v9, 16, 2
	v_cmp_ne_u32_e32 vcc, s36, v23
                                        ; implicit-def: $vgpr23
	s_and_saveexec_b64 s[74:75], vcc
	s_xor_b64 s[74:75], exec, s[74:75]
	s_cbranch_execz .LBB4_8034
; %bb.8033:                             ;   in Loop: Header=BB4_7733 Depth=3
	v_ffbh_u32_e32 v25, v24
	v_min_u32_e32 v25, 32, v25
	v_subrev_u32_e32 v32, 29, v25
	v_bfe_u32 v23, v9, 18, 5
	v_lshlrev_b64 v[36:37], v32, v[20:21]
	v_sub_u32_e32 v25, 30, v25
	v_and_b32_e32 v32, 3, v36
	v_cmp_eq_u32_e32 vcc, 0, v23
	v_cndmask_b32_e32 v23, v23, v25, vcc
	v_cndmask_b32_e32 v24, v24, v32, vcc
	v_bfrev_b32_e32 v32, 28
	v_lshlrev_b32_e32 v25, 24, v20
	v_lshl_add_u32 v23, v23, 23, v32
	v_and_or_b32 v23, v25, s96, v23
	v_lshl_or_b32 v23, v24, 21, v23
                                        ; implicit-def: $vgpr24
.LBB4_8034:                             ;   in Loop: Header=BB4_7733 Depth=3
	s_andn2_saveexec_b64 s[74:75], s[74:75]
; %bb.8035:                             ;   in Loop: Header=BB4_7733 Depth=3
	v_mov_b32_e32 v23, -1
	v_cmp_gt_i16_sdwa vcc, sext(v20), v23 src0_sel:BYTE_0 src1_sel:DWORD
	v_cndmask_b32_e32 v23, v6, v1, vcc
	v_cmp_eq_u32_e32 vcc, 0, v24
	v_mov_b32_e32 v24, 0x7f800001
	v_cndmask_b32_e32 v23, v24, v23, vcc
; %bb.8036:                             ;   in Loop: Header=BB4_7733 Depth=3
	s_or_b64 exec, exec, s[74:75]
.LBB4_8037:                             ;   in Loop: Header=BB4_7733 Depth=3
	s_or_b64 exec, exec, s[72:73]
.LBB4_8038:                             ;   in Loop: Header=BB4_7733 Depth=3
	s_or_b64 exec, exec, s[70:71]
	v_max_f32_e32 v23, v23, v23
	v_max_f32_e32 v21, v21, v21
	;; [unrolled: 1-line block ×3, first 2 shown]
	s_branch .LBB4_8057
.LBB4_8039:                             ;   in Loop: Header=BB4_7733 Depth=3
                                        ; implicit-def: $vgpr21
	s_cbranch_execz .LBB4_8057
; %bb.8040:                             ;   in Loop: Header=BB4_7733 Depth=3
	v_mov_b32_e32 v23, 0
	v_mov_b32_e32 v21, 0
	s_and_saveexec_b64 s[70:71], s[30:31]
	s_cbranch_execz .LBB4_8048
; %bb.8041:                             ;   in Loop: Header=BB4_7733 Depth=3
	v_cmp_ne_u16_sdwa vcc, v22, s97 src0_sel:BYTE_0 src1_sel:DWORD
	v_bfrev_b32_e32 v21, 1
	s_and_saveexec_b64 s[30:31], vcc
	s_cbranch_execz .LBB4_8047
; %bb.8042:                             ;   in Loop: Header=BB4_7733 Depth=3
	v_and_b32_e32 v21, 0x7c0000, v13
	v_bfe_u32 v24, v13, 16, 2
	v_cmp_ne_u32_e32 vcc, s36, v21
                                        ; implicit-def: $vgpr21
	s_and_saveexec_b64 s[72:73], vcc
	s_xor_b64 s[72:73], exec, s[72:73]
	s_cbranch_execz .LBB4_8044
; %bb.8043:                             ;   in Loop: Header=BB4_7733 Depth=3
	v_ffbh_u32_e32 v25, v24
	v_bfe_u32 v21, v13, 18, 5
	v_min_u32_e32 v25, 32, v25
	v_subrev_u32_e32 v32, 29, v25
	v_sub_u32_e32 v25, 30, v25
	v_cmp_eq_u32_e32 vcc, 0, v21
	v_lshlrev_b64 v[36:37], v32, v[22:23]
	v_cndmask_b32_e32 v21, v21, v25, vcc
	v_bfrev_b32_e32 v25, 28
	v_and_b32_e32 v32, 3, v36
	v_lshlrev_b32_e32 v22, 24, v22
	v_lshl_add_u32 v21, v21, 23, v25
	v_cndmask_b32_e32 v24, v24, v32, vcc
	v_and_or_b32 v21, v22, s96, v21
	v_lshl_or_b32 v21, v24, 21, v21
                                        ; implicit-def: $vgpr24
                                        ; implicit-def: $vgpr22
.LBB4_8044:                             ;   in Loop: Header=BB4_7733 Depth=3
	s_andn2_saveexec_b64 s[72:73], s[72:73]
; %bb.8045:                             ;   in Loop: Header=BB4_7733 Depth=3
	v_mov_b32_e32 v21, -1
	v_cmp_gt_i16_sdwa vcc, sext(v22), v21 src0_sel:BYTE_0 src1_sel:DWORD
	v_cndmask_b32_e32 v21, v6, v1, vcc
	v_cmp_eq_u32_e32 vcc, 0, v24
	v_mov_b32_e32 v22, 0x7f800001
	v_cndmask_b32_e32 v21, v22, v21, vcc
; %bb.8046:                             ;   in Loop: Header=BB4_7733 Depth=3
	s_or_b64 exec, exec, s[72:73]
.LBB4_8047:                             ;   in Loop: Header=BB4_7733 Depth=3
	s_or_b64 exec, exec, s[30:31]
.LBB4_8048:                             ;   in Loop: Header=BB4_7733 Depth=3
	s_or_b64 exec, exec, s[70:71]
	v_cmp_ne_u16_sdwa vcc, v20, v43 src0_sel:BYTE_0 src1_sel:DWORD
	s_and_saveexec_b64 s[30:31], vcc
	s_cbranch_execz .LBB4_8056
; %bb.8049:                             ;   in Loop: Header=BB4_7733 Depth=3
	v_cmp_ne_u16_sdwa vcc, v20, s97 src0_sel:BYTE_0 src1_sel:DWORD
	v_bfrev_b32_e32 v23, 1
	s_and_saveexec_b64 s[70:71], vcc
	s_cbranch_execz .LBB4_8055
; %bb.8050:                             ;   in Loop: Header=BB4_7733 Depth=3
	v_and_b32_e32 v23, 0x7c0000, v9
	v_bfe_u32 v22, v9, 16, 2
	v_cmp_ne_u32_e32 vcc, s36, v23
                                        ; implicit-def: $vgpr23
	s_and_saveexec_b64 s[72:73], vcc
	s_xor_b64 s[72:73], exec, s[72:73]
	s_cbranch_execz .LBB4_8052
; %bb.8051:                             ;   in Loop: Header=BB4_7733 Depth=3
	v_ffbh_u32_e32 v24, v22
	v_min_u32_e32 v32, 32, v24
	v_subrev_u32_e32 v24, 29, v32
	v_bfe_u32 v23, v9, 18, 5
	v_lshlrev_b64 v[24:25], v24, v[20:21]
	v_sub_u32_e32 v25, 30, v32
	v_and_b32_e32 v24, 3, v24
	v_cmp_eq_u32_e32 vcc, 0, v23
	v_cndmask_b32_e32 v23, v23, v25, vcc
	v_cndmask_b32_e32 v22, v22, v24, vcc
	v_bfrev_b32_e32 v24, 28
	v_lshlrev_b32_e32 v20, 24, v20
	v_lshl_add_u32 v23, v23, 23, v24
	v_and_or_b32 v20, v20, s96, v23
	v_lshl_or_b32 v23, v22, 21, v20
                                        ; implicit-def: $vgpr22
                                        ; implicit-def: $vgpr20
.LBB4_8052:                             ;   in Loop: Header=BB4_7733 Depth=3
	s_andn2_saveexec_b64 s[72:73], s[72:73]
; %bb.8053:                             ;   in Loop: Header=BB4_7733 Depth=3
	v_mov_b32_e32 v23, -1
	v_cmp_gt_i16_sdwa vcc, sext(v20), v23 src0_sel:BYTE_0 src1_sel:DWORD
	v_cndmask_b32_e32 v20, v6, v1, vcc
	v_cmp_eq_u32_e32 vcc, 0, v22
	v_mov_b32_e32 v22, 0x7f800001
	v_cndmask_b32_e32 v23, v22, v20, vcc
; %bb.8054:                             ;   in Loop: Header=BB4_7733 Depth=3
	s_or_b64 exec, exec, s[72:73]
.LBB4_8055:                             ;   in Loop: Header=BB4_7733 Depth=3
	s_or_b64 exec, exec, s[70:71]
.LBB4_8056:                             ;   in Loop: Header=BB4_7733 Depth=3
	s_or_b64 exec, exec, s[30:31]
	v_max_f32_e32 v20, v23, v23
	v_max_f32_e32 v21, v21, v21
	v_min_f32_e32 v21, v21, v20
.LBB4_8057:                             ;   in Loop: Header=BB4_7733 Depth=3
	v_and_b32_sdwa v22, v21, s97 dst_sel:DWORD dst_unused:UNUSED_PAD src0_sel:BYTE_3 src1_sel:DWORD
	v_and_b32_e32 v24, 0x7f800000, v21
	v_mov_b32_e32 v25, v43
	v_and_b32_e32 v42, 0x7fffff, v21
	v_or_b32_e32 v23, 0x7b, v22
	v_cmp_ne_u64_e32 vcc, s[52:53], v[24:25]
	s_and_saveexec_b64 s[30:31], vcc
	s_xor_b64 s[70:71], exec, s[30:31]
	s_cbranch_execz .LBB4_8067
; %bb.8058:                             ;   in Loop: Header=BB4_7733 Depth=3
	v_and_b32_e32 v24, 0x7fffffff, v21
	v_mov_b32_e32 v25, v43
	v_cmp_gt_u64_e32 vcc, s[54:55], v[24:25]
	s_and_saveexec_b64 s[72:73], vcc
	s_cbranch_execz .LBB4_8066
; %bb.8059:                             ;   in Loop: Header=BB4_7733 Depth=3
	v_cmp_ne_u32_e32 vcc, 0, v21
	v_mov_b32_e32 v23, 0
	s_and_saveexec_b64 s[74:75], vcc
	s_cbranch_execz .LBB4_8065
; %bb.8060:                             ;   in Loop: Header=BB4_7733 Depth=3
	v_bfe_u32 v20, v21, 23, 8
	v_cmp_eq_u32_e32 vcc, 0, v20
	v_add_u32_e32 v21, 0xffffff81, v20
	v_cmp_gt_u32_e64 s[30:31], s38, v20
	v_sub_u32_e32 v20, 0x71, v20
	v_mov_b32_e32 v24, 0xffffff82
	v_cndmask_b32_e64 v20, 0, v20, s[30:31]
	v_cndmask_b32_e32 v32, v21, v24, vcc
	v_mov_b32_e32 v21, 0x70
	v_cndmask_b32_e32 v33, v20, v21, vcc
	v_add_u32_e32 v20, 21, v33
	v_or_b32_e32 v23, 0x800000, v42
	v_lshlrev_b64 v[20:21], v20, -1
	v_cndmask_b32_e32 v42, v23, v42, vcc
	v_not_b32_e32 v21, v21
	v_not_b32_e32 v20, v20
	v_add_u32_e32 v23, 20, v33
	v_and_b32_e32 v21, 0, v21
	v_and_b32_e32 v20, v42, v20
	v_lshlrev_b64 v[24:25], v23, 1
	v_cmp_eq_u64_e32 vcc, v[20:21], v[24:25]
	v_lshrrev_b64 v[20:21], v33, v[42:43]
	v_lshrrev_b32_e32 v23, 23, v20
	v_add3_u32 v25, v33, v32, v23
	v_bfe_u32 v23, v20, 21, 1
	v_add_u32_e32 v23, -1, v23
	v_cndmask_b32_e32 v23, 0, v23, vcc
	v_add_u32_e32 v23, v23, v20
	v_and_b32_e32 v23, 0x1fffff, v23
	v_add_co_u32_e32 v20, vcc, v23, v20
	v_add_u32_e32 v24, 14, v25
	v_addc_co_u32_e32 v21, vcc, 0, v21, vcc
	v_cmp_ne_u32_e32 vcc, 0, v24
                                        ; implicit-def: $vgpr23
	s_and_saveexec_b64 s[30:31], vcc
	s_xor_b64 s[30:31], exec, s[30:31]
; %bb.8061:                             ;   in Loop: Header=BB4_7733 Depth=3
	v_add_u32_e32 v23, 15, v25
	v_cmp_lt_u64_e32 vcc, s[56:57], v[20:21]
	v_cndmask_b32_e32 v23, v24, v23, vcc
	v_cndmask_b32_e64 v24, 0, 1, vcc
	v_lshrrev_b64 v[20:21], v24, v[20:21]
; %bb.8062:                             ;   in Loop: Header=BB4_7733 Depth=3
	s_andn2_saveexec_b64 vcc, s[30:31]
; %bb.8063:                             ;   in Loop: Header=BB4_7733 Depth=3
	v_bfe_u32 v23, v20, 23, 1
; %bb.8064:                             ;   in Loop: Header=BB4_7733 Depth=3
	s_or_b64 exec, exec, vcc
	v_lshrrev_b64 v[20:21], 21, v[20:21]
	v_cmp_gt_i32_e32 vcc, 32, v23
	v_cndmask_b32_e32 v21, 0, v21, vcc
	v_cndmask_b32_e32 v20, 3, v20, vcc
	v_cmp_eq_u64_e64 s[30:31], 0, v[20:21]
	v_min_i32_e32 v21, 31, v23
	v_cmp_eq_u32_e32 vcc, 0, v23
	v_lshlrev_b32_e32 v21, 2, v21
	v_and_or_b32 v20, v20, 3, v21
	s_and_b64 vcc, vcc, s[30:31]
	v_cndmask_b32_e64 v20, v20, 0, vcc
	v_or_b32_e32 v23, v20, v22
.LBB4_8065:                             ;   in Loop: Header=BB4_7733 Depth=3
	s_or_b64 exec, exec, s[74:75]
.LBB4_8066:                             ;   in Loop: Header=BB4_7733 Depth=3
	s_or_b64 exec, exec, s[72:73]
                                        ; implicit-def: $vgpr21
.LBB4_8067:                             ;   in Loop: Header=BB4_7733 Depth=3
	s_andn2_saveexec_b64 s[30:31], s[70:71]
; %bb.8068:                             ;   in Loop: Header=BB4_7733 Depth=3
	v_or_b32_sdwa v20, v21, s39 dst_sel:DWORD dst_unused:UNUSED_PAD src0_sel:BYTE_3 src1_sel:DWORD
	v_cmp_eq_u64_e32 vcc, 0, v[42:43]
	v_cndmask_b32_e32 v23, v20, v23, vcc
; %bb.8069:                             ;   in Loop: Header=BB4_7733 Depth=3
	s_or_b64 exec, exec, s[30:31]
	v_lshrrev_b32_e32 v22, 24, v13
	v_lshrrev_b32_e32 v20, 24, v9
	v_cmp_lt_u64_e64 s[30:31], s[42:43], v[12:13]
	s_and_b64 vcc, exec, s[68:69]
	s_cbranch_vccz .LBB4_8087
; %bb.8070:                             ;   in Loop: Header=BB4_7733 Depth=3
	v_mov_b32_e32 v24, 0
	v_mov_b32_e32 v21, 0
	s_and_saveexec_b64 s[70:71], s[30:31]
	s_cbranch_execz .LBB4_8078
; %bb.8071:                             ;   in Loop: Header=BB4_7733 Depth=3
	v_cmp_ne_u32_e32 vcc, s97, v22
	v_bfrev_b32_e32 v21, 1
	s_and_saveexec_b64 s[72:73], vcc
	s_cbranch_execz .LBB4_8077
; %bb.8072:                             ;   in Loop: Header=BB4_7733 Depth=3
	v_and_b32_e32 v21, 0x7c000000, v13
	v_bfe_u32 v25, v13, 24, 2
	v_cmp_ne_u32_e32 vcc, s37, v21
                                        ; implicit-def: $vgpr21
	s_and_saveexec_b64 s[74:75], vcc
	s_xor_b64 s[74:75], exec, s[74:75]
	s_cbranch_execz .LBB4_8074
; %bb.8073:                             ;   in Loop: Header=BB4_7733 Depth=3
	v_ffbh_u32_e32 v32, v25
	v_bfe_u32 v21, v13, 26, 5
	v_min_u32_e32 v32, 32, v32
	v_subrev_u32_e32 v33, 29, v32
	v_sub_u32_e32 v32, 30, v32
	v_cmp_eq_u32_e32 vcc, 0, v21
	v_lshlrev_b64 v[36:37], v33, v[22:23]
	v_cndmask_b32_e32 v21, v21, v32, vcc
	v_bfrev_b32_e32 v32, 28
	v_and_b32_e32 v33, 3, v36
	v_lshl_add_u32 v21, v21, 23, v32
	v_cndmask_b32_e32 v25, v25, v33, vcc
	v_and_or_b32 v21, v13, s96, v21
	v_lshl_or_b32 v21, v25, 21, v21
                                        ; implicit-def: $vgpr25
.LBB4_8074:                             ;   in Loop: Header=BB4_7733 Depth=3
	s_andn2_saveexec_b64 s[74:75], s[74:75]
; %bb.8075:                             ;   in Loop: Header=BB4_7733 Depth=3
	v_cmp_lt_i64_e32 vcc, -1, v[12:13]
	v_cndmask_b32_e32 v21, v6, v1, vcc
	v_cmp_eq_u32_e32 vcc, 0, v25
	v_mov_b32_e32 v25, 0x7f800001
	v_cndmask_b32_e32 v21, v25, v21, vcc
; %bb.8076:                             ;   in Loop: Header=BB4_7733 Depth=3
	s_or_b64 exec, exec, s[74:75]
.LBB4_8077:                             ;   in Loop: Header=BB4_7733 Depth=3
	s_or_b64 exec, exec, s[72:73]
.LBB4_8078:                             ;   in Loop: Header=BB4_7733 Depth=3
	s_or_b64 exec, exec, s[70:71]
	v_cmp_lt_u64_e32 vcc, s[42:43], v[8:9]
	s_and_saveexec_b64 s[70:71], vcc
	s_cbranch_execz .LBB4_8086
; %bb.8079:                             ;   in Loop: Header=BB4_7733 Depth=3
	v_cmp_ne_u32_e32 vcc, s97, v20
	v_bfrev_b32_e32 v24, 1
	s_and_saveexec_b64 s[72:73], vcc
	s_cbranch_execz .LBB4_8085
; %bb.8080:                             ;   in Loop: Header=BB4_7733 Depth=3
	v_and_b32_e32 v24, 0x7c000000, v9
	v_bfe_u32 v25, v9, 24, 2
	v_cmp_ne_u32_e32 vcc, s37, v24
                                        ; implicit-def: $vgpr24
	s_and_saveexec_b64 s[74:75], vcc
	s_xor_b64 s[74:75], exec, s[74:75]
	s_cbranch_execz .LBB4_8082
; %bb.8081:                             ;   in Loop: Header=BB4_7733 Depth=3
	v_ffbh_u32_e32 v32, v25
	v_bfe_u32 v24, v9, 26, 5
	v_min_u32_e32 v32, 32, v32
	v_subrev_u32_e32 v33, 29, v32
	v_sub_u32_e32 v32, 30, v32
	v_cmp_eq_u32_e32 vcc, 0, v24
	v_lshlrev_b64 v[36:37], v33, v[20:21]
	v_cndmask_b32_e32 v24, v24, v32, vcc
	v_bfrev_b32_e32 v32, 28
	v_and_b32_e32 v33, 3, v36
	v_lshl_add_u32 v24, v24, 23, v32
	v_cndmask_b32_e32 v25, v25, v33, vcc
	v_and_or_b32 v24, v9, s96, v24
	v_lshl_or_b32 v24, v25, 21, v24
                                        ; implicit-def: $vgpr25
.LBB4_8082:                             ;   in Loop: Header=BB4_7733 Depth=3
	s_andn2_saveexec_b64 s[74:75], s[74:75]
; %bb.8083:                             ;   in Loop: Header=BB4_7733 Depth=3
	v_cmp_lt_i64_e32 vcc, -1, v[8:9]
	v_cndmask_b32_e32 v24, v6, v1, vcc
	v_cmp_eq_u32_e32 vcc, 0, v25
	v_mov_b32_e32 v25, 0x7f800001
	v_cndmask_b32_e32 v24, v25, v24, vcc
; %bb.8084:                             ;   in Loop: Header=BB4_7733 Depth=3
	s_or_b64 exec, exec, s[74:75]
.LBB4_8085:                             ;   in Loop: Header=BB4_7733 Depth=3
	s_or_b64 exec, exec, s[72:73]
.LBB4_8086:                             ;   in Loop: Header=BB4_7733 Depth=3
	s_or_b64 exec, exec, s[70:71]
	v_max_f32_e32 v24, v24, v24
	v_max_f32_e32 v21, v21, v21
	;; [unrolled: 1-line block ×3, first 2 shown]
	s_branch .LBB4_8105
.LBB4_8087:                             ;   in Loop: Header=BB4_7733 Depth=3
                                        ; implicit-def: $vgpr21
	s_cbranch_execz .LBB4_8105
; %bb.8088:                             ;   in Loop: Header=BB4_7733 Depth=3
	v_mov_b32_e32 v24, 0
	v_mov_b32_e32 v21, 0
	s_and_saveexec_b64 s[70:71], s[30:31]
	s_cbranch_execz .LBB4_8096
; %bb.8089:                             ;   in Loop: Header=BB4_7733 Depth=3
	v_cmp_ne_u32_e32 vcc, s97, v22
	v_bfrev_b32_e32 v21, 1
	s_and_saveexec_b64 s[30:31], vcc
	s_cbranch_execz .LBB4_8095
; %bb.8090:                             ;   in Loop: Header=BB4_7733 Depth=3
	v_and_b32_e32 v21, 0x7c000000, v13
	v_bfe_u32 v25, v13, 24, 2
	v_cmp_ne_u32_e32 vcc, s37, v21
                                        ; implicit-def: $vgpr21
	s_and_saveexec_b64 s[72:73], vcc
	s_xor_b64 s[72:73], exec, s[72:73]
	s_cbranch_execz .LBB4_8092
; %bb.8091:                             ;   in Loop: Header=BB4_7733 Depth=3
	v_ffbh_u32_e32 v21, v25
	v_min_u32_e32 v21, 32, v21
	v_subrev_u32_e32 v32, 29, v21
	v_bfe_u32 v12, v13, 26, 5
	v_lshlrev_b64 v[36:37], v32, v[22:23]
	v_sub_u32_e32 v21, 30, v21
	v_and_b32_e32 v22, 3, v36
	v_cmp_eq_u32_e32 vcc, 0, v12
	v_cndmask_b32_e32 v12, v12, v21, vcc
	v_cndmask_b32_e32 v21, v25, v22, vcc
	v_bfrev_b32_e32 v22, 28
	v_lshl_add_u32 v12, v12, 23, v22
	v_and_or_b32 v12, v13, s96, v12
	v_lshl_or_b32 v21, v21, 21, v12
                                        ; implicit-def: $vgpr25
.LBB4_8092:                             ;   in Loop: Header=BB4_7733 Depth=3
	s_andn2_saveexec_b64 s[72:73], s[72:73]
; %bb.8093:                             ;   in Loop: Header=BB4_7733 Depth=3
	v_cmp_lt_i64_e32 vcc, -1, v[12:13]
	v_cndmask_b32_e32 v12, v6, v1, vcc
	v_cmp_eq_u32_e32 vcc, 0, v25
	v_mov_b32_e32 v13, 0x7f800001
	v_cndmask_b32_e32 v21, v13, v12, vcc
; %bb.8094:                             ;   in Loop: Header=BB4_7733 Depth=3
	s_or_b64 exec, exec, s[72:73]
.LBB4_8095:                             ;   in Loop: Header=BB4_7733 Depth=3
	s_or_b64 exec, exec, s[30:31]
.LBB4_8096:                             ;   in Loop: Header=BB4_7733 Depth=3
	s_or_b64 exec, exec, s[70:71]
	v_cmp_lt_u64_e32 vcc, s[42:43], v[8:9]
	s_and_saveexec_b64 s[30:31], vcc
	s_cbranch_execz .LBB4_8104
; %bb.8097:                             ;   in Loop: Header=BB4_7733 Depth=3
	v_cmp_ne_u32_e32 vcc, s97, v20
	v_bfrev_b32_e32 v24, 1
	s_and_saveexec_b64 s[70:71], vcc
	s_cbranch_execz .LBB4_8103
; %bb.8098:                             ;   in Loop: Header=BB4_7733 Depth=3
	v_and_b32_e32 v13, 0x7c000000, v9
	v_bfe_u32 v12, v9, 24, 2
	v_cmp_ne_u32_e32 vcc, s37, v13
                                        ; implicit-def: $vgpr24
	s_and_saveexec_b64 s[72:73], vcc
	s_xor_b64 s[72:73], exec, s[72:73]
	s_cbranch_execz .LBB4_8100
; %bb.8099:                             ;   in Loop: Header=BB4_7733 Depth=3
	v_ffbh_u32_e32 v13, v12
	v_bfe_u32 v8, v9, 26, 5
	v_min_u32_e32 v13, 32, v13
	v_subrev_u32_e32 v22, 29, v13
	v_sub_u32_e32 v13, 30, v13
	v_cmp_eq_u32_e32 vcc, 0, v8
	v_lshlrev_b64 v[24:25], v22, v[20:21]
	v_cndmask_b32_e32 v8, v8, v13, vcc
	v_bfrev_b32_e32 v13, 28
	v_and_b32_e32 v20, 3, v24
	v_lshl_add_u32 v8, v8, 23, v13
	v_cndmask_b32_e32 v12, v12, v20, vcc
	v_and_or_b32 v8, v9, s96, v8
	v_lshl_or_b32 v24, v12, 21, v8
                                        ; implicit-def: $vgpr12
.LBB4_8100:                             ;   in Loop: Header=BB4_7733 Depth=3
	s_andn2_saveexec_b64 s[72:73], s[72:73]
; %bb.8101:                             ;   in Loop: Header=BB4_7733 Depth=3
	v_cmp_lt_i64_e32 vcc, -1, v[8:9]
	v_cndmask_b32_e32 v8, v6, v1, vcc
	v_cmp_eq_u32_e32 vcc, 0, v12
	v_mov_b32_e32 v9, 0x7f800001
	v_cndmask_b32_e32 v24, v9, v8, vcc
; %bb.8102:                             ;   in Loop: Header=BB4_7733 Depth=3
	s_or_b64 exec, exec, s[72:73]
.LBB4_8103:                             ;   in Loop: Header=BB4_7733 Depth=3
	s_or_b64 exec, exec, s[70:71]
.LBB4_8104:                             ;   in Loop: Header=BB4_7733 Depth=3
	s_or_b64 exec, exec, s[30:31]
	v_max_f32_e32 v8, v24, v24
	v_max_f32_e32 v9, v21, v21
	v_min_f32_e32 v21, v9, v8
.LBB4_8105:                             ;   in Loop: Header=BB4_7733 Depth=3
	v_and_b32_sdwa v12, v21, s97 dst_sel:DWORD dst_unused:UNUSED_PAD src0_sel:BYTE_3 src1_sel:DWORD
	v_and_b32_e32 v8, 0x7f800000, v21
	v_mov_b32_e32 v9, v43
	v_and_b32_e32 v42, 0x7fffff, v21
	v_or_b32_e32 v22, 0x7b, v12
	v_cmp_ne_u64_e32 vcc, s[52:53], v[8:9]
	s_and_saveexec_b64 s[30:31], vcc
	s_xor_b64 s[70:71], exec, s[30:31]
	s_cbranch_execz .LBB4_8133
; %bb.8106:                             ;   in Loop: Header=BB4_7733 Depth=3
	v_and_b32_e32 v8, 0x7fffffff, v21
	v_mov_b32_e32 v9, v43
	v_cmp_gt_u64_e32 vcc, s[54:55], v[8:9]
	s_and_saveexec_b64 s[72:73], vcc
	s_cbranch_execz .LBB4_8114
; %bb.8107:                             ;   in Loop: Header=BB4_7733 Depth=3
	v_cmp_ne_u32_e32 vcc, 0, v21
	v_mov_b32_e32 v22, 0
	s_and_saveexec_b64 s[74:75], vcc
	s_cbranch_execz .LBB4_8113
; %bb.8108:                             ;   in Loop: Header=BB4_7733 Depth=3
	v_bfe_u32 v8, v21, 23, 8
	v_cmp_eq_u32_e32 vcc, 0, v8
	v_add_u32_e32 v9, 0xffffff81, v8
	v_cmp_gt_u32_e64 s[30:31], s38, v8
	v_sub_u32_e32 v8, 0x71, v8
	v_mov_b32_e32 v20, 0xffffff82
	v_cndmask_b32_e64 v8, 0, v8, s[30:31]
	v_cndmask_b32_e32 v22, v9, v20, vcc
	v_mov_b32_e32 v9, 0x70
	v_cndmask_b32_e32 v24, v8, v9, vcc
	v_add_u32_e32 v8, 21, v24
	v_or_b32_e32 v13, 0x800000, v42
	v_lshlrev_b64 v[8:9], v8, -1
	v_cndmask_b32_e32 v42, v13, v42, vcc
	v_not_b32_e32 v9, v9
	v_not_b32_e32 v8, v8
	v_add_u32_e32 v13, 20, v24
	v_and_b32_e32 v9, 0, v9
	v_and_b32_e32 v8, v42, v8
	v_lshlrev_b64 v[20:21], v13, 1
	v_cmp_eq_u64_e32 vcc, v[8:9], v[20:21]
	v_lshrrev_b64 v[8:9], v24, v[42:43]
	v_lshrrev_b32_e32 v13, 23, v8
	v_add3_u32 v21, v24, v22, v13
	v_bfe_u32 v13, v8, 21, 1
	v_add_u32_e32 v13, -1, v13
	v_cndmask_b32_e32 v13, 0, v13, vcc
	v_add_u32_e32 v13, v13, v8
	v_and_b32_e32 v13, 0x1fffff, v13
	v_add_co_u32_e32 v8, vcc, v13, v8
	v_add_u32_e32 v20, 14, v21
	v_addc_co_u32_e32 v9, vcc, 0, v9, vcc
	v_cmp_ne_u32_e32 vcc, 0, v20
                                        ; implicit-def: $vgpr13
	s_and_saveexec_b64 s[30:31], vcc
	s_xor_b64 s[30:31], exec, s[30:31]
; %bb.8109:                             ;   in Loop: Header=BB4_7733 Depth=3
	v_add_u32_e32 v13, 15, v21
	v_cmp_lt_u64_e32 vcc, s[56:57], v[8:9]
	v_cndmask_b32_e32 v13, v20, v13, vcc
	v_cndmask_b32_e64 v20, 0, 1, vcc
	v_lshrrev_b64 v[8:9], v20, v[8:9]
; %bb.8110:                             ;   in Loop: Header=BB4_7733 Depth=3
	s_andn2_saveexec_b64 vcc, s[30:31]
; %bb.8111:                             ;   in Loop: Header=BB4_7733 Depth=3
	v_bfe_u32 v13, v8, 23, 1
; %bb.8112:                             ;   in Loop: Header=BB4_7733 Depth=3
	s_or_b64 exec, exec, vcc
	v_lshrrev_b64 v[8:9], 21, v[8:9]
	v_cmp_gt_i32_e32 vcc, 32, v13
	v_cndmask_b32_e32 v9, 0, v9, vcc
	v_cndmask_b32_e32 v8, 3, v8, vcc
	v_cmp_eq_u64_e64 s[30:31], 0, v[8:9]
	v_min_i32_e32 v9, 31, v13
	v_lshlrev_b32_e32 v9, 2, v9
	v_cmp_eq_u32_e32 vcc, 0, v13
	v_and_b32_e32 v9, 0xfc, v9
	v_and_or_b32 v8, v8, 3, v9
	s_and_b64 vcc, vcc, s[30:31]
	v_cndmask_b32_e64 v8, v8, 0, vcc
	v_or_b32_e32 v22, v8, v12
.LBB4_8113:                             ;   in Loop: Header=BB4_7733 Depth=3
	s_or_b64 exec, exec, s[74:75]
.LBB4_8114:                             ;   in Loop: Header=BB4_7733 Depth=3
	s_or_b64 exec, exec, s[72:73]
                                        ; implicit-def: $vgpr21
	s_andn2_saveexec_b64 s[30:31], s[70:71]
	s_cbranch_execnz .LBB4_8134
.LBB4_8115:                             ;   in Loop: Header=BB4_7733 Depth=3
	s_or_b64 exec, exec, s[30:31]
	v_cmp_ne_u16_sdwa s[30:31], v14, v43 src0_sel:BYTE_0 src1_sel:DWORD
	s_and_b64 vcc, exec, s[68:69]
	s_cbranch_vccz .LBB4_8135
.LBB4_8116:                             ;   in Loop: Header=BB4_7733 Depth=3
	v_mov_b32_e32 v9, 0
	v_mov_b32_e32 v8, 0
	s_and_saveexec_b64 s[70:71], s[30:31]
	s_cbranch_execz .LBB4_8124
; %bb.8117:                             ;   in Loop: Header=BB4_7733 Depth=3
	v_cmp_ne_u16_sdwa vcc, sext(v14), s94 src0_sel:BYTE_0 src1_sel:DWORD
	v_bfrev_b32_e32 v8, 1
	s_and_saveexec_b64 s[72:73], vcc
	s_cbranch_execz .LBB4_8123
; %bb.8118:                             ;   in Loop: Header=BB4_7733 Depth=3
	v_and_b32_e32 v8, 0x7c, v14
	v_and_b32_e32 v12, 3, v14
	v_cmp_ne_u32_e32 vcc, s95, v8
                                        ; implicit-def: $vgpr8
	s_and_saveexec_b64 s[74:75], vcc
	s_xor_b64 s[74:75], exec, s[74:75]
	s_cbranch_execz .LBB4_8120
; %bb.8119:                             ;   in Loop: Header=BB4_7733 Depth=3
	v_ffbh_u32_e32 v13, v12
	v_min_u32_e32 v13, 32, v13
	v_subrev_u32_e32 v20, 29, v13
	v_bfe_u32 v8, v14, 2, 5
	v_lshlrev_b64 v[20:21], v20, v[14:15]
	v_sub_u32_e32 v13, 30, v13
	v_and_b32_e32 v20, 3, v20
	v_cmp_eq_u32_e32 vcc, 0, v8
	v_cndmask_b32_e32 v8, v8, v13, vcc
	v_cndmask_b32_e32 v12, v12, v20, vcc
	v_bfrev_b32_e32 v20, 28
	v_lshlrev_b32_e32 v13, 24, v14
	v_lshl_add_u32 v8, v8, 23, v20
	v_and_or_b32 v8, v13, s96, v8
	v_lshl_or_b32 v8, v12, 21, v8
                                        ; implicit-def: $vgpr12
.LBB4_8120:                             ;   in Loop: Header=BB4_7733 Depth=3
	s_andn2_saveexec_b64 s[74:75], s[74:75]
; %bb.8121:                             ;   in Loop: Header=BB4_7733 Depth=3
	v_mov_b32_e32 v8, -1
	v_cmp_gt_i16_sdwa vcc, sext(v14), v8 src0_sel:BYTE_0 src1_sel:DWORD
	v_cndmask_b32_e32 v8, v6, v1, vcc
	v_cmp_eq_u32_e32 vcc, 0, v12
	v_mov_b32_e32 v12, 0x7f800001
	v_cndmask_b32_e32 v8, v12, v8, vcc
; %bb.8122:                             ;   in Loop: Header=BB4_7733 Depth=3
	s_or_b64 exec, exec, s[74:75]
.LBB4_8123:                             ;   in Loop: Header=BB4_7733 Depth=3
	s_or_b64 exec, exec, s[72:73]
.LBB4_8124:                             ;   in Loop: Header=BB4_7733 Depth=3
	s_or_b64 exec, exec, s[70:71]
	v_cmp_ne_u16_sdwa vcc, sext(v10), v43 src0_sel:BYTE_0 src1_sel:DWORD
	s_and_saveexec_b64 s[70:71], vcc
	s_cbranch_execz .LBB4_8132
; %bb.8125:                             ;   in Loop: Header=BB4_7733 Depth=3
	v_cmp_ne_u16_sdwa vcc, sext(v10), s94 src0_sel:BYTE_0 src1_sel:DWORD
	v_bfrev_b32_e32 v9, 1
	s_and_saveexec_b64 s[72:73], vcc
	s_cbranch_execz .LBB4_8131
; %bb.8126:                             ;   in Loop: Header=BB4_7733 Depth=3
	v_and_b32_e32 v9, 0x7c, v10
	v_and_b32_e32 v12, 3, v10
	v_cmp_ne_u32_e32 vcc, s95, v9
                                        ; implicit-def: $vgpr9
	s_and_saveexec_b64 s[74:75], vcc
	s_xor_b64 s[74:75], exec, s[74:75]
	s_cbranch_execz .LBB4_8128
; %bb.8127:                             ;   in Loop: Header=BB4_7733 Depth=3
	v_ffbh_u32_e32 v13, v12
	v_min_u32_e32 v13, 32, v13
	v_subrev_u32_e32 v20, 29, v13
	v_bfe_u32 v9, v10, 2, 5
	v_lshlrev_b64 v[20:21], v20, v[10:11]
	v_sub_u32_e32 v13, 30, v13
	v_and_b32_e32 v20, 3, v20
	v_cmp_eq_u32_e32 vcc, 0, v9
	v_cndmask_b32_e32 v9, v9, v13, vcc
	v_cndmask_b32_e32 v12, v12, v20, vcc
	v_bfrev_b32_e32 v20, 28
	v_lshlrev_b32_e32 v13, 24, v10
	v_lshl_add_u32 v9, v9, 23, v20
	v_and_or_b32 v9, v13, s96, v9
	v_lshl_or_b32 v9, v12, 21, v9
                                        ; implicit-def: $vgpr12
.LBB4_8128:                             ;   in Loop: Header=BB4_7733 Depth=3
	s_andn2_saveexec_b64 s[74:75], s[74:75]
; %bb.8129:                             ;   in Loop: Header=BB4_7733 Depth=3
	v_mov_b32_e32 v9, -1
	v_cmp_gt_i16_sdwa vcc, sext(v10), v9 src0_sel:BYTE_0 src1_sel:DWORD
	v_cndmask_b32_e32 v9, v6, v1, vcc
	v_cmp_eq_u32_e32 vcc, 0, v12
	v_mov_b32_e32 v12, 0x7f800001
	v_cndmask_b32_e32 v9, v12, v9, vcc
; %bb.8130:                             ;   in Loop: Header=BB4_7733 Depth=3
	s_or_b64 exec, exec, s[74:75]
.LBB4_8131:                             ;   in Loop: Header=BB4_7733 Depth=3
	s_or_b64 exec, exec, s[72:73]
.LBB4_8132:                             ;   in Loop: Header=BB4_7733 Depth=3
	s_or_b64 exec, exec, s[70:71]
	v_max_f32_e32 v9, v9, v9
	v_max_f32_e32 v8, v8, v8
	;; [unrolled: 1-line block ×3, first 2 shown]
	s_branch .LBB4_8153
.LBB4_8133:                             ;   in Loop: Header=BB4_7733 Depth=3
	s_andn2_saveexec_b64 s[30:31], s[70:71]
	s_cbranch_execz .LBB4_8115
.LBB4_8134:                             ;   in Loop: Header=BB4_7733 Depth=3
	v_or_b32_sdwa v8, v21, s39 dst_sel:DWORD dst_unused:UNUSED_PAD src0_sel:BYTE_3 src1_sel:DWORD
	v_cmp_eq_u64_e32 vcc, 0, v[42:43]
	v_cndmask_b32_e32 v22, v8, v22, vcc
	s_or_b64 exec, exec, s[30:31]
	v_cmp_ne_u16_sdwa s[30:31], v14, v43 src0_sel:BYTE_0 src1_sel:DWORD
	s_and_b64 vcc, exec, s[68:69]
	s_cbranch_vccnz .LBB4_8116
.LBB4_8135:                             ;   in Loop: Header=BB4_7733 Depth=3
                                        ; implicit-def: $vgpr8
	s_cbranch_execz .LBB4_8153
; %bb.8136:                             ;   in Loop: Header=BB4_7733 Depth=3
	v_mov_b32_e32 v9, 0
	v_mov_b32_e32 v8, 0
	s_and_saveexec_b64 s[70:71], s[30:31]
	s_cbranch_execz .LBB4_8144
; %bb.8137:                             ;   in Loop: Header=BB4_7733 Depth=3
	v_cmp_ne_u16_sdwa vcc, sext(v14), s94 src0_sel:BYTE_0 src1_sel:DWORD
	v_bfrev_b32_e32 v8, 1
	s_and_saveexec_b64 s[30:31], vcc
	s_cbranch_execz .LBB4_8143
; %bb.8138:                             ;   in Loop: Header=BB4_7733 Depth=3
	v_and_b32_e32 v8, 0x7c, v14
	v_and_b32_e32 v12, 3, v14
	v_cmp_ne_u32_e32 vcc, s95, v8
                                        ; implicit-def: $vgpr8
	s_and_saveexec_b64 s[72:73], vcc
	s_xor_b64 s[72:73], exec, s[72:73]
	s_cbranch_execz .LBB4_8140
; %bb.8139:                             ;   in Loop: Header=BB4_7733 Depth=3
	v_ffbh_u32_e32 v13, v12
	v_min_u32_e32 v13, 32, v13
	v_subrev_u32_e32 v20, 29, v13
	v_bfe_u32 v8, v14, 2, 5
	v_lshlrev_b64 v[20:21], v20, v[14:15]
	v_sub_u32_e32 v13, 30, v13
	v_and_b32_e32 v20, 3, v20
	v_cmp_eq_u32_e32 vcc, 0, v8
	v_cndmask_b32_e32 v8, v8, v13, vcc
	v_cndmask_b32_e32 v12, v12, v20, vcc
	v_bfrev_b32_e32 v20, 28
	v_lshlrev_b32_e32 v13, 24, v14
	v_lshl_add_u32 v8, v8, 23, v20
	v_and_or_b32 v8, v13, s96, v8
	v_lshl_or_b32 v8, v12, 21, v8
                                        ; implicit-def: $vgpr12
.LBB4_8140:                             ;   in Loop: Header=BB4_7733 Depth=3
	s_andn2_saveexec_b64 s[72:73], s[72:73]
; %bb.8141:                             ;   in Loop: Header=BB4_7733 Depth=3
	v_mov_b32_e32 v8, -1
	v_cmp_gt_i16_sdwa vcc, sext(v14), v8 src0_sel:BYTE_0 src1_sel:DWORD
	v_cndmask_b32_e32 v8, v6, v1, vcc
	v_cmp_eq_u32_e32 vcc, 0, v12
	v_mov_b32_e32 v12, 0x7f800001
	v_cndmask_b32_e32 v8, v12, v8, vcc
; %bb.8142:                             ;   in Loop: Header=BB4_7733 Depth=3
	s_or_b64 exec, exec, s[72:73]
.LBB4_8143:                             ;   in Loop: Header=BB4_7733 Depth=3
	s_or_b64 exec, exec, s[30:31]
.LBB4_8144:                             ;   in Loop: Header=BB4_7733 Depth=3
	s_or_b64 exec, exec, s[70:71]
	v_cmp_ne_u16_sdwa vcc, sext(v10), v43 src0_sel:BYTE_0 src1_sel:DWORD
	s_and_saveexec_b64 s[30:31], vcc
	s_cbranch_execz .LBB4_8152
; %bb.8145:                             ;   in Loop: Header=BB4_7733 Depth=3
	v_cmp_ne_u16_sdwa vcc, sext(v10), s94 src0_sel:BYTE_0 src1_sel:DWORD
	v_bfrev_b32_e32 v9, 1
	s_and_saveexec_b64 s[70:71], vcc
	s_cbranch_execz .LBB4_8151
; %bb.8146:                             ;   in Loop: Header=BB4_7733 Depth=3
	v_and_b32_e32 v9, 0x7c, v10
	v_and_b32_e32 v12, 3, v10
	v_cmp_ne_u32_e32 vcc, s95, v9
                                        ; implicit-def: $vgpr9
	s_and_saveexec_b64 s[72:73], vcc
	s_xor_b64 s[72:73], exec, s[72:73]
	s_cbranch_execz .LBB4_8148
; %bb.8147:                             ;   in Loop: Header=BB4_7733 Depth=3
	v_ffbh_u32_e32 v13, v12
	v_min_u32_e32 v13, 32, v13
	v_subrev_u32_e32 v20, 29, v13
	v_bfe_u32 v9, v10, 2, 5
	v_lshlrev_b64 v[20:21], v20, v[10:11]
	v_sub_u32_e32 v13, 30, v13
	v_and_b32_e32 v20, 3, v20
	v_cmp_eq_u32_e32 vcc, 0, v9
	v_cndmask_b32_e32 v9, v9, v13, vcc
	v_cndmask_b32_e32 v12, v12, v20, vcc
	v_bfrev_b32_e32 v20, 28
	v_lshlrev_b32_e32 v13, 24, v10
	v_lshl_add_u32 v9, v9, 23, v20
	v_and_or_b32 v9, v13, s96, v9
	v_lshl_or_b32 v9, v12, 21, v9
                                        ; implicit-def: $vgpr12
.LBB4_8148:                             ;   in Loop: Header=BB4_7733 Depth=3
	s_andn2_saveexec_b64 s[72:73], s[72:73]
; %bb.8149:                             ;   in Loop: Header=BB4_7733 Depth=3
	v_mov_b32_e32 v9, -1
	v_cmp_gt_i16_sdwa vcc, sext(v10), v9 src0_sel:BYTE_0 src1_sel:DWORD
	v_cndmask_b32_e32 v9, v6, v1, vcc
	v_cmp_eq_u32_e32 vcc, 0, v12
	v_mov_b32_e32 v12, 0x7f800001
	v_cndmask_b32_e32 v9, v12, v9, vcc
; %bb.8150:                             ;   in Loop: Header=BB4_7733 Depth=3
	s_or_b64 exec, exec, s[72:73]
.LBB4_8151:                             ;   in Loop: Header=BB4_7733 Depth=3
	s_or_b64 exec, exec, s[70:71]
.LBB4_8152:                             ;   in Loop: Header=BB4_7733 Depth=3
	s_or_b64 exec, exec, s[30:31]
	v_max_f32_e32 v9, v9, v9
	v_max_f32_e32 v8, v8, v8
	v_min_f32_e32 v8, v8, v9
.LBB4_8153:                             ;   in Loop: Header=BB4_7733 Depth=3
	v_and_b32_sdwa v12, v8, s97 dst_sel:DWORD dst_unused:UNUSED_PAD src0_sel:BYTE_3 src1_sel:DWORD
	v_and_b32_e32 v20, 0x7f800000, v8
	v_mov_b32_e32 v21, v43
	v_and_b32_e32 v42, 0x7fffff, v8
	v_or_b32_e32 v24, 0x7b, v12
	v_cmp_ne_u64_e32 vcc, s[52:53], v[20:21]
	s_and_saveexec_b64 s[30:31], vcc
	s_xor_b64 s[70:71], exec, s[30:31]
	s_cbranch_execz .LBB4_8163
; %bb.8154:                             ;   in Loop: Header=BB4_7733 Depth=3
	v_and_b32_e32 v20, 0x7fffffff, v8
	v_mov_b32_e32 v21, v43
	v_cmp_gt_u64_e32 vcc, s[54:55], v[20:21]
	s_and_saveexec_b64 s[72:73], vcc
	s_cbranch_execz .LBB4_8162
; %bb.8155:                             ;   in Loop: Header=BB4_7733 Depth=3
	v_cmp_ne_u32_e32 vcc, 0, v8
	v_mov_b32_e32 v24, 0
	s_and_saveexec_b64 s[74:75], vcc
	s_cbranch_execz .LBB4_8161
; %bb.8156:                             ;   in Loop: Header=BB4_7733 Depth=3
	v_bfe_u32 v8, v8, 23, 8
	v_cmp_eq_u32_e32 vcc, 0, v8
	v_add_u32_e32 v9, 0xffffff81, v8
	v_cmp_gt_u32_e64 s[30:31], s38, v8
	v_sub_u32_e32 v8, 0x71, v8
	v_mov_b32_e32 v20, 0xffffff82
	v_cndmask_b32_e64 v8, 0, v8, s[30:31]
	v_cndmask_b32_e32 v24, v9, v20, vcc
	v_mov_b32_e32 v9, 0x70
	v_cndmask_b32_e32 v25, v8, v9, vcc
	v_add_u32_e32 v8, 21, v25
	v_or_b32_e32 v13, 0x800000, v42
	v_lshlrev_b64 v[8:9], v8, -1
	v_cndmask_b32_e32 v42, v13, v42, vcc
	v_not_b32_e32 v9, v9
	v_not_b32_e32 v8, v8
	v_add_u32_e32 v13, 20, v25
	v_and_b32_e32 v9, 0, v9
	v_and_b32_e32 v8, v42, v8
	v_lshlrev_b64 v[20:21], v13, 1
	v_cmp_eq_u64_e32 vcc, v[8:9], v[20:21]
	v_lshrrev_b64 v[8:9], v25, v[42:43]
	v_lshrrev_b32_e32 v13, 23, v8
	v_add3_u32 v21, v25, v24, v13
	v_bfe_u32 v13, v8, 21, 1
	v_add_u32_e32 v13, -1, v13
	v_cndmask_b32_e32 v13, 0, v13, vcc
	v_add_u32_e32 v13, v13, v8
	v_and_b32_e32 v13, 0x1fffff, v13
	v_add_co_u32_e32 v8, vcc, v13, v8
	v_add_u32_e32 v20, 14, v21
	v_addc_co_u32_e32 v9, vcc, 0, v9, vcc
	v_cmp_ne_u32_e32 vcc, 0, v20
                                        ; implicit-def: $vgpr13
	s_and_saveexec_b64 s[30:31], vcc
	s_xor_b64 s[30:31], exec, s[30:31]
; %bb.8157:                             ;   in Loop: Header=BB4_7733 Depth=3
	v_add_u32_e32 v13, 15, v21
	v_cmp_lt_u64_e32 vcc, s[56:57], v[8:9]
	v_cndmask_b32_e32 v13, v20, v13, vcc
	v_cndmask_b32_e64 v20, 0, 1, vcc
	v_lshrrev_b64 v[8:9], v20, v[8:9]
; %bb.8158:                             ;   in Loop: Header=BB4_7733 Depth=3
	s_andn2_saveexec_b64 vcc, s[30:31]
; %bb.8159:                             ;   in Loop: Header=BB4_7733 Depth=3
	v_bfe_u32 v13, v8, 23, 1
; %bb.8160:                             ;   in Loop: Header=BB4_7733 Depth=3
	s_or_b64 exec, exec, vcc
	v_lshrrev_b64 v[8:9], 21, v[8:9]
	v_cmp_gt_i32_e32 vcc, 32, v13
	v_cndmask_b32_e32 v9, 0, v9, vcc
	v_cndmask_b32_e32 v8, 3, v8, vcc
	v_cmp_eq_u64_e64 s[30:31], 0, v[8:9]
	v_min_i32_e32 v9, 31, v13
	v_cmp_eq_u32_e32 vcc, 0, v13
	v_lshlrev_b32_e32 v9, 2, v9
	v_and_or_b32 v8, v8, 3, v9
	s_and_b64 vcc, vcc, s[30:31]
	v_cndmask_b32_e64 v8, v8, 0, vcc
	v_or_b32_e32 v24, v8, v12
.LBB4_8161:                             ;   in Loop: Header=BB4_7733 Depth=3
	s_or_b64 exec, exec, s[74:75]
.LBB4_8162:                             ;   in Loop: Header=BB4_7733 Depth=3
	s_or_b64 exec, exec, s[72:73]
                                        ; implicit-def: $vgpr8
.LBB4_8163:                             ;   in Loop: Header=BB4_7733 Depth=3
	s_andn2_saveexec_b64 s[30:31], s[70:71]
; %bb.8164:                             ;   in Loop: Header=BB4_7733 Depth=3
	v_or_b32_sdwa v8, v8, s39 dst_sel:DWORD dst_unused:UNUSED_PAD src0_sel:BYTE_3 src1_sel:DWORD
	v_cmp_eq_u64_e32 vcc, 0, v[42:43]
	v_cndmask_b32_e32 v24, v8, v24, vcc
; %bb.8165:                             ;   in Loop: Header=BB4_7733 Depth=3
	s_or_b64 exec, exec, s[30:31]
	v_lshrrev_b16_e32 v42, 8, v14
	v_lshrrev_b16_e32 v8, 8, v10
	v_cmp_ne_u16_e64 s[30:31], 0, v42
	s_and_b64 vcc, exec, s[68:69]
	s_cbranch_vccz .LBB4_8183
; %bb.8166:                             ;   in Loop: Header=BB4_7733 Depth=3
	v_mov_b32_e32 v9, 0
	v_mov_b32_e32 v12, 0
	s_and_saveexec_b64 s[70:71], s[30:31]
	s_cbranch_execz .LBB4_8174
; %bb.8167:                             ;   in Loop: Header=BB4_7733 Depth=3
	v_cmp_ne_u16_e32 vcc, s97, v42
	v_bfrev_b32_e32 v12, 1
	s_and_saveexec_b64 s[72:73], vcc
	s_cbranch_execz .LBB4_8173
; %bb.8168:                             ;   in Loop: Header=BB4_7733 Depth=3
	v_and_b32_e32 v12, 0x7c, v42
	v_and_b32_e32 v13, 3, v42
	v_cmp_ne_u32_e32 vcc, s95, v12
                                        ; implicit-def: $vgpr12
	s_and_saveexec_b64 s[74:75], vcc
	s_xor_b64 s[74:75], exec, s[74:75]
	s_cbranch_execz .LBB4_8170
; %bb.8169:                             ;   in Loop: Header=BB4_7733 Depth=3
	v_ffbh_u32_e32 v20, v13
	v_min_u32_e32 v25, 32, v20
	v_subrev_u32_e32 v20, 29, v25
	v_bfe_u32 v12, v42, 2, 5
	v_lshlrev_b64 v[20:21], v20, v[42:43]
	v_sub_u32_e32 v21, 30, v25
	v_cmp_eq_u32_e32 vcc, 0, v12
	v_and_b32_e32 v20, 3, v20
	v_cndmask_b32_e32 v12, v12, v21, vcc
	v_bfrev_b32_e32 v21, 28
	v_cndmask_b32_e32 v13, v13, v20, vcc
	v_lshlrev_b32_e32 v20, 16, v14
	v_lshl_add_u32 v12, v12, 23, v21
	v_and_or_b32 v12, v20, s96, v12
	v_lshl_or_b32 v12, v13, 21, v12
                                        ; implicit-def: $vgpr13
.LBB4_8170:                             ;   in Loop: Header=BB4_7733 Depth=3
	s_andn2_saveexec_b64 s[74:75], s[74:75]
; %bb.8171:                             ;   in Loop: Header=BB4_7733 Depth=3
	v_cmp_lt_i16_e32 vcc, -1, v14
	v_cndmask_b32_e32 v12, v6, v1, vcc
	v_cmp_eq_u32_e32 vcc, 0, v13
	v_mov_b32_e32 v13, 0x7f800001
	v_cndmask_b32_e32 v12, v13, v12, vcc
; %bb.8172:                             ;   in Loop: Header=BB4_7733 Depth=3
	s_or_b64 exec, exec, s[74:75]
.LBB4_8173:                             ;   in Loop: Header=BB4_7733 Depth=3
	s_or_b64 exec, exec, s[72:73]
.LBB4_8174:                             ;   in Loop: Header=BB4_7733 Depth=3
	s_or_b64 exec, exec, s[70:71]
	v_cmp_ne_u16_e32 vcc, 0, v8
	s_and_saveexec_b64 s[70:71], vcc
	s_cbranch_execz .LBB4_8182
; %bb.8175:                             ;   in Loop: Header=BB4_7733 Depth=3
	v_cmp_ne_u16_e32 vcc, s97, v8
	v_bfrev_b32_e32 v9, 1
	s_and_saveexec_b64 s[72:73], vcc
	s_cbranch_execz .LBB4_8181
; %bb.8176:                             ;   in Loop: Header=BB4_7733 Depth=3
	v_and_b32_e32 v9, 0x7c, v8
	v_and_b32_e32 v13, 3, v8
	v_cmp_ne_u32_e32 vcc, s95, v9
                                        ; implicit-def: $vgpr9
	s_and_saveexec_b64 s[74:75], vcc
	s_xor_b64 s[74:75], exec, s[74:75]
	s_cbranch_execz .LBB4_8178
; %bb.8177:                             ;   in Loop: Header=BB4_7733 Depth=3
	v_ffbh_u32_e32 v20, v13
	v_min_u32_e32 v32, 32, v20
	v_mov_b32_e32 v9, v43
	v_bfe_u32 v25, v8, 2, 5
	v_subrev_u32_e32 v20, 29, v32
	v_lshlrev_b64 v[20:21], v20, v[8:9]
	v_sub_u32_e32 v9, 30, v32
	v_cmp_eq_u32_e32 vcc, 0, v25
	v_and_b32_e32 v20, 3, v20
	v_cndmask_b32_e32 v9, v25, v9, vcc
	v_bfrev_b32_e32 v21, 28
	v_cndmask_b32_e32 v13, v13, v20, vcc
	v_lshlrev_b32_e32 v20, 16, v10
	v_lshl_add_u32 v9, v9, 23, v21
	v_and_or_b32 v9, v20, s96, v9
	v_lshl_or_b32 v9, v13, 21, v9
                                        ; implicit-def: $vgpr13
.LBB4_8178:                             ;   in Loop: Header=BB4_7733 Depth=3
	s_andn2_saveexec_b64 s[74:75], s[74:75]
; %bb.8179:                             ;   in Loop: Header=BB4_7733 Depth=3
	v_cmp_lt_i16_e32 vcc, -1, v10
	v_cndmask_b32_e32 v9, v6, v1, vcc
	v_cmp_eq_u32_e32 vcc, 0, v13
	v_mov_b32_e32 v13, 0x7f800001
	v_cndmask_b32_e32 v9, v13, v9, vcc
; %bb.8180:                             ;   in Loop: Header=BB4_7733 Depth=3
	s_or_b64 exec, exec, s[74:75]
.LBB4_8181:                             ;   in Loop: Header=BB4_7733 Depth=3
	s_or_b64 exec, exec, s[72:73]
.LBB4_8182:                             ;   in Loop: Header=BB4_7733 Depth=3
	s_or_b64 exec, exec, s[70:71]
	v_max_f32_e32 v9, v9, v9
	v_max_f32_e32 v12, v12, v12
	;; [unrolled: 1-line block ×3, first 2 shown]
	s_branch .LBB4_8201
.LBB4_8183:                             ;   in Loop: Header=BB4_7733 Depth=3
                                        ; implicit-def: $vgpr9
	s_cbranch_execz .LBB4_8201
; %bb.8184:                             ;   in Loop: Header=BB4_7733 Depth=3
	v_mov_b32_e32 v9, 0
	v_mov_b32_e32 v12, 0
	s_and_saveexec_b64 s[70:71], s[30:31]
	s_cbranch_execz .LBB4_8192
; %bb.8185:                             ;   in Loop: Header=BB4_7733 Depth=3
	v_cmp_ne_u16_e32 vcc, s97, v42
	v_bfrev_b32_e32 v12, 1
	s_and_saveexec_b64 s[30:31], vcc
	s_cbranch_execz .LBB4_8191
; %bb.8186:                             ;   in Loop: Header=BB4_7733 Depth=3
	v_and_b32_e32 v12, 0x7c, v42
	v_and_b32_e32 v13, 3, v42
	v_cmp_ne_u32_e32 vcc, s95, v12
                                        ; implicit-def: $vgpr12
	s_and_saveexec_b64 s[72:73], vcc
	s_xor_b64 s[72:73], exec, s[72:73]
	s_cbranch_execz .LBB4_8188
; %bb.8187:                             ;   in Loop: Header=BB4_7733 Depth=3
	v_ffbh_u32_e32 v20, v13
	v_min_u32_e32 v25, 32, v20
	v_subrev_u32_e32 v20, 29, v25
	v_bfe_u32 v12, v42, 2, 5
	v_lshlrev_b64 v[20:21], v20, v[42:43]
	v_sub_u32_e32 v21, 30, v25
	v_cmp_eq_u32_e32 vcc, 0, v12
	v_and_b32_e32 v20, 3, v20
	v_cndmask_b32_e32 v12, v12, v21, vcc
	v_bfrev_b32_e32 v21, 28
	v_cndmask_b32_e32 v13, v13, v20, vcc
	v_lshlrev_b32_e32 v20, 16, v14
	v_lshl_add_u32 v12, v12, 23, v21
	v_and_or_b32 v12, v20, s96, v12
	v_lshl_or_b32 v12, v13, 21, v12
                                        ; implicit-def: $vgpr13
.LBB4_8188:                             ;   in Loop: Header=BB4_7733 Depth=3
	s_andn2_saveexec_b64 s[72:73], s[72:73]
; %bb.8189:                             ;   in Loop: Header=BB4_7733 Depth=3
	v_cmp_lt_i16_e32 vcc, -1, v14
	v_cndmask_b32_e32 v12, v6, v1, vcc
	v_cmp_eq_u32_e32 vcc, 0, v13
	v_mov_b32_e32 v13, 0x7f800001
	v_cndmask_b32_e32 v12, v13, v12, vcc
; %bb.8190:                             ;   in Loop: Header=BB4_7733 Depth=3
	s_or_b64 exec, exec, s[72:73]
.LBB4_8191:                             ;   in Loop: Header=BB4_7733 Depth=3
	s_or_b64 exec, exec, s[30:31]
.LBB4_8192:                             ;   in Loop: Header=BB4_7733 Depth=3
	s_or_b64 exec, exec, s[70:71]
	v_cmp_ne_u16_e32 vcc, 0, v8
	s_and_saveexec_b64 s[30:31], vcc
	s_cbranch_execz .LBB4_8200
; %bb.8193:                             ;   in Loop: Header=BB4_7733 Depth=3
	v_cmp_ne_u16_e32 vcc, s97, v8
	v_bfrev_b32_e32 v9, 1
	s_and_saveexec_b64 s[70:71], vcc
	s_cbranch_execz .LBB4_8199
; %bb.8194:                             ;   in Loop: Header=BB4_7733 Depth=3
	v_and_b32_e32 v9, 0x7c, v8
	v_and_b32_e32 v13, 3, v8
	v_cmp_ne_u32_e32 vcc, s95, v9
                                        ; implicit-def: $vgpr9
	s_and_saveexec_b64 s[72:73], vcc
	s_xor_b64 s[72:73], exec, s[72:73]
	s_cbranch_execz .LBB4_8196
; %bb.8195:                             ;   in Loop: Header=BB4_7733 Depth=3
	v_ffbh_u32_e32 v21, v13
	v_min_u32_e32 v21, 32, v21
	v_mov_b32_e32 v9, v43
	v_subrev_u32_e32 v25, 29, v21
	v_bfe_u32 v20, v8, 2, 5
	v_lshlrev_b64 v[8:9], v25, v[8:9]
	v_sub_u32_e32 v9, 30, v21
	v_cmp_eq_u32_e32 vcc, 0, v20
	v_and_b32_e32 v8, 3, v8
	v_cndmask_b32_e32 v9, v20, v9, vcc
	v_bfrev_b32_e32 v20, 28
	v_cndmask_b32_e32 v8, v13, v8, vcc
	v_lshlrev_b32_e32 v13, 16, v10
	v_lshl_add_u32 v9, v9, 23, v20
	v_and_or_b32 v9, v13, s96, v9
	v_lshl_or_b32 v9, v8, 21, v9
                                        ; implicit-def: $vgpr13
.LBB4_8196:                             ;   in Loop: Header=BB4_7733 Depth=3
	s_andn2_saveexec_b64 s[72:73], s[72:73]
; %bb.8197:                             ;   in Loop: Header=BB4_7733 Depth=3
	v_cmp_lt_i16_e32 vcc, -1, v10
	v_cndmask_b32_e32 v8, v6, v1, vcc
	v_cmp_eq_u32_e32 vcc, 0, v13
	v_mov_b32_e32 v9, 0x7f800001
	v_cndmask_b32_e32 v9, v9, v8, vcc
; %bb.8198:                             ;   in Loop: Header=BB4_7733 Depth=3
	s_or_b64 exec, exec, s[72:73]
.LBB4_8199:                             ;   in Loop: Header=BB4_7733 Depth=3
	s_or_b64 exec, exec, s[70:71]
.LBB4_8200:                             ;   in Loop: Header=BB4_7733 Depth=3
	s_or_b64 exec, exec, s[30:31]
	v_max_f32_e32 v8, v9, v9
	v_max_f32_e32 v9, v12, v12
	v_min_f32_e32 v9, v9, v8
.LBB4_8201:                             ;   in Loop: Header=BB4_7733 Depth=3
	v_and_b32_sdwa v12, v9, s97 dst_sel:DWORD dst_unused:UNUSED_PAD src0_sel:BYTE_3 src1_sel:DWORD
	v_and_b32_e32 v20, 0x7f800000, v9
	v_mov_b32_e32 v21, v43
	v_and_b32_e32 v42, 0x7fffff, v9
	v_or_b32_e32 v25, 0x7b, v12
	v_cmp_ne_u64_e32 vcc, s[52:53], v[20:21]
	s_and_saveexec_b64 s[30:31], vcc
	s_xor_b64 s[70:71], exec, s[30:31]
	s_cbranch_execz .LBB4_8211
; %bb.8202:                             ;   in Loop: Header=BB4_7733 Depth=3
	v_and_b32_e32 v20, 0x7fffffff, v9
	v_mov_b32_e32 v21, v43
	v_cmp_gt_u64_e32 vcc, s[54:55], v[20:21]
	s_and_saveexec_b64 s[72:73], vcc
	s_cbranch_execz .LBB4_8210
; %bb.8203:                             ;   in Loop: Header=BB4_7733 Depth=3
	v_cmp_ne_u32_e32 vcc, 0, v9
	v_mov_b32_e32 v25, 0
	s_and_saveexec_b64 s[74:75], vcc
	s_cbranch_execz .LBB4_8209
; %bb.8204:                             ;   in Loop: Header=BB4_7733 Depth=3
	v_bfe_u32 v8, v9, 23, 8
	v_cmp_eq_u32_e32 vcc, 0, v8
	v_add_u32_e32 v9, 0xffffff81, v8
	v_cmp_gt_u32_e64 s[30:31], s38, v8
	v_sub_u32_e32 v8, 0x71, v8
	v_mov_b32_e32 v20, 0xffffff82
	v_cndmask_b32_e64 v8, 0, v8, s[30:31]
	v_cndmask_b32_e32 v25, v9, v20, vcc
	v_mov_b32_e32 v9, 0x70
	v_cndmask_b32_e32 v32, v8, v9, vcc
	v_add_u32_e32 v8, 21, v32
	v_or_b32_e32 v13, 0x800000, v42
	v_lshlrev_b64 v[8:9], v8, -1
	v_cndmask_b32_e32 v42, v13, v42, vcc
	v_not_b32_e32 v9, v9
	v_not_b32_e32 v8, v8
	v_add_u32_e32 v13, 20, v32
	v_and_b32_e32 v9, 0, v9
	v_and_b32_e32 v8, v42, v8
	v_lshlrev_b64 v[20:21], v13, 1
	v_cmp_eq_u64_e32 vcc, v[8:9], v[20:21]
	v_lshrrev_b64 v[8:9], v32, v[42:43]
	v_lshrrev_b32_e32 v13, 23, v8
	v_add3_u32 v21, v32, v25, v13
	v_bfe_u32 v13, v8, 21, 1
	v_add_u32_e32 v13, -1, v13
	v_cndmask_b32_e32 v13, 0, v13, vcc
	v_add_u32_e32 v13, v13, v8
	v_and_b32_e32 v13, 0x1fffff, v13
	v_add_co_u32_e32 v8, vcc, v13, v8
	v_add_u32_e32 v20, 14, v21
	v_addc_co_u32_e32 v9, vcc, 0, v9, vcc
	v_cmp_ne_u32_e32 vcc, 0, v20
                                        ; implicit-def: $vgpr13
	s_and_saveexec_b64 s[30:31], vcc
	s_xor_b64 s[30:31], exec, s[30:31]
; %bb.8205:                             ;   in Loop: Header=BB4_7733 Depth=3
	v_add_u32_e32 v13, 15, v21
	v_cmp_lt_u64_e32 vcc, s[56:57], v[8:9]
	v_cndmask_b32_e32 v13, v20, v13, vcc
	v_cndmask_b32_e64 v20, 0, 1, vcc
	v_lshrrev_b64 v[8:9], v20, v[8:9]
; %bb.8206:                             ;   in Loop: Header=BB4_7733 Depth=3
	s_andn2_saveexec_b64 vcc, s[30:31]
; %bb.8207:                             ;   in Loop: Header=BB4_7733 Depth=3
	v_bfe_u32 v13, v8, 23, 1
; %bb.8208:                             ;   in Loop: Header=BB4_7733 Depth=3
	s_or_b64 exec, exec, vcc
	v_lshrrev_b64 v[8:9], 21, v[8:9]
	v_cmp_gt_i32_e32 vcc, 32, v13
	v_cndmask_b32_e32 v9, 0, v9, vcc
	v_cndmask_b32_e32 v8, 3, v8, vcc
	v_cmp_eq_u64_e64 s[30:31], 0, v[8:9]
	v_min_i32_e32 v9, 31, v13
	v_cmp_eq_u32_e32 vcc, 0, v13
	v_lshlrev_b32_e32 v9, 2, v9
	v_and_or_b32 v8, v8, 3, v9
	s_and_b64 vcc, vcc, s[30:31]
	v_cndmask_b32_e64 v8, v8, 0, vcc
	v_or_b32_e32 v25, v8, v12
.LBB4_8209:                             ;   in Loop: Header=BB4_7733 Depth=3
	s_or_b64 exec, exec, s[74:75]
.LBB4_8210:                             ;   in Loop: Header=BB4_7733 Depth=3
	s_or_b64 exec, exec, s[72:73]
                                        ; implicit-def: $vgpr9
.LBB4_8211:                             ;   in Loop: Header=BB4_7733 Depth=3
	s_andn2_saveexec_b64 s[30:31], s[70:71]
; %bb.8212:                             ;   in Loop: Header=BB4_7733 Depth=3
	v_or_b32_sdwa v8, v9, s39 dst_sel:DWORD dst_unused:UNUSED_PAD src0_sel:BYTE_3 src1_sel:DWORD
	v_cmp_eq_u64_e32 vcc, 0, v[42:43]
	v_cndmask_b32_e32 v25, v8, v25, vcc
; %bb.8213:                             ;   in Loop: Header=BB4_7733 Depth=3
	s_or_b64 exec, exec, s[30:31]
	v_lshrrev_b32_e32 v12, 16, v14
	v_lshrrev_b32_e32 v8, 16, v10
	v_cmp_ne_u16_sdwa s[30:31], v12, v43 src0_sel:BYTE_0 src1_sel:DWORD
	s_and_b64 vcc, exec, s[68:69]
	s_cbranch_vccz .LBB4_8231
; %bb.8214:                             ;   in Loop: Header=BB4_7733 Depth=3
	v_mov_b32_e32 v13, 0
	v_mov_b32_e32 v9, 0
	s_and_saveexec_b64 s[70:71], s[30:31]
	s_cbranch_execz .LBB4_8222
; %bb.8215:                             ;   in Loop: Header=BB4_7733 Depth=3
	v_cmp_ne_u16_sdwa vcc, v12, s97 src0_sel:BYTE_0 src1_sel:DWORD
	v_bfrev_b32_e32 v9, 1
	s_and_saveexec_b64 s[72:73], vcc
	s_cbranch_execz .LBB4_8221
; %bb.8216:                             ;   in Loop: Header=BB4_7733 Depth=3
	v_and_b32_e32 v9, 0x7c0000, v14
	v_bfe_u32 v20, v14, 16, 2
	v_cmp_ne_u32_e32 vcc, s36, v9
                                        ; implicit-def: $vgpr9
	s_and_saveexec_b64 s[74:75], vcc
	s_xor_b64 s[74:75], exec, s[74:75]
	s_cbranch_execz .LBB4_8218
; %bb.8217:                             ;   in Loop: Header=BB4_7733 Depth=3
	v_ffbh_u32_e32 v21, v20
	v_min_u32_e32 v21, 32, v21
	v_subrev_u32_e32 v32, 29, v21
	v_bfe_u32 v9, v14, 18, 5
	v_lshlrev_b64 v[36:37], v32, v[12:13]
	v_sub_u32_e32 v21, 30, v21
	v_and_b32_e32 v32, 3, v36
	v_cmp_eq_u32_e32 vcc, 0, v9
	v_cndmask_b32_e32 v9, v9, v21, vcc
	v_cndmask_b32_e32 v20, v20, v32, vcc
	v_bfrev_b32_e32 v32, 28
	v_lshlrev_b32_e32 v21, 24, v12
	v_lshl_add_u32 v9, v9, 23, v32
	v_and_or_b32 v9, v21, s96, v9
	v_lshl_or_b32 v9, v20, 21, v9
                                        ; implicit-def: $vgpr20
.LBB4_8218:                             ;   in Loop: Header=BB4_7733 Depth=3
	s_andn2_saveexec_b64 s[74:75], s[74:75]
; %bb.8219:                             ;   in Loop: Header=BB4_7733 Depth=3
	v_mov_b32_e32 v9, -1
	v_cmp_gt_i16_sdwa vcc, sext(v12), v9 src0_sel:BYTE_0 src1_sel:DWORD
	v_cndmask_b32_e32 v9, v6, v1, vcc
	v_cmp_eq_u32_e32 vcc, 0, v20
	v_mov_b32_e32 v20, 0x7f800001
	v_cndmask_b32_e32 v9, v20, v9, vcc
; %bb.8220:                             ;   in Loop: Header=BB4_7733 Depth=3
	s_or_b64 exec, exec, s[74:75]
.LBB4_8221:                             ;   in Loop: Header=BB4_7733 Depth=3
	s_or_b64 exec, exec, s[72:73]
.LBB4_8222:                             ;   in Loop: Header=BB4_7733 Depth=3
	s_or_b64 exec, exec, s[70:71]
	v_cmp_ne_u16_sdwa vcc, v8, v43 src0_sel:BYTE_0 src1_sel:DWORD
	s_and_saveexec_b64 s[70:71], vcc
	s_cbranch_execz .LBB4_8230
; %bb.8223:                             ;   in Loop: Header=BB4_7733 Depth=3
	v_cmp_ne_u16_sdwa vcc, v8, s97 src0_sel:BYTE_0 src1_sel:DWORD
	v_bfrev_b32_e32 v13, 1
	s_and_saveexec_b64 s[72:73], vcc
	s_cbranch_execz .LBB4_8229
; %bb.8224:                             ;   in Loop: Header=BB4_7733 Depth=3
	v_and_b32_e32 v13, 0x7c0000, v10
	v_bfe_u32 v20, v10, 16, 2
	v_cmp_ne_u32_e32 vcc, s36, v13
                                        ; implicit-def: $vgpr13
	s_and_saveexec_b64 s[74:75], vcc
	s_xor_b64 s[74:75], exec, s[74:75]
	s_cbranch_execz .LBB4_8226
; %bb.8225:                             ;   in Loop: Header=BB4_7733 Depth=3
	v_ffbh_u32_e32 v21, v20
	v_min_u32_e32 v21, 32, v21
	v_subrev_u32_e32 v32, 29, v21
	v_bfe_u32 v13, v10, 18, 5
	v_lshlrev_b64 v[36:37], v32, v[8:9]
	v_sub_u32_e32 v21, 30, v21
	v_and_b32_e32 v32, 3, v36
	v_cmp_eq_u32_e32 vcc, 0, v13
	v_cndmask_b32_e32 v13, v13, v21, vcc
	v_cndmask_b32_e32 v20, v20, v32, vcc
	v_bfrev_b32_e32 v32, 28
	v_lshlrev_b32_e32 v21, 24, v8
	v_lshl_add_u32 v13, v13, 23, v32
	v_and_or_b32 v13, v21, s96, v13
	v_lshl_or_b32 v13, v20, 21, v13
                                        ; implicit-def: $vgpr20
.LBB4_8226:                             ;   in Loop: Header=BB4_7733 Depth=3
	s_andn2_saveexec_b64 s[74:75], s[74:75]
; %bb.8227:                             ;   in Loop: Header=BB4_7733 Depth=3
	v_mov_b32_e32 v13, -1
	v_cmp_gt_i16_sdwa vcc, sext(v8), v13 src0_sel:BYTE_0 src1_sel:DWORD
	v_cndmask_b32_e32 v13, v6, v1, vcc
	v_cmp_eq_u32_e32 vcc, 0, v20
	v_mov_b32_e32 v20, 0x7f800001
	v_cndmask_b32_e32 v13, v20, v13, vcc
; %bb.8228:                             ;   in Loop: Header=BB4_7733 Depth=3
	s_or_b64 exec, exec, s[74:75]
.LBB4_8229:                             ;   in Loop: Header=BB4_7733 Depth=3
	s_or_b64 exec, exec, s[72:73]
.LBB4_8230:                             ;   in Loop: Header=BB4_7733 Depth=3
	s_or_b64 exec, exec, s[70:71]
	v_max_f32_e32 v13, v13, v13
	v_max_f32_e32 v9, v9, v9
	;; [unrolled: 1-line block ×3, first 2 shown]
	s_branch .LBB4_8249
.LBB4_8231:                             ;   in Loop: Header=BB4_7733 Depth=3
                                        ; implicit-def: $vgpr9
	s_cbranch_execz .LBB4_8249
; %bb.8232:                             ;   in Loop: Header=BB4_7733 Depth=3
	v_mov_b32_e32 v13, 0
	v_mov_b32_e32 v9, 0
	s_and_saveexec_b64 s[70:71], s[30:31]
	s_cbranch_execz .LBB4_8240
; %bb.8233:                             ;   in Loop: Header=BB4_7733 Depth=3
	v_cmp_ne_u16_sdwa vcc, v12, s97 src0_sel:BYTE_0 src1_sel:DWORD
	v_bfrev_b32_e32 v9, 1
	s_and_saveexec_b64 s[30:31], vcc
	s_cbranch_execz .LBB4_8239
; %bb.8234:                             ;   in Loop: Header=BB4_7733 Depth=3
	v_and_b32_e32 v9, 0x7c0000, v14
	v_bfe_u32 v20, v14, 16, 2
	v_cmp_ne_u32_e32 vcc, s36, v9
                                        ; implicit-def: $vgpr9
	s_and_saveexec_b64 s[72:73], vcc
	s_xor_b64 s[72:73], exec, s[72:73]
	s_cbranch_execz .LBB4_8236
; %bb.8235:                             ;   in Loop: Header=BB4_7733 Depth=3
	v_ffbh_u32_e32 v21, v20
	v_bfe_u32 v9, v14, 18, 5
	v_min_u32_e32 v21, 32, v21
	v_subrev_u32_e32 v32, 29, v21
	v_sub_u32_e32 v21, 30, v21
	v_cmp_eq_u32_e32 vcc, 0, v9
	v_lshlrev_b64 v[36:37], v32, v[12:13]
	v_cndmask_b32_e32 v9, v9, v21, vcc
	v_bfrev_b32_e32 v21, 28
	v_and_b32_e32 v32, 3, v36
	v_lshlrev_b32_e32 v12, 24, v12
	v_lshl_add_u32 v9, v9, 23, v21
	v_cndmask_b32_e32 v20, v20, v32, vcc
	v_and_or_b32 v9, v12, s96, v9
	v_lshl_or_b32 v9, v20, 21, v9
                                        ; implicit-def: $vgpr20
                                        ; implicit-def: $vgpr12
.LBB4_8236:                             ;   in Loop: Header=BB4_7733 Depth=3
	s_andn2_saveexec_b64 s[72:73], s[72:73]
; %bb.8237:                             ;   in Loop: Header=BB4_7733 Depth=3
	v_mov_b32_e32 v9, -1
	v_cmp_gt_i16_sdwa vcc, sext(v12), v9 src0_sel:BYTE_0 src1_sel:DWORD
	v_cndmask_b32_e32 v9, v6, v1, vcc
	v_cmp_eq_u32_e32 vcc, 0, v20
	v_mov_b32_e32 v12, 0x7f800001
	v_cndmask_b32_e32 v9, v12, v9, vcc
; %bb.8238:                             ;   in Loop: Header=BB4_7733 Depth=3
	s_or_b64 exec, exec, s[72:73]
.LBB4_8239:                             ;   in Loop: Header=BB4_7733 Depth=3
	s_or_b64 exec, exec, s[30:31]
.LBB4_8240:                             ;   in Loop: Header=BB4_7733 Depth=3
	s_or_b64 exec, exec, s[70:71]
	v_cmp_ne_u16_sdwa vcc, v8, v43 src0_sel:BYTE_0 src1_sel:DWORD
	s_and_saveexec_b64 s[30:31], vcc
	s_cbranch_execz .LBB4_8248
; %bb.8241:                             ;   in Loop: Header=BB4_7733 Depth=3
	v_cmp_ne_u16_sdwa vcc, v8, s97 src0_sel:BYTE_0 src1_sel:DWORD
	v_bfrev_b32_e32 v13, 1
	s_and_saveexec_b64 s[70:71], vcc
	s_cbranch_execz .LBB4_8247
; %bb.8242:                             ;   in Loop: Header=BB4_7733 Depth=3
	v_and_b32_e32 v13, 0x7c0000, v10
	v_bfe_u32 v12, v10, 16, 2
	v_cmp_ne_u32_e32 vcc, s36, v13
                                        ; implicit-def: $vgpr13
	s_and_saveexec_b64 s[72:73], vcc
	s_xor_b64 s[72:73], exec, s[72:73]
	s_cbranch_execz .LBB4_8244
; %bb.8243:                             ;   in Loop: Header=BB4_7733 Depth=3
	v_ffbh_u32_e32 v20, v12
	v_min_u32_e32 v32, 32, v20
	v_subrev_u32_e32 v20, 29, v32
	v_bfe_u32 v13, v10, 18, 5
	v_lshlrev_b64 v[20:21], v20, v[8:9]
	v_sub_u32_e32 v21, 30, v32
	v_and_b32_e32 v20, 3, v20
	v_cmp_eq_u32_e32 vcc, 0, v13
	v_cndmask_b32_e32 v13, v13, v21, vcc
	v_cndmask_b32_e32 v12, v12, v20, vcc
	v_bfrev_b32_e32 v20, 28
	v_lshlrev_b32_e32 v8, 24, v8
	v_lshl_add_u32 v13, v13, 23, v20
	v_and_or_b32 v8, v8, s96, v13
	v_lshl_or_b32 v13, v12, 21, v8
                                        ; implicit-def: $vgpr12
                                        ; implicit-def: $vgpr8
.LBB4_8244:                             ;   in Loop: Header=BB4_7733 Depth=3
	s_andn2_saveexec_b64 s[72:73], s[72:73]
; %bb.8245:                             ;   in Loop: Header=BB4_7733 Depth=3
	v_mov_b32_e32 v13, -1
	v_cmp_gt_i16_sdwa vcc, sext(v8), v13 src0_sel:BYTE_0 src1_sel:DWORD
	v_cndmask_b32_e32 v8, v6, v1, vcc
	v_cmp_eq_u32_e32 vcc, 0, v12
	v_mov_b32_e32 v12, 0x7f800001
	v_cndmask_b32_e32 v13, v12, v8, vcc
; %bb.8246:                             ;   in Loop: Header=BB4_7733 Depth=3
	s_or_b64 exec, exec, s[72:73]
.LBB4_8247:                             ;   in Loop: Header=BB4_7733 Depth=3
	s_or_b64 exec, exec, s[70:71]
.LBB4_8248:                             ;   in Loop: Header=BB4_7733 Depth=3
	s_or_b64 exec, exec, s[30:31]
	v_max_f32_e32 v8, v13, v13
	v_max_f32_e32 v9, v9, v9
	v_min_f32_e32 v9, v9, v8
.LBB4_8249:                             ;   in Loop: Header=BB4_7733 Depth=3
	v_and_b32_sdwa v12, v9, s97 dst_sel:DWORD dst_unused:UNUSED_PAD src0_sel:BYTE_3 src1_sel:DWORD
	v_and_b32_e32 v20, 0x7f800000, v9
	v_mov_b32_e32 v21, v43
	v_and_b32_e32 v42, 0x7fffff, v9
	v_or_b32_e32 v53, 0x7b, v12
	v_cmp_ne_u64_e32 vcc, s[52:53], v[20:21]
	s_and_saveexec_b64 s[30:31], vcc
	s_xor_b64 s[70:71], exec, s[30:31]
	s_cbranch_execz .LBB4_8259
; %bb.8250:                             ;   in Loop: Header=BB4_7733 Depth=3
	v_and_b32_e32 v20, 0x7fffffff, v9
	v_mov_b32_e32 v21, v43
	v_cmp_gt_u64_e32 vcc, s[54:55], v[20:21]
	s_and_saveexec_b64 s[72:73], vcc
	s_cbranch_execz .LBB4_8258
; %bb.8251:                             ;   in Loop: Header=BB4_7733 Depth=3
	v_cmp_ne_u32_e32 vcc, 0, v9
	v_mov_b32_e32 v53, 0
	s_and_saveexec_b64 s[74:75], vcc
	s_cbranch_execz .LBB4_8257
; %bb.8252:                             ;   in Loop: Header=BB4_7733 Depth=3
	v_bfe_u32 v8, v9, 23, 8
	v_cmp_eq_u32_e32 vcc, 0, v8
	v_add_u32_e32 v9, 0xffffff81, v8
	v_cmp_gt_u32_e64 s[30:31], s38, v8
	v_sub_u32_e32 v8, 0x71, v8
	v_mov_b32_e32 v20, 0xffffff82
	v_cndmask_b32_e64 v8, 0, v8, s[30:31]
	v_cndmask_b32_e32 v32, v9, v20, vcc
	v_mov_b32_e32 v9, 0x70
	v_cndmask_b32_e32 v33, v8, v9, vcc
	v_add_u32_e32 v8, 21, v33
	v_or_b32_e32 v13, 0x800000, v42
	v_lshlrev_b64 v[8:9], v8, -1
	v_cndmask_b32_e32 v42, v13, v42, vcc
	v_not_b32_e32 v9, v9
	v_not_b32_e32 v8, v8
	v_add_u32_e32 v13, 20, v33
	v_and_b32_e32 v9, 0, v9
	v_and_b32_e32 v8, v42, v8
	v_lshlrev_b64 v[20:21], v13, 1
	v_cmp_eq_u64_e32 vcc, v[8:9], v[20:21]
	v_lshrrev_b64 v[8:9], v33, v[42:43]
	v_lshrrev_b32_e32 v13, 23, v8
	v_add3_u32 v21, v33, v32, v13
	v_bfe_u32 v13, v8, 21, 1
	v_add_u32_e32 v13, -1, v13
	v_cndmask_b32_e32 v13, 0, v13, vcc
	v_add_u32_e32 v13, v13, v8
	v_and_b32_e32 v13, 0x1fffff, v13
	v_add_co_u32_e32 v8, vcc, v13, v8
	v_add_u32_e32 v20, 14, v21
	v_addc_co_u32_e32 v9, vcc, 0, v9, vcc
	v_cmp_ne_u32_e32 vcc, 0, v20
                                        ; implicit-def: $vgpr13
	s_and_saveexec_b64 s[30:31], vcc
	s_xor_b64 s[30:31], exec, s[30:31]
; %bb.8253:                             ;   in Loop: Header=BB4_7733 Depth=3
	v_add_u32_e32 v13, 15, v21
	v_cmp_lt_u64_e32 vcc, s[56:57], v[8:9]
	v_cndmask_b32_e32 v13, v20, v13, vcc
	v_cndmask_b32_e64 v20, 0, 1, vcc
	v_lshrrev_b64 v[8:9], v20, v[8:9]
; %bb.8254:                             ;   in Loop: Header=BB4_7733 Depth=3
	s_andn2_saveexec_b64 vcc, s[30:31]
; %bb.8255:                             ;   in Loop: Header=BB4_7733 Depth=3
	v_bfe_u32 v13, v8, 23, 1
; %bb.8256:                             ;   in Loop: Header=BB4_7733 Depth=3
	s_or_b64 exec, exec, vcc
	v_lshrrev_b64 v[8:9], 21, v[8:9]
	v_cmp_gt_i32_e32 vcc, 32, v13
	v_cndmask_b32_e32 v9, 0, v9, vcc
	v_cndmask_b32_e32 v8, 3, v8, vcc
	v_cmp_eq_u64_e64 s[30:31], 0, v[8:9]
	v_min_i32_e32 v9, 31, v13
	v_cmp_eq_u32_e32 vcc, 0, v13
	v_lshlrev_b32_e32 v9, 2, v9
	v_and_or_b32 v8, v8, 3, v9
	s_and_b64 vcc, vcc, s[30:31]
	v_cndmask_b32_e64 v8, v8, 0, vcc
	v_or_b32_e32 v53, v8, v12
.LBB4_8257:                             ;   in Loop: Header=BB4_7733 Depth=3
	s_or_b64 exec, exec, s[74:75]
.LBB4_8258:                             ;   in Loop: Header=BB4_7733 Depth=3
	s_or_b64 exec, exec, s[72:73]
                                        ; implicit-def: $vgpr9
.LBB4_8259:                             ;   in Loop: Header=BB4_7733 Depth=3
	s_andn2_saveexec_b64 s[30:31], s[70:71]
; %bb.8260:                             ;   in Loop: Header=BB4_7733 Depth=3
	v_or_b32_sdwa v8, v9, s39 dst_sel:DWORD dst_unused:UNUSED_PAD src0_sel:BYTE_3 src1_sel:DWORD
	v_cmp_eq_u64_e32 vcc, 0, v[42:43]
	v_cndmask_b32_e32 v53, v8, v53, vcc
; %bb.8261:                             ;   in Loop: Header=BB4_7733 Depth=3
	s_or_b64 exec, exec, s[30:31]
	v_lshrrev_b32_e32 v12, 24, v14
	v_lshrrev_b32_e32 v8, 24, v10
	v_cmp_lt_u32_e64 s[30:31], s43, v14
	s_and_b64 vcc, exec, s[68:69]
	s_cbranch_vccz .LBB4_8279
; %bb.8262:                             ;   in Loop: Header=BB4_7733 Depth=3
	v_mov_b32_e32 v13, 0
	v_mov_b32_e32 v9, 0
	s_and_saveexec_b64 s[70:71], s[30:31]
	s_cbranch_execz .LBB4_8270
; %bb.8263:                             ;   in Loop: Header=BB4_7733 Depth=3
	v_cmp_ne_u32_e32 vcc, s97, v12
	v_bfrev_b32_e32 v9, 1
	s_and_saveexec_b64 s[72:73], vcc
	s_cbranch_execz .LBB4_8269
; %bb.8264:                             ;   in Loop: Header=BB4_7733 Depth=3
	v_and_b32_e32 v9, 0x7c000000, v14
	v_bfe_u32 v20, v14, 24, 2
	v_cmp_ne_u32_e32 vcc, s37, v9
                                        ; implicit-def: $vgpr9
	s_and_saveexec_b64 s[74:75], vcc
	s_xor_b64 s[74:75], exec, s[74:75]
	s_cbranch_execz .LBB4_8266
; %bb.8265:                             ;   in Loop: Header=BB4_7733 Depth=3
	v_ffbh_u32_e32 v21, v20
	v_bfe_u32 v9, v14, 26, 5
	v_min_u32_e32 v21, 32, v21
	v_subrev_u32_e32 v32, 29, v21
	v_sub_u32_e32 v21, 30, v21
	v_cmp_eq_u32_e32 vcc, 0, v9
	v_lshlrev_b64 v[36:37], v32, v[12:13]
	v_cndmask_b32_e32 v9, v9, v21, vcc
	v_bfrev_b32_e32 v21, 28
	v_and_b32_e32 v32, 3, v36
	v_lshl_add_u32 v9, v9, 23, v21
	v_cndmask_b32_e32 v20, v20, v32, vcc
	v_and_or_b32 v9, v14, s96, v9
	v_lshl_or_b32 v9, v20, 21, v9
                                        ; implicit-def: $vgpr20
.LBB4_8266:                             ;   in Loop: Header=BB4_7733 Depth=3
	s_andn2_saveexec_b64 s[74:75], s[74:75]
; %bb.8267:                             ;   in Loop: Header=BB4_7733 Depth=3
	v_cmp_lt_i32_e32 vcc, -1, v14
	v_cndmask_b32_e32 v9, v6, v1, vcc
	v_cmp_eq_u32_e32 vcc, 0, v20
	v_mov_b32_e32 v20, 0x7f800001
	v_cndmask_b32_e32 v9, v20, v9, vcc
; %bb.8268:                             ;   in Loop: Header=BB4_7733 Depth=3
	s_or_b64 exec, exec, s[74:75]
.LBB4_8269:                             ;   in Loop: Header=BB4_7733 Depth=3
	s_or_b64 exec, exec, s[72:73]
.LBB4_8270:                             ;   in Loop: Header=BB4_7733 Depth=3
	s_or_b64 exec, exec, s[70:71]
	v_cmp_lt_u32_e32 vcc, s43, v10
	s_and_saveexec_b64 s[70:71], vcc
	s_cbranch_execz .LBB4_8278
; %bb.8271:                             ;   in Loop: Header=BB4_7733 Depth=3
	v_cmp_ne_u32_e32 vcc, s97, v8
	v_bfrev_b32_e32 v13, 1
	s_and_saveexec_b64 s[72:73], vcc
	s_cbranch_execz .LBB4_8277
; %bb.8272:                             ;   in Loop: Header=BB4_7733 Depth=3
	v_and_b32_e32 v13, 0x7c000000, v10
	v_bfe_u32 v20, v10, 24, 2
	v_cmp_ne_u32_e32 vcc, s37, v13
                                        ; implicit-def: $vgpr13
	s_and_saveexec_b64 s[74:75], vcc
	s_xor_b64 s[74:75], exec, s[74:75]
	s_cbranch_execz .LBB4_8274
; %bb.8273:                             ;   in Loop: Header=BB4_7733 Depth=3
	v_ffbh_u32_e32 v21, v20
	v_bfe_u32 v13, v10, 26, 5
	v_min_u32_e32 v21, 32, v21
	v_subrev_u32_e32 v32, 29, v21
	v_sub_u32_e32 v21, 30, v21
	v_cmp_eq_u32_e32 vcc, 0, v13
	v_lshlrev_b64 v[36:37], v32, v[8:9]
	v_cndmask_b32_e32 v13, v13, v21, vcc
	v_bfrev_b32_e32 v21, 28
	v_and_b32_e32 v32, 3, v36
	v_lshl_add_u32 v13, v13, 23, v21
	v_cndmask_b32_e32 v20, v20, v32, vcc
	v_and_or_b32 v13, v10, s96, v13
	v_lshl_or_b32 v13, v20, 21, v13
                                        ; implicit-def: $vgpr20
.LBB4_8274:                             ;   in Loop: Header=BB4_7733 Depth=3
	s_andn2_saveexec_b64 s[74:75], s[74:75]
; %bb.8275:                             ;   in Loop: Header=BB4_7733 Depth=3
	v_cmp_lt_i32_e32 vcc, -1, v10
	v_cndmask_b32_e32 v13, v6, v1, vcc
	v_cmp_eq_u32_e32 vcc, 0, v20
	v_mov_b32_e32 v20, 0x7f800001
	v_cndmask_b32_e32 v13, v20, v13, vcc
; %bb.8276:                             ;   in Loop: Header=BB4_7733 Depth=3
	s_or_b64 exec, exec, s[74:75]
.LBB4_8277:                             ;   in Loop: Header=BB4_7733 Depth=3
	s_or_b64 exec, exec, s[72:73]
.LBB4_8278:                             ;   in Loop: Header=BB4_7733 Depth=3
	s_or_b64 exec, exec, s[70:71]
	v_max_f32_e32 v13, v13, v13
	v_max_f32_e32 v9, v9, v9
	;; [unrolled: 1-line block ×3, first 2 shown]
	s_branch .LBB4_8297
.LBB4_8279:                             ;   in Loop: Header=BB4_7733 Depth=3
                                        ; implicit-def: $vgpr9
	s_cbranch_execz .LBB4_8297
; %bb.8280:                             ;   in Loop: Header=BB4_7733 Depth=3
	v_mov_b32_e32 v13, 0
	v_mov_b32_e32 v9, 0
	s_and_saveexec_b64 s[70:71], s[30:31]
	s_cbranch_execz .LBB4_8288
; %bb.8281:                             ;   in Loop: Header=BB4_7733 Depth=3
	v_cmp_ne_u32_e32 vcc, s97, v12
	v_bfrev_b32_e32 v9, 1
	s_and_saveexec_b64 s[30:31], vcc
	s_cbranch_execz .LBB4_8287
; %bb.8282:                             ;   in Loop: Header=BB4_7733 Depth=3
	v_and_b32_e32 v9, 0x7c000000, v14
	v_bfe_u32 v20, v14, 24, 2
	v_cmp_ne_u32_e32 vcc, s37, v9
                                        ; implicit-def: $vgpr9
	s_and_saveexec_b64 s[72:73], vcc
	s_xor_b64 s[72:73], exec, s[72:73]
	s_cbranch_execz .LBB4_8284
; %bb.8283:                             ;   in Loop: Header=BB4_7733 Depth=3
	v_ffbh_u32_e32 v21, v20
	v_min_u32_e32 v21, 32, v21
	v_subrev_u32_e32 v32, 29, v21
	v_bfe_u32 v9, v14, 26, 5
	v_lshlrev_b64 v[36:37], v32, v[12:13]
	v_sub_u32_e32 v12, 30, v21
	v_and_b32_e32 v21, 3, v36
	v_cmp_eq_u32_e32 vcc, 0, v9
	v_cndmask_b32_e32 v9, v9, v12, vcc
	v_cndmask_b32_e32 v12, v20, v21, vcc
	v_bfrev_b32_e32 v20, 28
	v_lshl_add_u32 v9, v9, 23, v20
	v_and_or_b32 v9, v14, s96, v9
	v_lshl_or_b32 v9, v12, 21, v9
                                        ; implicit-def: $vgpr20
.LBB4_8284:                             ;   in Loop: Header=BB4_7733 Depth=3
	s_andn2_saveexec_b64 s[72:73], s[72:73]
; %bb.8285:                             ;   in Loop: Header=BB4_7733 Depth=3
	v_cmp_lt_i32_e32 vcc, -1, v14
	v_cndmask_b32_e32 v9, v6, v1, vcc
	v_cmp_eq_u32_e32 vcc, 0, v20
	v_mov_b32_e32 v12, 0x7f800001
	v_cndmask_b32_e32 v9, v12, v9, vcc
; %bb.8286:                             ;   in Loop: Header=BB4_7733 Depth=3
	s_or_b64 exec, exec, s[72:73]
.LBB4_8287:                             ;   in Loop: Header=BB4_7733 Depth=3
	s_or_b64 exec, exec, s[30:31]
.LBB4_8288:                             ;   in Loop: Header=BB4_7733 Depth=3
	s_or_b64 exec, exec, s[70:71]
	v_cmp_lt_u32_e32 vcc, s43, v10
	s_and_saveexec_b64 s[30:31], vcc
	s_cbranch_execz .LBB4_8296
; %bb.8289:                             ;   in Loop: Header=BB4_7733 Depth=3
	v_cmp_ne_u32_e32 vcc, s97, v8
	v_bfrev_b32_e32 v13, 1
	s_and_saveexec_b64 s[70:71], vcc
	s_cbranch_execz .LBB4_8295
; %bb.8290:                             ;   in Loop: Header=BB4_7733 Depth=3
	v_and_b32_e32 v13, 0x7c000000, v10
	v_bfe_u32 v12, v10, 24, 2
	v_cmp_ne_u32_e32 vcc, s37, v13
                                        ; implicit-def: $vgpr13
	s_and_saveexec_b64 s[72:73], vcc
	s_xor_b64 s[72:73], exec, s[72:73]
	s_cbranch_execz .LBB4_8292
; %bb.8291:                             ;   in Loop: Header=BB4_7733 Depth=3
	v_ffbh_u32_e32 v20, v12
	v_min_u32_e32 v32, 32, v20
	v_bfe_u32 v13, v10, 26, 5
	v_subrev_u32_e32 v20, 29, v32
	v_lshlrev_b64 v[20:21], v20, v[8:9]
	v_sub_u32_e32 v8, 30, v32
	v_cmp_eq_u32_e32 vcc, 0, v13
	v_cndmask_b32_e32 v8, v13, v8, vcc
	v_bfrev_b32_e32 v13, 28
	v_and_b32_e32 v20, 3, v20
	v_lshl_add_u32 v8, v8, 23, v13
	v_cndmask_b32_e32 v12, v12, v20, vcc
	v_and_or_b32 v8, v10, s96, v8
	v_lshl_or_b32 v13, v12, 21, v8
                                        ; implicit-def: $vgpr12
.LBB4_8292:                             ;   in Loop: Header=BB4_7733 Depth=3
	s_andn2_saveexec_b64 s[72:73], s[72:73]
; %bb.8293:                             ;   in Loop: Header=BB4_7733 Depth=3
	v_cmp_lt_i32_e32 vcc, -1, v10
	v_cndmask_b32_e32 v8, v6, v1, vcc
	v_cmp_eq_u32_e32 vcc, 0, v12
	v_mov_b32_e32 v12, 0x7f800001
	v_cndmask_b32_e32 v13, v12, v8, vcc
; %bb.8294:                             ;   in Loop: Header=BB4_7733 Depth=3
	s_or_b64 exec, exec, s[72:73]
.LBB4_8295:                             ;   in Loop: Header=BB4_7733 Depth=3
	s_or_b64 exec, exec, s[70:71]
.LBB4_8296:                             ;   in Loop: Header=BB4_7733 Depth=3
	s_or_b64 exec, exec, s[30:31]
	v_max_f32_e32 v8, v13, v13
	v_max_f32_e32 v9, v9, v9
	v_min_f32_e32 v9, v9, v8
.LBB4_8297:                             ;   in Loop: Header=BB4_7733 Depth=3
	v_and_b32_sdwa v12, v9, s97 dst_sel:DWORD dst_unused:UNUSED_PAD src0_sel:BYTE_3 src1_sel:DWORD
	v_and_b32_e32 v20, 0x7f800000, v9
	v_mov_b32_e32 v21, v43
	v_and_b32_e32 v42, 0x7fffff, v9
	v_or_b32_e32 v36, 0x7b, v12
	v_cmp_ne_u64_e32 vcc, s[52:53], v[20:21]
	s_and_saveexec_b64 s[30:31], vcc
	s_xor_b64 s[70:71], exec, s[30:31]
	s_cbranch_execz .LBB4_8307
; %bb.8298:                             ;   in Loop: Header=BB4_7733 Depth=3
	v_and_b32_e32 v20, 0x7fffffff, v9
	v_mov_b32_e32 v21, v43
	v_cmp_gt_u64_e32 vcc, s[54:55], v[20:21]
	s_and_saveexec_b64 s[72:73], vcc
	s_cbranch_execz .LBB4_8306
; %bb.8299:                             ;   in Loop: Header=BB4_7733 Depth=3
	v_cmp_ne_u32_e32 vcc, 0, v9
	v_mov_b32_e32 v36, 0
	s_and_saveexec_b64 s[74:75], vcc
	s_cbranch_execz .LBB4_8305
; %bb.8300:                             ;   in Loop: Header=BB4_7733 Depth=3
	v_bfe_u32 v8, v9, 23, 8
	v_cmp_eq_u32_e32 vcc, 0, v8
	v_add_u32_e32 v9, 0xffffff81, v8
	v_cmp_gt_u32_e64 s[30:31], s38, v8
	v_sub_u32_e32 v8, 0x71, v8
	v_mov_b32_e32 v20, 0xffffff82
	v_cndmask_b32_e64 v8, 0, v8, s[30:31]
	v_cndmask_b32_e32 v32, v9, v20, vcc
	v_mov_b32_e32 v9, 0x70
	v_cndmask_b32_e32 v33, v8, v9, vcc
	v_add_u32_e32 v8, 21, v33
	v_or_b32_e32 v13, 0x800000, v42
	v_lshlrev_b64 v[8:9], v8, -1
	v_cndmask_b32_e32 v42, v13, v42, vcc
	v_not_b32_e32 v9, v9
	v_not_b32_e32 v8, v8
	v_add_u32_e32 v13, 20, v33
	v_and_b32_e32 v9, 0, v9
	v_and_b32_e32 v8, v42, v8
	v_lshlrev_b64 v[20:21], v13, 1
	v_cmp_eq_u64_e32 vcc, v[8:9], v[20:21]
	v_lshrrev_b64 v[8:9], v33, v[42:43]
	v_lshrrev_b32_e32 v13, 23, v8
	v_add3_u32 v21, v33, v32, v13
	v_bfe_u32 v13, v8, 21, 1
	v_add_u32_e32 v13, -1, v13
	v_cndmask_b32_e32 v13, 0, v13, vcc
	v_add_u32_e32 v13, v13, v8
	v_and_b32_e32 v13, 0x1fffff, v13
	v_add_co_u32_e32 v8, vcc, v13, v8
	v_add_u32_e32 v20, 14, v21
	v_addc_co_u32_e32 v9, vcc, 0, v9, vcc
	v_cmp_ne_u32_e32 vcc, 0, v20
                                        ; implicit-def: $vgpr13
	s_and_saveexec_b64 s[30:31], vcc
	s_xor_b64 s[30:31], exec, s[30:31]
; %bb.8301:                             ;   in Loop: Header=BB4_7733 Depth=3
	v_add_u32_e32 v13, 15, v21
	v_cmp_lt_u64_e32 vcc, s[56:57], v[8:9]
	v_cndmask_b32_e32 v13, v20, v13, vcc
	v_cndmask_b32_e64 v20, 0, 1, vcc
	v_lshrrev_b64 v[8:9], v20, v[8:9]
; %bb.8302:                             ;   in Loop: Header=BB4_7733 Depth=3
	s_andn2_saveexec_b64 vcc, s[30:31]
; %bb.8303:                             ;   in Loop: Header=BB4_7733 Depth=3
	v_bfe_u32 v13, v8, 23, 1
; %bb.8304:                             ;   in Loop: Header=BB4_7733 Depth=3
	s_or_b64 exec, exec, vcc
	v_lshrrev_b64 v[8:9], 21, v[8:9]
	v_cmp_gt_i32_e32 vcc, 32, v13
	v_cndmask_b32_e32 v9, 0, v9, vcc
	v_cndmask_b32_e32 v8, 3, v8, vcc
	v_cmp_eq_u64_e64 s[30:31], 0, v[8:9]
	v_min_i32_e32 v9, 31, v13
	v_cmp_eq_u32_e32 vcc, 0, v13
	v_lshlrev_b32_e32 v9, 2, v9
	v_and_or_b32 v8, v8, 3, v9
	s_and_b64 vcc, vcc, s[30:31]
	v_cndmask_b32_e64 v8, v8, 0, vcc
	v_or_b32_e32 v36, v8, v12
.LBB4_8305:                             ;   in Loop: Header=BB4_7733 Depth=3
	s_or_b64 exec, exec, s[74:75]
.LBB4_8306:                             ;   in Loop: Header=BB4_7733 Depth=3
	s_or_b64 exec, exec, s[72:73]
                                        ; implicit-def: $vgpr9
.LBB4_8307:                             ;   in Loop: Header=BB4_7733 Depth=3
	s_andn2_saveexec_b64 s[30:31], s[70:71]
; %bb.8308:                             ;   in Loop: Header=BB4_7733 Depth=3
	v_or_b32_sdwa v8, v9, s39 dst_sel:DWORD dst_unused:UNUSED_PAD src0_sel:BYTE_3 src1_sel:DWORD
	v_cmp_eq_u64_e32 vcc, 0, v[42:43]
	v_cndmask_b32_e32 v36, v8, v36, vcc
; %bb.8309:                             ;   in Loop: Header=BB4_7733 Depth=3
	s_or_b64 exec, exec, s[30:31]
	v_mov_b32_e32 v42, v15
	v_mov_b32_e32 v8, v11
	;; [unrolled: 1-line block ×3, first 2 shown]
	v_cmp_ne_u16_sdwa s[30:31], v15, v43 src0_sel:BYTE_0 src1_sel:DWORD
	s_and_b64 vcc, exec, s[68:69]
	s_cbranch_vccz .LBB4_8327
; %bb.8310:                             ;   in Loop: Header=BB4_7733 Depth=3
	v_mov_b32_e32 v13, 0
	v_mov_b32_e32 v12, 0
	s_and_saveexec_b64 s[70:71], s[30:31]
	s_cbranch_execz .LBB4_8318
; %bb.8311:                             ;   in Loop: Header=BB4_7733 Depth=3
	v_cmp_ne_u16_sdwa vcc, v15, s97 src0_sel:BYTE_0 src1_sel:DWORD
	v_bfrev_b32_e32 v12, 1
	s_and_saveexec_b64 s[72:73], vcc
	s_cbranch_execz .LBB4_8317
; %bb.8312:                             ;   in Loop: Header=BB4_7733 Depth=3
	v_and_b32_e32 v12, 0x7c, v15
	v_and_b32_e32 v20, 3, v15
	v_cmp_ne_u32_e32 vcc, s95, v12
                                        ; implicit-def: $vgpr12
	s_and_saveexec_b64 s[74:75], vcc
	s_xor_b64 s[74:75], exec, s[74:75]
	s_cbranch_execz .LBB4_8314
; %bb.8313:                             ;   in Loop: Header=BB4_7733 Depth=3
	v_ffbh_u32_e32 v21, v20
	v_min_u32_e32 v21, 32, v21
	v_subrev_u32_e32 v32, 29, v21
	v_bfe_u32 v12, v15, 2, 5
	v_lshlrev_b64 v[50:51], v32, v[42:43]
	v_sub_u32_e32 v21, 30, v21
	v_and_b32_e32 v32, 3, v50
	v_cmp_eq_u32_e32 vcc, 0, v12
	v_cndmask_b32_e32 v12, v12, v21, vcc
	v_cndmask_b32_e32 v20, v20, v32, vcc
	v_bfrev_b32_e32 v32, 28
	v_lshlrev_b32_e32 v21, 24, v15
	v_lshl_add_u32 v12, v12, 23, v32
	v_and_or_b32 v12, v21, s96, v12
	v_lshl_or_b32 v12, v20, 21, v12
                                        ; implicit-def: $vgpr20
.LBB4_8314:                             ;   in Loop: Header=BB4_7733 Depth=3
	s_andn2_saveexec_b64 s[74:75], s[74:75]
; %bb.8315:                             ;   in Loop: Header=BB4_7733 Depth=3
	v_mov_b32_e32 v12, -1
	v_cmp_gt_i16_sdwa vcc, sext(v15), v12 src0_sel:BYTE_0 src1_sel:DWORD
	v_cndmask_b32_e32 v12, v6, v1, vcc
	v_cmp_eq_u32_e32 vcc, 0, v20
	v_mov_b32_e32 v20, 0x7f800001
	v_cndmask_b32_e32 v12, v20, v12, vcc
; %bb.8316:                             ;   in Loop: Header=BB4_7733 Depth=3
	s_or_b64 exec, exec, s[74:75]
.LBB4_8317:                             ;   in Loop: Header=BB4_7733 Depth=3
	s_or_b64 exec, exec, s[72:73]
.LBB4_8318:                             ;   in Loop: Header=BB4_7733 Depth=3
	s_or_b64 exec, exec, s[70:71]
	v_cmp_ne_u16_sdwa vcc, v11, v43 src0_sel:BYTE_0 src1_sel:DWORD
	s_and_saveexec_b64 s[70:71], vcc
	s_cbranch_execz .LBB4_8326
; %bb.8319:                             ;   in Loop: Header=BB4_7733 Depth=3
	v_cmp_ne_u16_sdwa vcc, v11, s97 src0_sel:BYTE_0 src1_sel:DWORD
	v_bfrev_b32_e32 v13, 1
	s_and_saveexec_b64 s[72:73], vcc
	s_cbranch_execz .LBB4_8325
; %bb.8320:                             ;   in Loop: Header=BB4_7733 Depth=3
	v_and_b32_e32 v13, 0x7c, v11
	v_and_b32_e32 v20, 3, v11
	v_cmp_ne_u32_e32 vcc, s95, v13
                                        ; implicit-def: $vgpr13
	s_and_saveexec_b64 s[74:75], vcc
	s_xor_b64 s[74:75], exec, s[74:75]
	s_cbranch_execz .LBB4_8322
; %bb.8321:                             ;   in Loop: Header=BB4_7733 Depth=3
	v_ffbh_u32_e32 v21, v20
	v_min_u32_e32 v21, 32, v21
	v_subrev_u32_e32 v32, 29, v21
	v_bfe_u32 v13, v11, 2, 5
	v_lshlrev_b64 v[50:51], v32, v[8:9]
	v_sub_u32_e32 v21, 30, v21
	v_and_b32_e32 v32, 3, v50
	v_cmp_eq_u32_e32 vcc, 0, v13
	v_cndmask_b32_e32 v13, v13, v21, vcc
	v_cndmask_b32_e32 v20, v20, v32, vcc
	v_bfrev_b32_e32 v32, 28
	v_lshlrev_b32_e32 v21, 24, v11
	v_lshl_add_u32 v13, v13, 23, v32
	v_and_or_b32 v13, v21, s96, v13
	v_lshl_or_b32 v13, v20, 21, v13
                                        ; implicit-def: $vgpr20
.LBB4_8322:                             ;   in Loop: Header=BB4_7733 Depth=3
	s_andn2_saveexec_b64 s[74:75], s[74:75]
; %bb.8323:                             ;   in Loop: Header=BB4_7733 Depth=3
	v_mov_b32_e32 v13, -1
	v_cmp_gt_i16_sdwa vcc, sext(v11), v13 src0_sel:BYTE_0 src1_sel:DWORD
	v_cndmask_b32_e32 v13, v6, v1, vcc
	v_cmp_eq_u32_e32 vcc, 0, v20
	v_mov_b32_e32 v20, 0x7f800001
	v_cndmask_b32_e32 v13, v20, v13, vcc
; %bb.8324:                             ;   in Loop: Header=BB4_7733 Depth=3
	s_or_b64 exec, exec, s[74:75]
.LBB4_8325:                             ;   in Loop: Header=BB4_7733 Depth=3
	s_or_b64 exec, exec, s[72:73]
.LBB4_8326:                             ;   in Loop: Header=BB4_7733 Depth=3
	s_or_b64 exec, exec, s[70:71]
	v_max_f32_e32 v13, v13, v13
	v_max_f32_e32 v12, v12, v12
	;; [unrolled: 1-line block ×3, first 2 shown]
	s_branch .LBB4_8345
.LBB4_8327:                             ;   in Loop: Header=BB4_7733 Depth=3
                                        ; implicit-def: $vgpr20
	s_cbranch_execz .LBB4_8345
; %bb.8328:                             ;   in Loop: Header=BB4_7733 Depth=3
	v_mov_b32_e32 v13, 0
	v_mov_b32_e32 v12, 0
	s_and_saveexec_b64 s[70:71], s[30:31]
	s_cbranch_execz .LBB4_8336
; %bb.8329:                             ;   in Loop: Header=BB4_7733 Depth=3
	v_cmp_ne_u16_sdwa vcc, v15, s97 src0_sel:BYTE_0 src1_sel:DWORD
	v_bfrev_b32_e32 v12, 1
	s_and_saveexec_b64 s[30:31], vcc
	s_cbranch_execz .LBB4_8335
; %bb.8330:                             ;   in Loop: Header=BB4_7733 Depth=3
	v_and_b32_e32 v12, 0x7c, v15
	v_and_b32_e32 v20, 3, v15
	v_cmp_ne_u32_e32 vcc, s95, v12
                                        ; implicit-def: $vgpr12
	s_and_saveexec_b64 s[72:73], vcc
	s_xor_b64 s[72:73], exec, s[72:73]
	s_cbranch_execz .LBB4_8332
; %bb.8331:                             ;   in Loop: Header=BB4_7733 Depth=3
	v_ffbh_u32_e32 v21, v20
	v_min_u32_e32 v21, 32, v21
	v_subrev_u32_e32 v32, 29, v21
	v_bfe_u32 v12, v15, 2, 5
	v_lshlrev_b64 v[50:51], v32, v[42:43]
	v_sub_u32_e32 v21, 30, v21
	v_and_b32_e32 v32, 3, v50
	v_cmp_eq_u32_e32 vcc, 0, v12
	v_cndmask_b32_e32 v12, v12, v21, vcc
	v_cndmask_b32_e32 v20, v20, v32, vcc
	v_bfrev_b32_e32 v32, 28
	v_lshlrev_b32_e32 v21, 24, v15
	v_lshl_add_u32 v12, v12, 23, v32
	v_and_or_b32 v12, v21, s96, v12
	v_lshl_or_b32 v12, v20, 21, v12
                                        ; implicit-def: $vgpr20
.LBB4_8332:                             ;   in Loop: Header=BB4_7733 Depth=3
	s_andn2_saveexec_b64 s[72:73], s[72:73]
; %bb.8333:                             ;   in Loop: Header=BB4_7733 Depth=3
	v_mov_b32_e32 v12, -1
	v_cmp_gt_i16_sdwa vcc, sext(v15), v12 src0_sel:BYTE_0 src1_sel:DWORD
	v_cndmask_b32_e32 v12, v6, v1, vcc
	v_cmp_eq_u32_e32 vcc, 0, v20
	v_mov_b32_e32 v20, 0x7f800001
	v_cndmask_b32_e32 v12, v20, v12, vcc
; %bb.8334:                             ;   in Loop: Header=BB4_7733 Depth=3
	s_or_b64 exec, exec, s[72:73]
.LBB4_8335:                             ;   in Loop: Header=BB4_7733 Depth=3
	s_or_b64 exec, exec, s[30:31]
.LBB4_8336:                             ;   in Loop: Header=BB4_7733 Depth=3
	s_or_b64 exec, exec, s[70:71]
	v_cmp_ne_u16_sdwa vcc, v11, v43 src0_sel:BYTE_0 src1_sel:DWORD
	s_and_saveexec_b64 s[30:31], vcc
	s_cbranch_execz .LBB4_8344
; %bb.8337:                             ;   in Loop: Header=BB4_7733 Depth=3
	v_cmp_ne_u16_sdwa vcc, v11, s97 src0_sel:BYTE_0 src1_sel:DWORD
	v_bfrev_b32_e32 v13, 1
	s_and_saveexec_b64 s[70:71], vcc
	s_cbranch_execz .LBB4_8343
; %bb.8338:                             ;   in Loop: Header=BB4_7733 Depth=3
	v_and_b32_e32 v13, 0x7c, v11
	v_and_b32_e32 v20, 3, v11
	v_cmp_ne_u32_e32 vcc, s95, v13
                                        ; implicit-def: $vgpr13
	s_and_saveexec_b64 s[72:73], vcc
	s_xor_b64 s[72:73], exec, s[72:73]
	s_cbranch_execz .LBB4_8340
; %bb.8339:                             ;   in Loop: Header=BB4_7733 Depth=3
	v_ffbh_u32_e32 v21, v20
	v_min_u32_e32 v21, 32, v21
	v_subrev_u32_e32 v32, 29, v21
	v_bfe_u32 v13, v11, 2, 5
	v_lshlrev_b64 v[50:51], v32, v[8:9]
	v_sub_u32_e32 v9, 30, v21
	v_and_b32_e32 v21, 3, v50
	v_cmp_eq_u32_e32 vcc, 0, v13
	v_cndmask_b32_e32 v9, v13, v9, vcc
	v_cndmask_b32_e32 v13, v20, v21, vcc
	v_bfrev_b32_e32 v21, 28
	v_lshlrev_b32_e32 v20, 24, v11
	v_lshl_add_u32 v9, v9, 23, v21
	v_and_or_b32 v9, v20, s96, v9
	v_lshl_or_b32 v13, v13, 21, v9
                                        ; implicit-def: $vgpr20
.LBB4_8340:                             ;   in Loop: Header=BB4_7733 Depth=3
	s_andn2_saveexec_b64 s[72:73], s[72:73]
; %bb.8341:                             ;   in Loop: Header=BB4_7733 Depth=3
	v_mov_b32_e32 v9, -1
	v_cmp_gt_i16_sdwa vcc, sext(v11), v9 src0_sel:BYTE_0 src1_sel:DWORD
	v_cndmask_b32_e32 v9, v6, v1, vcc
	v_cmp_eq_u32_e32 vcc, 0, v20
	v_mov_b32_e32 v13, 0x7f800001
	v_cndmask_b32_e32 v13, v13, v9, vcc
; %bb.8342:                             ;   in Loop: Header=BB4_7733 Depth=3
	s_or_b64 exec, exec, s[72:73]
.LBB4_8343:                             ;   in Loop: Header=BB4_7733 Depth=3
	s_or_b64 exec, exec, s[70:71]
.LBB4_8344:                             ;   in Loop: Header=BB4_7733 Depth=3
	s_or_b64 exec, exec, s[30:31]
	v_max_f32_e32 v9, v13, v13
	v_max_f32_e32 v12, v12, v12
	v_min_f32_e32 v20, v12, v9
.LBB4_8345:                             ;   in Loop: Header=BB4_7733 Depth=3
	v_and_b32_sdwa v9, v20, s97 dst_sel:DWORD dst_unused:UNUSED_PAD src0_sel:BYTE_3 src1_sel:DWORD
	v_and_b32_e32 v50, 0x7f800000, v20
	v_mov_b32_e32 v51, v43
	v_and_b32_e32 v12, 0x7fffff, v20
	v_mov_b32_e32 v13, v43
	v_or_b32_e32 v37, 0x7b, v9
	v_cmp_ne_u64_e32 vcc, s[52:53], v[50:51]
	s_and_saveexec_b64 s[30:31], vcc
	s_xor_b64 s[70:71], exec, s[30:31]
	s_cbranch_execz .LBB4_8355
; %bb.8346:                             ;   in Loop: Header=BB4_7733 Depth=3
	v_and_b32_e32 v50, 0x7fffffff, v20
	v_mov_b32_e32 v51, v43
	v_cmp_gt_u64_e32 vcc, s[54:55], v[50:51]
	s_and_saveexec_b64 s[72:73], vcc
	s_cbranch_execz .LBB4_8354
; %bb.8347:                             ;   in Loop: Header=BB4_7733 Depth=3
	v_cmp_ne_u32_e32 vcc, 0, v20
	v_mov_b32_e32 v37, 0
	s_and_saveexec_b64 s[74:75], vcc
	s_cbranch_execz .LBB4_8353
; %bb.8348:                             ;   in Loop: Header=BB4_7733 Depth=3
	v_bfe_u32 v20, v20, 23, 8
	v_cmp_eq_u32_e32 vcc, 0, v20
	v_add_u32_e32 v21, 0xffffff81, v20
	v_cmp_gt_u32_e64 s[30:31], s38, v20
	v_sub_u32_e32 v20, 0x71, v20
	v_mov_b32_e32 v33, 0xffffff82
	v_cndmask_b32_e64 v20, 0, v20, s[30:31]
	v_cndmask_b32_e32 v33, v21, v33, vcc
	v_mov_b32_e32 v21, 0x70
	v_cndmask_b32_e32 v37, v20, v21, vcc
	v_add_u32_e32 v20, 21, v37
	v_or_b32_e32 v32, 0x800000, v12
	v_lshlrev_b64 v[20:21], v20, -1
	v_cndmask_b32_e32 v12, v32, v12, vcc
	v_not_b32_e32 v21, v21
	v_not_b32_e32 v20, v20
	v_add_u32_e32 v32, 20, v37
	v_and_b32_e32 v21, 0, v21
	v_and_b32_e32 v20, v12, v20
	v_lshlrev_b64 v[50:51], v32, 1
	v_lshrrev_b64 v[12:13], v37, v[12:13]
	v_cmp_eq_u64_e32 vcc, v[20:21], v[50:51]
	v_lshrrev_b32_e32 v20, 23, v12
	v_add3_u32 v37, v37, v33, v20
	v_bfe_u32 v20, v12, 21, 1
	v_add_u32_e32 v20, -1, v20
	v_cndmask_b32_e32 v20, 0, v20, vcc
	v_add_u32_e32 v20, v20, v12
	v_and_b32_e32 v20, 0x1fffff, v20
	v_add_co_u32_e32 v12, vcc, v20, v12
	v_add_u32_e32 v21, 14, v37
	v_addc_co_u32_e32 v13, vcc, 0, v13, vcc
	v_cmp_ne_u32_e32 vcc, 0, v21
                                        ; implicit-def: $vgpr20
	s_and_saveexec_b64 s[30:31], vcc
	s_xor_b64 s[30:31], exec, s[30:31]
; %bb.8349:                             ;   in Loop: Header=BB4_7733 Depth=3
	v_add_u32_e32 v20, 15, v37
	v_cmp_lt_u64_e32 vcc, s[56:57], v[12:13]
	v_cndmask_b32_e32 v20, v21, v20, vcc
	v_cndmask_b32_e64 v21, 0, 1, vcc
	v_lshrrev_b64 v[12:13], v21, v[12:13]
; %bb.8350:                             ;   in Loop: Header=BB4_7733 Depth=3
	s_andn2_saveexec_b64 vcc, s[30:31]
; %bb.8351:                             ;   in Loop: Header=BB4_7733 Depth=3
	v_bfe_u32 v20, v12, 23, 1
; %bb.8352:                             ;   in Loop: Header=BB4_7733 Depth=3
	s_or_b64 exec, exec, vcc
	v_lshrrev_b64 v[12:13], 21, v[12:13]
	v_cmp_gt_i32_e32 vcc, 32, v20
	v_cndmask_b32_e32 v13, 0, v13, vcc
	v_cndmask_b32_e32 v12, 3, v12, vcc
	v_cmp_eq_u64_e64 s[30:31], 0, v[12:13]
	v_min_i32_e32 v13, 31, v20
	v_cmp_eq_u32_e32 vcc, 0, v20
	v_lshlrev_b32_e32 v13, 2, v13
	v_and_or_b32 v12, v12, 3, v13
	s_and_b64 vcc, vcc, s[30:31]
	v_cndmask_b32_e64 v12, v12, 0, vcc
	v_or_b32_e32 v37, v12, v9
.LBB4_8353:                             ;   in Loop: Header=BB4_7733 Depth=3
	s_or_b64 exec, exec, s[74:75]
.LBB4_8354:                             ;   in Loop: Header=BB4_7733 Depth=3
	s_or_b64 exec, exec, s[72:73]
                                        ; implicit-def: $vgpr20
                                        ; implicit-def: $vgpr12_vgpr13
.LBB4_8355:                             ;   in Loop: Header=BB4_7733 Depth=3
	s_andn2_saveexec_b64 s[30:31], s[70:71]
; %bb.8356:                             ;   in Loop: Header=BB4_7733 Depth=3
	v_or_b32_sdwa v9, v20, s39 dst_sel:DWORD dst_unused:UNUSED_PAD src0_sel:BYTE_3 src1_sel:DWORD
	v_cmp_eq_u64_e32 vcc, 0, v[12:13]
	v_cndmask_b32_e32 v37, v9, v37, vcc
; %bb.8357:                             ;   in Loop: Header=BB4_7733 Depth=3
	s_or_b64 exec, exec, s[30:31]
	v_lshrrev_b16_e32 v20, 8, v42
	v_lshrrev_b16_e32 v12, 8, v8
	v_cmp_ne_u16_e64 s[30:31], 0, v20
	s_and_b64 vcc, exec, s[68:69]
	s_cbranch_vccz .LBB4_8375
; %bb.8358:                             ;   in Loop: Header=BB4_7733 Depth=3
	v_mov_b32_e32 v13, 0
	v_mov_b32_e32 v9, 0
	s_and_saveexec_b64 s[70:71], s[30:31]
	s_cbranch_execz .LBB4_8366
; %bb.8359:                             ;   in Loop: Header=BB4_7733 Depth=3
	v_cmp_ne_u16_e32 vcc, s97, v20
	v_bfrev_b32_e32 v9, 1
	s_and_saveexec_b64 s[72:73], vcc
	s_cbranch_execz .LBB4_8365
; %bb.8360:                             ;   in Loop: Header=BB4_7733 Depth=3
	v_and_b32_e32 v9, 0x7c, v20
	v_and_b32_e32 v54, 3, v20
	v_cmp_ne_u32_e32 vcc, s95, v9
                                        ; implicit-def: $vgpr9
	s_and_saveexec_b64 s[74:75], vcc
	s_xor_b64 s[74:75], exec, s[74:75]
	s_cbranch_execz .LBB4_8362
; %bb.8361:                             ;   in Loop: Header=BB4_7733 Depth=3
	v_ffbh_u32_e32 v32, v54
	v_min_u32_e32 v32, 32, v32
	v_mov_b32_e32 v21, v43
	v_bfe_u32 v9, v20, 2, 5
	v_subrev_u32_e32 v33, 29, v32
	v_lshlrev_b64 v[50:51], v33, v[20:21]
	v_sub_u32_e32 v21, 30, v32
	v_cmp_eq_u32_e32 vcc, 0, v9
	v_and_b32_e32 v32, 3, v50
	v_cndmask_b32_e32 v9, v9, v21, vcc
	v_bfrev_b32_e32 v33, 28
	v_cndmask_b32_e32 v21, v54, v32, vcc
	v_lshlrev_b32_e32 v32, 16, v42
	v_lshl_add_u32 v9, v9, 23, v33
	v_and_or_b32 v9, v32, s96, v9
	v_lshl_or_b32 v9, v21, 21, v9
                                        ; implicit-def: $vgpr54
.LBB4_8362:                             ;   in Loop: Header=BB4_7733 Depth=3
	s_andn2_saveexec_b64 s[74:75], s[74:75]
; %bb.8363:                             ;   in Loop: Header=BB4_7733 Depth=3
	v_cmp_lt_i16_e32 vcc, -1, v42
	v_cndmask_b32_e32 v9, v6, v1, vcc
	v_cmp_eq_u32_e32 vcc, 0, v54
	v_mov_b32_e32 v21, 0x7f800001
	v_cndmask_b32_e32 v9, v21, v9, vcc
; %bb.8364:                             ;   in Loop: Header=BB4_7733 Depth=3
	s_or_b64 exec, exec, s[74:75]
.LBB4_8365:                             ;   in Loop: Header=BB4_7733 Depth=3
	s_or_b64 exec, exec, s[72:73]
.LBB4_8366:                             ;   in Loop: Header=BB4_7733 Depth=3
	s_or_b64 exec, exec, s[70:71]
	v_cmp_ne_u16_e32 vcc, 0, v12
	s_and_saveexec_b64 s[70:71], vcc
	s_cbranch_execz .LBB4_8374
; %bb.8367:                             ;   in Loop: Header=BB4_7733 Depth=3
	v_cmp_ne_u16_e32 vcc, s97, v12
	v_bfrev_b32_e32 v13, 1
	s_and_saveexec_b64 s[72:73], vcc
	s_cbranch_execz .LBB4_8373
; %bb.8368:                             ;   in Loop: Header=BB4_7733 Depth=3
	v_and_b32_e32 v13, 0x7c, v12
	v_and_b32_e32 v21, 3, v12
	v_cmp_ne_u32_e32 vcc, s95, v13
                                        ; implicit-def: $vgpr13
	s_and_saveexec_b64 s[74:75], vcc
	s_xor_b64 s[74:75], exec, s[74:75]
	s_cbranch_execz .LBB4_8370
; %bb.8369:                             ;   in Loop: Header=BB4_7733 Depth=3
	v_ffbh_u32_e32 v33, v21
	v_min_u32_e32 v33, 32, v33
	v_mov_b32_e32 v13, v43
	v_subrev_u32_e32 v50, 29, v33
	v_bfe_u32 v32, v12, 2, 5
	v_lshlrev_b64 v[50:51], v50, v[12:13]
	v_sub_u32_e32 v13, 30, v33
	v_and_b32_e32 v33, 3, v50
	v_cmp_eq_u32_e32 vcc, 0, v32
	v_cndmask_b32_e32 v13, v32, v13, vcc
	v_cndmask_b32_e32 v21, v21, v33, vcc
	v_bfrev_b32_e32 v33, 28
	v_lshlrev_b32_e32 v32, 16, v8
	v_lshl_add_u32 v13, v13, 23, v33
	v_and_or_b32 v13, v32, s96, v13
	v_lshl_or_b32 v13, v21, 21, v13
                                        ; implicit-def: $vgpr21
.LBB4_8370:                             ;   in Loop: Header=BB4_7733 Depth=3
	s_andn2_saveexec_b64 s[74:75], s[74:75]
; %bb.8371:                             ;   in Loop: Header=BB4_7733 Depth=3
	v_cmp_lt_i16_e32 vcc, -1, v8
	v_cndmask_b32_e32 v13, v6, v1, vcc
	v_cmp_eq_u32_e32 vcc, 0, v21
	v_mov_b32_e32 v21, 0x7f800001
	v_cndmask_b32_e32 v13, v21, v13, vcc
; %bb.8372:                             ;   in Loop: Header=BB4_7733 Depth=3
	s_or_b64 exec, exec, s[74:75]
.LBB4_8373:                             ;   in Loop: Header=BB4_7733 Depth=3
	s_or_b64 exec, exec, s[72:73]
.LBB4_8374:                             ;   in Loop: Header=BB4_7733 Depth=3
	s_or_b64 exec, exec, s[70:71]
	v_max_f32_e32 v13, v13, v13
	v_max_f32_e32 v9, v9, v9
	;; [unrolled: 1-line block ×3, first 2 shown]
	s_branch .LBB4_8393
.LBB4_8375:                             ;   in Loop: Header=BB4_7733 Depth=3
                                        ; implicit-def: $vgpr9
	s_cbranch_execz .LBB4_8393
; %bb.8376:                             ;   in Loop: Header=BB4_7733 Depth=3
	v_mov_b32_e32 v13, 0
	v_mov_b32_e32 v21, 0
	s_and_saveexec_b64 s[70:71], s[30:31]
	s_cbranch_execz .LBB4_8384
; %bb.8377:                             ;   in Loop: Header=BB4_7733 Depth=3
	v_cmp_ne_u16_e32 vcc, s97, v20
	v_bfrev_b32_e32 v21, 1
	s_and_saveexec_b64 s[30:31], vcc
	s_cbranch_execz .LBB4_8383
; %bb.8378:                             ;   in Loop: Header=BB4_7733 Depth=3
	v_and_b32_e32 v21, 0x7c, v20
	v_and_b32_e32 v9, 3, v20
	v_cmp_ne_u32_e32 vcc, s95, v21
                                        ; implicit-def: $vgpr21
	s_and_saveexec_b64 s[72:73], vcc
	s_xor_b64 s[72:73], exec, s[72:73]
	s_cbranch_execz .LBB4_8380
; %bb.8379:                             ;   in Loop: Header=BB4_7733 Depth=3
	v_ffbh_u32_e32 v33, v9
	v_min_u32_e32 v33, 32, v33
	v_mov_b32_e32 v21, v43
	v_subrev_u32_e32 v50, 29, v33
	v_bfe_u32 v32, v20, 2, 5
	v_lshlrev_b64 v[20:21], v50, v[20:21]
	v_sub_u32_e32 v21, 30, v33
	v_cmp_eq_u32_e32 vcc, 0, v32
	v_and_b32_e32 v20, 3, v20
	v_cndmask_b32_e32 v21, v32, v21, vcc
	v_bfrev_b32_e32 v32, 28
	v_cndmask_b32_e32 v9, v9, v20, vcc
	v_lshlrev_b32_e32 v20, 16, v42
	v_lshl_add_u32 v21, v21, 23, v32
	v_and_or_b32 v20, v20, s96, v21
	v_lshl_or_b32 v21, v9, 21, v20
                                        ; implicit-def: $vgpr9
.LBB4_8380:                             ;   in Loop: Header=BB4_7733 Depth=3
	s_andn2_saveexec_b64 s[72:73], s[72:73]
; %bb.8381:                             ;   in Loop: Header=BB4_7733 Depth=3
	v_cmp_lt_i16_e32 vcc, -1, v42
	v_cndmask_b32_e32 v20, v6, v1, vcc
	v_cmp_eq_u32_e32 vcc, 0, v9
	v_mov_b32_e32 v9, 0x7f800001
	v_cndmask_b32_e32 v21, v9, v20, vcc
; %bb.8382:                             ;   in Loop: Header=BB4_7733 Depth=3
	s_or_b64 exec, exec, s[72:73]
.LBB4_8383:                             ;   in Loop: Header=BB4_7733 Depth=3
	s_or_b64 exec, exec, s[30:31]
.LBB4_8384:                             ;   in Loop: Header=BB4_7733 Depth=3
	s_or_b64 exec, exec, s[70:71]
	v_cmp_ne_u16_e32 vcc, 0, v12
	s_and_saveexec_b64 s[30:31], vcc
	s_cbranch_execz .LBB4_8392
; %bb.8385:                             ;   in Loop: Header=BB4_7733 Depth=3
	v_cmp_ne_u16_e32 vcc, s97, v12
	v_bfrev_b32_e32 v13, 1
	s_and_saveexec_b64 s[70:71], vcc
	s_cbranch_execz .LBB4_8391
; %bb.8386:                             ;   in Loop: Header=BB4_7733 Depth=3
	v_and_b32_e32 v9, 0x7c, v12
	v_and_b32_e32 v20, 3, v12
	v_cmp_ne_u32_e32 vcc, s95, v9
                                        ; implicit-def: $vgpr13
	s_and_saveexec_b64 s[72:73], vcc
	s_xor_b64 s[72:73], exec, s[72:73]
	s_cbranch_execz .LBB4_8388
; %bb.8387:                             ;   in Loop: Header=BB4_7733 Depth=3
	v_ffbh_u32_e32 v32, v20
	v_min_u32_e32 v32, 32, v32
	v_mov_b32_e32 v13, v43
	v_subrev_u32_e32 v33, 29, v32
	v_bfe_u32 v9, v12, 2, 5
	v_lshlrev_b64 v[12:13], v33, v[12:13]
	v_sub_u32_e32 v13, 30, v32
	v_cmp_eq_u32_e32 vcc, 0, v9
	v_cndmask_b32_e32 v9, v9, v13, vcc
	v_bfrev_b32_e32 v13, 28
	v_and_b32_e32 v12, 3, v12
	v_lshlrev_b32_e32 v8, 16, v8
	v_lshl_add_u32 v9, v9, 23, v13
	v_cndmask_b32_e32 v12, v20, v12, vcc
	v_and_or_b32 v8, v8, s96, v9
	v_lshl_or_b32 v13, v12, 21, v8
                                        ; implicit-def: $vgpr20
                                        ; implicit-def: $vgpr8_vgpr9
.LBB4_8388:                             ;   in Loop: Header=BB4_7733 Depth=3
	s_andn2_saveexec_b64 s[72:73], s[72:73]
; %bb.8389:                             ;   in Loop: Header=BB4_7733 Depth=3
	v_cmp_lt_i16_e32 vcc, -1, v8
	v_cndmask_b32_e32 v8, v6, v1, vcc
	v_cmp_eq_u32_e32 vcc, 0, v20
	v_mov_b32_e32 v9, 0x7f800001
	v_cndmask_b32_e32 v13, v9, v8, vcc
; %bb.8390:                             ;   in Loop: Header=BB4_7733 Depth=3
	s_or_b64 exec, exec, s[72:73]
.LBB4_8391:                             ;   in Loop: Header=BB4_7733 Depth=3
	s_or_b64 exec, exec, s[70:71]
.LBB4_8392:                             ;   in Loop: Header=BB4_7733 Depth=3
	s_or_b64 exec, exec, s[30:31]
	v_max_f32_e32 v8, v13, v13
	v_max_f32_e32 v9, v21, v21
	v_min_f32_e32 v9, v9, v8
.LBB4_8393:                             ;   in Loop: Header=BB4_7733 Depth=3
	v_and_b32_sdwa v12, v9, s97 dst_sel:DWORD dst_unused:UNUSED_PAD src0_sel:BYTE_3 src1_sel:DWORD
	v_and_b32_e32 v20, 0x7f800000, v9
	v_mov_b32_e32 v21, v43
	v_and_b32_e32 v42, 0x7fffff, v9
	v_or_b32_e32 v13, 0x7b, v12
	v_cmp_ne_u64_e32 vcc, s[52:53], v[20:21]
	s_and_saveexec_b64 s[30:31], vcc
	s_xor_b64 s[70:71], exec, s[30:31]
	s_cbranch_execz .LBB4_8403
; %bb.8394:                             ;   in Loop: Header=BB4_7733 Depth=3
	v_and_b32_e32 v20, 0x7fffffff, v9
	v_mov_b32_e32 v21, v43
	v_cmp_gt_u64_e32 vcc, s[54:55], v[20:21]
	s_and_saveexec_b64 s[72:73], vcc
	s_cbranch_execz .LBB4_8402
; %bb.8395:                             ;   in Loop: Header=BB4_7733 Depth=3
	v_cmp_ne_u32_e32 vcc, 0, v9
	v_mov_b32_e32 v13, 0
	s_and_saveexec_b64 s[74:75], vcc
	s_cbranch_execz .LBB4_8401
; %bb.8396:                             ;   in Loop: Header=BB4_7733 Depth=3
	v_bfe_u32 v8, v9, 23, 8
	v_cmp_eq_u32_e32 vcc, 0, v8
	v_add_u32_e32 v9, 0xffffff81, v8
	v_cmp_gt_u32_e64 s[30:31], s38, v8
	v_sub_u32_e32 v8, 0x71, v8
	v_mov_b32_e32 v20, 0xffffff82
	v_cndmask_b32_e64 v8, 0, v8, s[30:31]
	v_cndmask_b32_e32 v32, v9, v20, vcc
	v_mov_b32_e32 v9, 0x70
	v_cndmask_b32_e32 v33, v8, v9, vcc
	v_add_u32_e32 v8, 21, v33
	v_or_b32_e32 v13, 0x800000, v42
	v_lshlrev_b64 v[8:9], v8, -1
	v_cndmask_b32_e32 v42, v13, v42, vcc
	v_not_b32_e32 v9, v9
	v_not_b32_e32 v8, v8
	v_add_u32_e32 v13, 20, v33
	v_and_b32_e32 v9, 0, v9
	v_and_b32_e32 v8, v42, v8
	v_lshlrev_b64 v[20:21], v13, 1
	v_cmp_eq_u64_e32 vcc, v[8:9], v[20:21]
	v_lshrrev_b64 v[8:9], v33, v[42:43]
	v_lshrrev_b32_e32 v13, 23, v8
	v_add3_u32 v21, v33, v32, v13
	v_bfe_u32 v13, v8, 21, 1
	v_add_u32_e32 v13, -1, v13
	v_cndmask_b32_e32 v13, 0, v13, vcc
	v_add_u32_e32 v13, v13, v8
	v_and_b32_e32 v13, 0x1fffff, v13
	v_add_co_u32_e32 v8, vcc, v13, v8
	v_add_u32_e32 v20, 14, v21
	v_addc_co_u32_e32 v9, vcc, 0, v9, vcc
	v_cmp_ne_u32_e32 vcc, 0, v20
                                        ; implicit-def: $vgpr13
	s_and_saveexec_b64 s[30:31], vcc
	s_xor_b64 s[30:31], exec, s[30:31]
; %bb.8397:                             ;   in Loop: Header=BB4_7733 Depth=3
	v_add_u32_e32 v13, 15, v21
	v_cmp_lt_u64_e32 vcc, s[56:57], v[8:9]
	v_cndmask_b32_e32 v13, v20, v13, vcc
	v_cndmask_b32_e64 v20, 0, 1, vcc
	v_lshrrev_b64 v[8:9], v20, v[8:9]
; %bb.8398:                             ;   in Loop: Header=BB4_7733 Depth=3
	s_andn2_saveexec_b64 vcc, s[30:31]
; %bb.8399:                             ;   in Loop: Header=BB4_7733 Depth=3
	v_bfe_u32 v13, v8, 23, 1
; %bb.8400:                             ;   in Loop: Header=BB4_7733 Depth=3
	s_or_b64 exec, exec, vcc
	v_lshrrev_b64 v[8:9], 21, v[8:9]
	v_cmp_gt_i32_e32 vcc, 32, v13
	v_cndmask_b32_e32 v9, 0, v9, vcc
	v_cndmask_b32_e32 v8, 3, v8, vcc
	v_cmp_eq_u64_e64 s[30:31], 0, v[8:9]
	v_min_i32_e32 v9, 31, v13
	v_cmp_eq_u32_e32 vcc, 0, v13
	v_lshlrev_b32_e32 v9, 2, v9
	v_and_or_b32 v8, v8, 3, v9
	s_and_b64 vcc, vcc, s[30:31]
	v_cndmask_b32_e64 v8, v8, 0, vcc
	v_or_b32_e32 v13, v8, v12
.LBB4_8401:                             ;   in Loop: Header=BB4_7733 Depth=3
	s_or_b64 exec, exec, s[74:75]
.LBB4_8402:                             ;   in Loop: Header=BB4_7733 Depth=3
	s_or_b64 exec, exec, s[72:73]
                                        ; implicit-def: $vgpr9
.LBB4_8403:                             ;   in Loop: Header=BB4_7733 Depth=3
	s_andn2_saveexec_b64 s[30:31], s[70:71]
; %bb.8404:                             ;   in Loop: Header=BB4_7733 Depth=3
	v_or_b32_sdwa v8, v9, s39 dst_sel:DWORD dst_unused:UNUSED_PAD src0_sel:BYTE_3 src1_sel:DWORD
	v_cmp_eq_u64_e32 vcc, 0, v[42:43]
	v_cndmask_b32_e32 v13, v8, v13, vcc
; %bb.8405:                             ;   in Loop: Header=BB4_7733 Depth=3
	s_or_b64 exec, exec, s[30:31]
	v_lshrrev_b32_e32 v12, 16, v15
	v_lshrrev_b32_e32 v8, 16, v11
	v_cmp_ne_u16_sdwa s[30:31], v12, v43 src0_sel:BYTE_0 src1_sel:DWORD
	s_and_b64 vcc, exec, s[68:69]
	s_cbranch_vccz .LBB4_8423
; %bb.8406:                             ;   in Loop: Header=BB4_7733 Depth=3
	v_mov_b32_e32 v20, 0
	v_mov_b32_e32 v9, 0
	s_and_saveexec_b64 s[70:71], s[30:31]
	s_cbranch_execz .LBB4_8414
; %bb.8407:                             ;   in Loop: Header=BB4_7733 Depth=3
	v_cmp_ne_u16_sdwa vcc, v12, s97 src0_sel:BYTE_0 src1_sel:DWORD
	v_bfrev_b32_e32 v9, 1
	s_and_saveexec_b64 s[72:73], vcc
	s_cbranch_execz .LBB4_8413
; %bb.8408:                             ;   in Loop: Header=BB4_7733 Depth=3
	v_and_b32_e32 v9, 0x7c0000, v15
	v_bfe_u32 v21, v15, 16, 2
	v_cmp_ne_u32_e32 vcc, s36, v9
                                        ; implicit-def: $vgpr9
	s_and_saveexec_b64 s[74:75], vcc
	s_xor_b64 s[74:75], exec, s[74:75]
	s_cbranch_execz .LBB4_8410
; %bb.8409:                             ;   in Loop: Header=BB4_7733 Depth=3
	v_ffbh_u32_e32 v32, v21
	v_min_u32_e32 v32, 32, v32
	v_subrev_u32_e32 v33, 29, v32
	v_bfe_u32 v9, v15, 18, 5
	v_lshlrev_b64 v[50:51], v33, v[12:13]
	v_sub_u32_e32 v32, 30, v32
	v_and_b32_e32 v33, 3, v50
	v_cmp_eq_u32_e32 vcc, 0, v9
	v_cndmask_b32_e32 v9, v9, v32, vcc
	v_cndmask_b32_e32 v21, v21, v33, vcc
	v_bfrev_b32_e32 v33, 28
	v_lshlrev_b32_e32 v32, 24, v12
	v_lshl_add_u32 v9, v9, 23, v33
	v_and_or_b32 v9, v32, s96, v9
	v_lshl_or_b32 v9, v21, 21, v9
                                        ; implicit-def: $vgpr21
.LBB4_8410:                             ;   in Loop: Header=BB4_7733 Depth=3
	s_andn2_saveexec_b64 s[74:75], s[74:75]
; %bb.8411:                             ;   in Loop: Header=BB4_7733 Depth=3
	v_mov_b32_e32 v9, -1
	v_cmp_gt_i16_sdwa vcc, sext(v12), v9 src0_sel:BYTE_0 src1_sel:DWORD
	v_cndmask_b32_e32 v9, v6, v1, vcc
	v_cmp_eq_u32_e32 vcc, 0, v21
	v_mov_b32_e32 v21, 0x7f800001
	v_cndmask_b32_e32 v9, v21, v9, vcc
; %bb.8412:                             ;   in Loop: Header=BB4_7733 Depth=3
	s_or_b64 exec, exec, s[74:75]
.LBB4_8413:                             ;   in Loop: Header=BB4_7733 Depth=3
	s_or_b64 exec, exec, s[72:73]
.LBB4_8414:                             ;   in Loop: Header=BB4_7733 Depth=3
	s_or_b64 exec, exec, s[70:71]
	v_cmp_ne_u16_sdwa vcc, v8, v43 src0_sel:BYTE_0 src1_sel:DWORD
	s_and_saveexec_b64 s[70:71], vcc
	s_cbranch_execz .LBB4_8422
; %bb.8415:                             ;   in Loop: Header=BB4_7733 Depth=3
	v_cmp_ne_u16_sdwa vcc, v8, s97 src0_sel:BYTE_0 src1_sel:DWORD
	v_bfrev_b32_e32 v20, 1
	s_and_saveexec_b64 s[72:73], vcc
	s_cbranch_execz .LBB4_8421
; %bb.8416:                             ;   in Loop: Header=BB4_7733 Depth=3
	v_and_b32_e32 v20, 0x7c0000, v11
	v_bfe_u32 v21, v11, 16, 2
	v_cmp_ne_u32_e32 vcc, s36, v20
                                        ; implicit-def: $vgpr20
	s_and_saveexec_b64 s[74:75], vcc
	s_xor_b64 s[74:75], exec, s[74:75]
	s_cbranch_execz .LBB4_8418
; %bb.8417:                             ;   in Loop: Header=BB4_7733 Depth=3
	v_ffbh_u32_e32 v32, v21
	v_min_u32_e32 v32, 32, v32
	v_subrev_u32_e32 v33, 29, v32
	v_bfe_u32 v20, v11, 18, 5
	v_lshlrev_b64 v[50:51], v33, v[8:9]
	v_sub_u32_e32 v32, 30, v32
	v_and_b32_e32 v33, 3, v50
	v_cmp_eq_u32_e32 vcc, 0, v20
	v_cndmask_b32_e32 v20, v20, v32, vcc
	v_cndmask_b32_e32 v21, v21, v33, vcc
	v_bfrev_b32_e32 v33, 28
	v_lshlrev_b32_e32 v32, 24, v8
	v_lshl_add_u32 v20, v20, 23, v33
	v_and_or_b32 v20, v32, s96, v20
	v_lshl_or_b32 v20, v21, 21, v20
                                        ; implicit-def: $vgpr21
.LBB4_8418:                             ;   in Loop: Header=BB4_7733 Depth=3
	s_andn2_saveexec_b64 s[74:75], s[74:75]
; %bb.8419:                             ;   in Loop: Header=BB4_7733 Depth=3
	v_mov_b32_e32 v20, -1
	v_cmp_gt_i16_sdwa vcc, sext(v8), v20 src0_sel:BYTE_0 src1_sel:DWORD
	v_cndmask_b32_e32 v20, v6, v1, vcc
	v_cmp_eq_u32_e32 vcc, 0, v21
	v_mov_b32_e32 v21, 0x7f800001
	v_cndmask_b32_e32 v20, v21, v20, vcc
; %bb.8420:                             ;   in Loop: Header=BB4_7733 Depth=3
	s_or_b64 exec, exec, s[74:75]
.LBB4_8421:                             ;   in Loop: Header=BB4_7733 Depth=3
	s_or_b64 exec, exec, s[72:73]
.LBB4_8422:                             ;   in Loop: Header=BB4_7733 Depth=3
	s_or_b64 exec, exec, s[70:71]
	v_max_f32_e32 v20, v20, v20
	v_max_f32_e32 v9, v9, v9
	;; [unrolled: 1-line block ×3, first 2 shown]
	s_branch .LBB4_8441
.LBB4_8423:                             ;   in Loop: Header=BB4_7733 Depth=3
                                        ; implicit-def: $vgpr9
	s_cbranch_execz .LBB4_8441
; %bb.8424:                             ;   in Loop: Header=BB4_7733 Depth=3
	v_mov_b32_e32 v20, 0
	v_mov_b32_e32 v9, 0
	s_and_saveexec_b64 s[70:71], s[30:31]
	s_cbranch_execz .LBB4_8432
; %bb.8425:                             ;   in Loop: Header=BB4_7733 Depth=3
	v_cmp_ne_u16_sdwa vcc, v12, s97 src0_sel:BYTE_0 src1_sel:DWORD
	v_bfrev_b32_e32 v9, 1
	s_and_saveexec_b64 s[30:31], vcc
	s_cbranch_execz .LBB4_8431
; %bb.8426:                             ;   in Loop: Header=BB4_7733 Depth=3
	v_and_b32_e32 v9, 0x7c0000, v15
	v_bfe_u32 v21, v15, 16, 2
	v_cmp_ne_u32_e32 vcc, s36, v9
                                        ; implicit-def: $vgpr9
	s_and_saveexec_b64 s[72:73], vcc
	s_xor_b64 s[72:73], exec, s[72:73]
	s_cbranch_execz .LBB4_8428
; %bb.8427:                             ;   in Loop: Header=BB4_7733 Depth=3
	v_ffbh_u32_e32 v32, v21
	v_bfe_u32 v9, v15, 18, 5
	v_min_u32_e32 v32, 32, v32
	v_subrev_u32_e32 v33, 29, v32
	v_sub_u32_e32 v32, 30, v32
	v_cmp_eq_u32_e32 vcc, 0, v9
	v_lshlrev_b64 v[50:51], v33, v[12:13]
	v_cndmask_b32_e32 v9, v9, v32, vcc
	v_bfrev_b32_e32 v32, 28
	v_and_b32_e32 v33, 3, v50
	v_lshlrev_b32_e32 v12, 24, v12
	v_lshl_add_u32 v9, v9, 23, v32
	v_cndmask_b32_e32 v21, v21, v33, vcc
	v_and_or_b32 v9, v12, s96, v9
	v_lshl_or_b32 v9, v21, 21, v9
                                        ; implicit-def: $vgpr21
                                        ; implicit-def: $vgpr12
.LBB4_8428:                             ;   in Loop: Header=BB4_7733 Depth=3
	s_andn2_saveexec_b64 s[72:73], s[72:73]
; %bb.8429:                             ;   in Loop: Header=BB4_7733 Depth=3
	v_mov_b32_e32 v9, -1
	v_cmp_gt_i16_sdwa vcc, sext(v12), v9 src0_sel:BYTE_0 src1_sel:DWORD
	v_cndmask_b32_e32 v9, v6, v1, vcc
	v_cmp_eq_u32_e32 vcc, 0, v21
	v_mov_b32_e32 v12, 0x7f800001
	v_cndmask_b32_e32 v9, v12, v9, vcc
; %bb.8430:                             ;   in Loop: Header=BB4_7733 Depth=3
	s_or_b64 exec, exec, s[72:73]
.LBB4_8431:                             ;   in Loop: Header=BB4_7733 Depth=3
	s_or_b64 exec, exec, s[30:31]
.LBB4_8432:                             ;   in Loop: Header=BB4_7733 Depth=3
	s_or_b64 exec, exec, s[70:71]
	v_cmp_ne_u16_sdwa vcc, v8, v43 src0_sel:BYTE_0 src1_sel:DWORD
	s_and_saveexec_b64 s[30:31], vcc
	s_cbranch_execz .LBB4_8440
; %bb.8433:                             ;   in Loop: Header=BB4_7733 Depth=3
	v_cmp_ne_u16_sdwa vcc, v8, s97 src0_sel:BYTE_0 src1_sel:DWORD
	v_bfrev_b32_e32 v20, 1
	s_and_saveexec_b64 s[70:71], vcc
	s_cbranch_execz .LBB4_8439
; %bb.8434:                             ;   in Loop: Header=BB4_7733 Depth=3
	v_and_b32_e32 v20, 0x7c0000, v11
	v_bfe_u32 v12, v11, 16, 2
	v_cmp_ne_u32_e32 vcc, s36, v20
                                        ; implicit-def: $vgpr20
	s_and_saveexec_b64 s[72:73], vcc
	s_xor_b64 s[72:73], exec, s[72:73]
	s_cbranch_execz .LBB4_8436
; %bb.8435:                             ;   in Loop: Header=BB4_7733 Depth=3
	v_ffbh_u32_e32 v20, v12
	v_min_u32_e32 v33, 32, v20
	v_subrev_u32_e32 v20, 29, v33
	v_bfe_u32 v32, v11, 18, 5
	v_lshlrev_b64 v[20:21], v20, v[8:9]
	v_sub_u32_e32 v21, 30, v33
	v_and_b32_e32 v20, 3, v20
	v_cmp_eq_u32_e32 vcc, 0, v32
	v_cndmask_b32_e32 v21, v32, v21, vcc
	v_cndmask_b32_e32 v12, v12, v20, vcc
	v_bfrev_b32_e32 v20, 28
	v_lshlrev_b32_e32 v8, 24, v8
	v_lshl_add_u32 v20, v21, 23, v20
	v_and_or_b32 v8, v8, s96, v20
	v_lshl_or_b32 v20, v12, 21, v8
                                        ; implicit-def: $vgpr12
                                        ; implicit-def: $vgpr8
.LBB4_8436:                             ;   in Loop: Header=BB4_7733 Depth=3
	s_andn2_saveexec_b64 s[72:73], s[72:73]
; %bb.8437:                             ;   in Loop: Header=BB4_7733 Depth=3
	v_mov_b32_e32 v20, -1
	v_cmp_gt_i16_sdwa vcc, sext(v8), v20 src0_sel:BYTE_0 src1_sel:DWORD
	v_cndmask_b32_e32 v8, v6, v1, vcc
	v_cmp_eq_u32_e32 vcc, 0, v12
	v_mov_b32_e32 v12, 0x7f800001
	v_cndmask_b32_e32 v20, v12, v8, vcc
; %bb.8438:                             ;   in Loop: Header=BB4_7733 Depth=3
	s_or_b64 exec, exec, s[72:73]
.LBB4_8439:                             ;   in Loop: Header=BB4_7733 Depth=3
	s_or_b64 exec, exec, s[70:71]
.LBB4_8440:                             ;   in Loop: Header=BB4_7733 Depth=3
	s_or_b64 exec, exec, s[30:31]
	v_max_f32_e32 v8, v20, v20
	v_max_f32_e32 v9, v9, v9
	v_min_f32_e32 v9, v9, v8
.LBB4_8441:                             ;   in Loop: Header=BB4_7733 Depth=3
	v_and_b32_sdwa v12, v9, s97 dst_sel:DWORD dst_unused:UNUSED_PAD src0_sel:BYTE_3 src1_sel:DWORD
	v_and_b32_e32 v50, 0x7f800000, v9
	v_mov_b32_e32 v51, v43
	v_and_b32_e32 v42, 0x7fffff, v9
	v_or_b32_e32 v20, 0x7b, v12
	v_cmp_ne_u64_e32 vcc, s[52:53], v[50:51]
	s_and_saveexec_b64 s[30:31], vcc
	s_xor_b64 s[70:71], exec, s[30:31]
	s_cbranch_execz .LBB4_8451
; %bb.8442:                             ;   in Loop: Header=BB4_7733 Depth=3
	v_and_b32_e32 v50, 0x7fffffff, v9
	v_mov_b32_e32 v51, v43
	v_cmp_gt_u64_e32 vcc, s[54:55], v[50:51]
	s_and_saveexec_b64 s[72:73], vcc
	s_cbranch_execz .LBB4_8450
; %bb.8443:                             ;   in Loop: Header=BB4_7733 Depth=3
	v_cmp_ne_u32_e32 vcc, 0, v9
	v_mov_b32_e32 v20, 0
	s_and_saveexec_b64 s[74:75], vcc
	s_cbranch_execz .LBB4_8449
; %bb.8444:                             ;   in Loop: Header=BB4_7733 Depth=3
	v_bfe_u32 v8, v9, 23, 8
	v_cmp_eq_u32_e32 vcc, 0, v8
	v_add_u32_e32 v9, 0xffffff81, v8
	v_cmp_gt_u32_e64 s[30:31], s38, v8
	v_sub_u32_e32 v8, 0x71, v8
	v_mov_b32_e32 v21, 0xffffff82
	v_cndmask_b32_e64 v8, 0, v8, s[30:31]
	v_cndmask_b32_e32 v32, v9, v21, vcc
	v_mov_b32_e32 v9, 0x70
	v_cndmask_b32_e32 v33, v8, v9, vcc
	v_add_u32_e32 v8, 21, v33
	v_or_b32_e32 v20, 0x800000, v42
	v_lshlrev_b64 v[8:9], v8, -1
	v_cndmask_b32_e32 v42, v20, v42, vcc
	v_not_b32_e32 v9, v9
	v_not_b32_e32 v8, v8
	v_add_u32_e32 v20, 20, v33
	v_and_b32_e32 v9, 0, v9
	v_and_b32_e32 v8, v42, v8
	v_lshlrev_b64 v[20:21], v20, 1
	v_cmp_eq_u64_e32 vcc, v[8:9], v[20:21]
	v_lshrrev_b64 v[8:9], v33, v[42:43]
	v_lshrrev_b32_e32 v20, 23, v8
	v_add3_u32 v50, v33, v32, v20
	v_bfe_u32 v20, v8, 21, 1
	v_add_u32_e32 v20, -1, v20
	v_cndmask_b32_e32 v20, 0, v20, vcc
	v_add_u32_e32 v20, v20, v8
	v_and_b32_e32 v20, 0x1fffff, v20
	v_add_co_u32_e32 v8, vcc, v20, v8
	v_add_u32_e32 v21, 14, v50
	v_addc_co_u32_e32 v9, vcc, 0, v9, vcc
	v_cmp_ne_u32_e32 vcc, 0, v21
                                        ; implicit-def: $vgpr20
	s_and_saveexec_b64 s[30:31], vcc
	s_xor_b64 s[30:31], exec, s[30:31]
; %bb.8445:                             ;   in Loop: Header=BB4_7733 Depth=3
	v_add_u32_e32 v20, 15, v50
	v_cmp_lt_u64_e32 vcc, s[56:57], v[8:9]
	v_cndmask_b32_e32 v20, v21, v20, vcc
	v_cndmask_b32_e64 v21, 0, 1, vcc
	v_lshrrev_b64 v[8:9], v21, v[8:9]
; %bb.8446:                             ;   in Loop: Header=BB4_7733 Depth=3
	s_andn2_saveexec_b64 vcc, s[30:31]
; %bb.8447:                             ;   in Loop: Header=BB4_7733 Depth=3
	v_bfe_u32 v20, v8, 23, 1
; %bb.8448:                             ;   in Loop: Header=BB4_7733 Depth=3
	s_or_b64 exec, exec, vcc
	v_lshrrev_b64 v[8:9], 21, v[8:9]
	v_cmp_gt_i32_e32 vcc, 32, v20
	v_cndmask_b32_e32 v9, 0, v9, vcc
	v_cndmask_b32_e32 v8, 3, v8, vcc
	v_cmp_eq_u64_e64 s[30:31], 0, v[8:9]
	v_min_i32_e32 v9, 31, v20
	v_cmp_eq_u32_e32 vcc, 0, v20
	v_lshlrev_b32_e32 v9, 2, v9
	v_and_or_b32 v8, v8, 3, v9
	s_and_b64 vcc, vcc, s[30:31]
	v_cndmask_b32_e64 v8, v8, 0, vcc
	v_or_b32_e32 v20, v8, v12
.LBB4_8449:                             ;   in Loop: Header=BB4_7733 Depth=3
	s_or_b64 exec, exec, s[74:75]
.LBB4_8450:                             ;   in Loop: Header=BB4_7733 Depth=3
	s_or_b64 exec, exec, s[72:73]
                                        ; implicit-def: $vgpr9
.LBB4_8451:                             ;   in Loop: Header=BB4_7733 Depth=3
	s_andn2_saveexec_b64 s[30:31], s[70:71]
; %bb.8452:                             ;   in Loop: Header=BB4_7733 Depth=3
	v_or_b32_sdwa v8, v9, s39 dst_sel:DWORD dst_unused:UNUSED_PAD src0_sel:BYTE_3 src1_sel:DWORD
	v_cmp_eq_u64_e32 vcc, 0, v[42:43]
	v_cndmask_b32_e32 v20, v8, v20, vcc
; %bb.8453:                             ;   in Loop: Header=BB4_7733 Depth=3
	s_or_b64 exec, exec, s[30:31]
	v_lshrrev_b32_e32 v12, 24, v15
	v_lshrrev_b32_e32 v8, 24, v11
	v_cmp_lt_u64_e64 s[30:31], s[42:43], v[14:15]
	s_and_b64 vcc, exec, s[68:69]
	s_cbranch_vccz .LBB4_8471
; %bb.8454:                             ;   in Loop: Header=BB4_7733 Depth=3
	v_mov_b32_e32 v21, 0
	v_mov_b32_e32 v9, 0
	s_and_saveexec_b64 s[70:71], s[30:31]
	s_cbranch_execz .LBB4_8462
; %bb.8455:                             ;   in Loop: Header=BB4_7733 Depth=3
	v_cmp_ne_u32_e32 vcc, s97, v12
	v_bfrev_b32_e32 v9, 1
	s_and_saveexec_b64 s[72:73], vcc
	s_cbranch_execz .LBB4_8461
; %bb.8456:                             ;   in Loop: Header=BB4_7733 Depth=3
	v_and_b32_e32 v9, 0x7c000000, v15
	v_bfe_u32 v54, v15, 24, 2
	v_cmp_ne_u32_e32 vcc, s37, v9
                                        ; implicit-def: $vgpr9
	s_and_saveexec_b64 s[74:75], vcc
	s_xor_b64 s[74:75], exec, s[74:75]
	s_cbranch_execz .LBB4_8458
; %bb.8457:                             ;   in Loop: Header=BB4_7733 Depth=3
	v_ffbh_u32_e32 v32, v54
	v_min_u32_e32 v32, 32, v32
	v_subrev_u32_e32 v33, 29, v32
	v_bfe_u32 v9, v15, 26, 5
	v_lshlrev_b64 v[50:51], v33, v[12:13]
	v_sub_u32_e32 v32, 30, v32
	v_and_b32_e32 v33, 3, v50
	v_cmp_eq_u32_e32 vcc, 0, v9
	v_cndmask_b32_e32 v9, v9, v32, vcc
	v_cndmask_b32_e32 v32, v54, v33, vcc
	v_bfrev_b32_e32 v33, 28
	v_lshl_add_u32 v9, v9, 23, v33
	v_and_or_b32 v9, v15, s96, v9
	v_lshl_or_b32 v9, v32, 21, v9
                                        ; implicit-def: $vgpr54
.LBB4_8458:                             ;   in Loop: Header=BB4_7733 Depth=3
	s_andn2_saveexec_b64 s[74:75], s[74:75]
; %bb.8459:                             ;   in Loop: Header=BB4_7733 Depth=3
	v_cmp_lt_i64_e32 vcc, -1, v[14:15]
	v_cndmask_b32_e32 v9, v6, v1, vcc
	v_cmp_eq_u32_e32 vcc, 0, v54
	v_mov_b32_e32 v32, 0x7f800001
	v_cndmask_b32_e32 v9, v32, v9, vcc
; %bb.8460:                             ;   in Loop: Header=BB4_7733 Depth=3
	s_or_b64 exec, exec, s[74:75]
.LBB4_8461:                             ;   in Loop: Header=BB4_7733 Depth=3
	s_or_b64 exec, exec, s[72:73]
.LBB4_8462:                             ;   in Loop: Header=BB4_7733 Depth=3
	s_or_b64 exec, exec, s[70:71]
	v_cmp_lt_u64_e32 vcc, s[42:43], v[10:11]
	s_and_saveexec_b64 s[70:71], vcc
	s_cbranch_execz .LBB4_8470
; %bb.8463:                             ;   in Loop: Header=BB4_7733 Depth=3
	v_cmp_ne_u32_e32 vcc, s97, v8
	v_bfrev_b32_e32 v21, 1
	s_and_saveexec_b64 s[72:73], vcc
	s_cbranch_execz .LBB4_8469
; %bb.8464:                             ;   in Loop: Header=BB4_7733 Depth=3
	v_and_b32_e32 v21, 0x7c000000, v11
	v_bfe_u32 v54, v11, 24, 2
	v_cmp_ne_u32_e32 vcc, s37, v21
                                        ; implicit-def: $vgpr21
	s_and_saveexec_b64 s[74:75], vcc
	s_xor_b64 s[74:75], exec, s[74:75]
	s_cbranch_execz .LBB4_8466
; %bb.8465:                             ;   in Loop: Header=BB4_7733 Depth=3
	v_ffbh_u32_e32 v32, v54
	v_min_u32_e32 v32, 32, v32
	v_subrev_u32_e32 v33, 29, v32
	v_bfe_u32 v21, v11, 26, 5
	v_lshlrev_b64 v[50:51], v33, v[8:9]
	v_sub_u32_e32 v32, 30, v32
	v_and_b32_e32 v33, 3, v50
	v_cmp_eq_u32_e32 vcc, 0, v21
	v_cndmask_b32_e32 v21, v21, v32, vcc
	v_cndmask_b32_e32 v32, v54, v33, vcc
	v_bfrev_b32_e32 v33, 28
	v_lshl_add_u32 v21, v21, 23, v33
	v_and_or_b32 v21, v11, s96, v21
	v_lshl_or_b32 v21, v32, 21, v21
                                        ; implicit-def: $vgpr54
.LBB4_8466:                             ;   in Loop: Header=BB4_7733 Depth=3
	s_andn2_saveexec_b64 s[74:75], s[74:75]
; %bb.8467:                             ;   in Loop: Header=BB4_7733 Depth=3
	v_cmp_lt_i64_e32 vcc, -1, v[10:11]
	v_cndmask_b32_e32 v21, v6, v1, vcc
	v_cmp_eq_u32_e32 vcc, 0, v54
	v_mov_b32_e32 v32, 0x7f800001
	v_cndmask_b32_e32 v21, v32, v21, vcc
; %bb.8468:                             ;   in Loop: Header=BB4_7733 Depth=3
	s_or_b64 exec, exec, s[74:75]
.LBB4_8469:                             ;   in Loop: Header=BB4_7733 Depth=3
	s_or_b64 exec, exec, s[72:73]
.LBB4_8470:                             ;   in Loop: Header=BB4_7733 Depth=3
	s_or_b64 exec, exec, s[70:71]
	v_max_f32_e32 v21, v21, v21
	v_max_f32_e32 v9, v9, v9
	;; [unrolled: 1-line block ×3, first 2 shown]
	s_branch .LBB4_8489
.LBB4_8471:                             ;   in Loop: Header=BB4_7733 Depth=3
                                        ; implicit-def: $vgpr9
	s_cbranch_execz .LBB4_8489
; %bb.8472:                             ;   in Loop: Header=BB4_7733 Depth=3
	v_mov_b32_e32 v21, 0
	v_mov_b32_e32 v9, 0
	s_and_saveexec_b64 s[70:71], s[30:31]
	s_cbranch_execz .LBB4_8480
; %bb.8473:                             ;   in Loop: Header=BB4_7733 Depth=3
	v_cmp_ne_u32_e32 vcc, s97, v12
	v_bfrev_b32_e32 v9, 1
	s_and_saveexec_b64 s[30:31], vcc
	s_cbranch_execz .LBB4_8479
; %bb.8474:                             ;   in Loop: Header=BB4_7733 Depth=3
	v_and_b32_e32 v9, 0x7c000000, v15
	v_bfe_u32 v54, v15, 24, 2
	v_cmp_ne_u32_e32 vcc, s37, v9
                                        ; implicit-def: $vgpr9
	s_and_saveexec_b64 s[72:73], vcc
	s_xor_b64 s[72:73], exec, s[72:73]
	s_cbranch_execz .LBB4_8476
; %bb.8475:                             ;   in Loop: Header=BB4_7733 Depth=3
	v_ffbh_u32_e32 v14, v54
	v_min_u32_e32 v14, 32, v14
	v_subrev_u32_e32 v32, 29, v14
	v_bfe_u32 v9, v15, 26, 5
	v_lshlrev_b64 v[50:51], v32, v[12:13]
	v_sub_u32_e32 v12, 30, v14
	v_and_b32_e32 v14, 3, v50
	v_cmp_eq_u32_e32 vcc, 0, v9
	v_cndmask_b32_e32 v9, v9, v12, vcc
	v_cndmask_b32_e32 v12, v54, v14, vcc
	v_bfrev_b32_e32 v14, 28
	v_lshl_add_u32 v9, v9, 23, v14
	v_and_or_b32 v9, v15, s96, v9
	v_lshl_or_b32 v9, v12, 21, v9
                                        ; implicit-def: $vgpr54
                                        ; implicit-def: $vgpr14_vgpr15
.LBB4_8476:                             ;   in Loop: Header=BB4_7733 Depth=3
	s_andn2_saveexec_b64 s[72:73], s[72:73]
; %bb.8477:                             ;   in Loop: Header=BB4_7733 Depth=3
	v_cmp_lt_i64_e32 vcc, -1, v[14:15]
	v_cndmask_b32_e32 v9, v6, v1, vcc
	v_cmp_eq_u32_e32 vcc, 0, v54
	v_mov_b32_e32 v12, 0x7f800001
	v_cndmask_b32_e32 v9, v12, v9, vcc
; %bb.8478:                             ;   in Loop: Header=BB4_7733 Depth=3
	s_or_b64 exec, exec, s[72:73]
.LBB4_8479:                             ;   in Loop: Header=BB4_7733 Depth=3
	s_or_b64 exec, exec, s[30:31]
.LBB4_8480:                             ;   in Loop: Header=BB4_7733 Depth=3
	s_or_b64 exec, exec, s[70:71]
	v_cmp_lt_u64_e32 vcc, s[42:43], v[10:11]
	s_and_saveexec_b64 s[30:31], vcc
	s_cbranch_execz .LBB4_8488
; %bb.8481:                             ;   in Loop: Header=BB4_7733 Depth=3
	v_cmp_ne_u32_e32 vcc, s97, v8
	v_bfrev_b32_e32 v21, 1
	s_and_saveexec_b64 s[70:71], vcc
	s_cbranch_execz .LBB4_8487
; %bb.8482:                             ;   in Loop: Header=BB4_7733 Depth=3
	v_and_b32_e32 v14, 0x7c000000, v11
	v_bfe_u32 v12, v11, 24, 2
	v_cmp_ne_u32_e32 vcc, s37, v14
                                        ; implicit-def: $vgpr21
	s_and_saveexec_b64 s[72:73], vcc
	s_xor_b64 s[72:73], exec, s[72:73]
	s_cbranch_execz .LBB4_8484
; %bb.8483:                             ;   in Loop: Header=BB4_7733 Depth=3
	v_ffbh_u32_e32 v14, v12
	v_min_u32_e32 v21, 32, v14
	v_subrev_u32_e32 v14, 29, v21
	v_bfe_u32 v10, v11, 26, 5
	v_lshlrev_b64 v[14:15], v14, v[8:9]
	v_sub_u32_e32 v8, 30, v21
	v_and_b32_e32 v14, 3, v14
	v_cmp_eq_u32_e32 vcc, 0, v10
	v_cndmask_b32_e32 v8, v10, v8, vcc
	v_cndmask_b32_e32 v10, v12, v14, vcc
	v_bfrev_b32_e32 v12, 28
	v_lshl_add_u32 v8, v8, 23, v12
	v_and_or_b32 v8, v11, s96, v8
	v_lshl_or_b32 v21, v10, 21, v8
                                        ; implicit-def: $vgpr12
                                        ; implicit-def: $vgpr10_vgpr11
.LBB4_8484:                             ;   in Loop: Header=BB4_7733 Depth=3
	s_andn2_saveexec_b64 s[72:73], s[72:73]
; %bb.8485:                             ;   in Loop: Header=BB4_7733 Depth=3
	v_cmp_lt_i64_e32 vcc, -1, v[10:11]
	v_cndmask_b32_e32 v8, v6, v1, vcc
	v_cmp_eq_u32_e32 vcc, 0, v12
	v_mov_b32_e32 v10, 0x7f800001
	v_cndmask_b32_e32 v21, v10, v8, vcc
; %bb.8486:                             ;   in Loop: Header=BB4_7733 Depth=3
	s_or_b64 exec, exec, s[72:73]
.LBB4_8487:                             ;   in Loop: Header=BB4_7733 Depth=3
	s_or_b64 exec, exec, s[70:71]
.LBB4_8488:                             ;   in Loop: Header=BB4_7733 Depth=3
	s_or_b64 exec, exec, s[30:31]
	v_max_f32_e32 v8, v21, v21
	v_max_f32_e32 v9, v9, v9
	v_min_f32_e32 v9, v9, v8
.LBB4_8489:                             ;   in Loop: Header=BB4_7733 Depth=3
	v_and_b32_sdwa v10, v9, s97 dst_sel:DWORD dst_unused:UNUSED_PAD src0_sel:BYTE_3 src1_sel:DWORD
	v_and_b32_e32 v14, 0x7f800000, v9
	v_mov_b32_e32 v15, v43
	v_and_b32_e32 v42, 0x7fffff, v9
	v_or_b32_e32 v8, 0x7b, v10
	v_cmp_ne_u64_e32 vcc, s[52:53], v[14:15]
	s_and_saveexec_b64 s[30:31], vcc
	s_xor_b64 s[70:71], exec, s[30:31]
	s_cbranch_execz .LBB4_8499
; %bb.8490:                             ;   in Loop: Header=BB4_7733 Depth=3
	v_and_b32_e32 v14, 0x7fffffff, v9
	v_mov_b32_e32 v15, v43
	v_cmp_gt_u64_e32 vcc, s[54:55], v[14:15]
	s_and_saveexec_b64 s[72:73], vcc
	s_cbranch_execz .LBB4_8498
; %bb.8491:                             ;   in Loop: Header=BB4_7733 Depth=3
	v_cmp_ne_u32_e32 vcc, 0, v9
	v_mov_b32_e32 v8, 0
	s_and_saveexec_b64 s[74:75], vcc
	s_cbranch_execz .LBB4_8497
; %bb.8492:                             ;   in Loop: Header=BB4_7733 Depth=3
	v_bfe_u32 v8, v9, 23, 8
	v_cmp_eq_u32_e32 vcc, 0, v8
	v_add_u32_e32 v9, 0xffffff81, v8
	v_cmp_gt_u32_e64 s[30:31], s38, v8
	v_sub_u32_e32 v8, 0x71, v8
	v_mov_b32_e32 v12, 0xffffff82
	v_cndmask_b32_e64 v8, 0, v8, s[30:31]
	v_cndmask_b32_e32 v12, v9, v12, vcc
	v_mov_b32_e32 v9, 0x70
	v_cndmask_b32_e32 v21, v8, v9, vcc
	v_add_u32_e32 v8, 21, v21
	v_or_b32_e32 v11, 0x800000, v42
	v_lshlrev_b64 v[8:9], v8, -1
	v_cndmask_b32_e32 v42, v11, v42, vcc
	v_not_b32_e32 v9, v9
	v_not_b32_e32 v8, v8
	v_add_u32_e32 v11, 20, v21
	v_and_b32_e32 v9, 0, v9
	v_and_b32_e32 v8, v42, v8
	v_lshlrev_b64 v[14:15], v11, 1
	v_cmp_eq_u64_e32 vcc, v[8:9], v[14:15]
	v_lshrrev_b64 v[8:9], v21, v[42:43]
	v_lshrrev_b32_e32 v11, 23, v8
	v_add3_u32 v14, v21, v12, v11
	v_bfe_u32 v11, v8, 21, 1
	v_add_u32_e32 v11, -1, v11
	v_cndmask_b32_e32 v11, 0, v11, vcc
	v_add_u32_e32 v11, v11, v8
	v_and_b32_e32 v11, 0x1fffff, v11
	v_add_co_u32_e32 v8, vcc, v11, v8
	v_add_u32_e32 v12, 14, v14
	v_addc_co_u32_e32 v9, vcc, 0, v9, vcc
	v_cmp_ne_u32_e32 vcc, 0, v12
                                        ; implicit-def: $vgpr11
	s_and_saveexec_b64 s[30:31], vcc
	s_xor_b64 s[30:31], exec, s[30:31]
; %bb.8493:                             ;   in Loop: Header=BB4_7733 Depth=3
	v_add_u32_e32 v11, 15, v14
	v_cmp_lt_u64_e32 vcc, s[56:57], v[8:9]
	v_cndmask_b32_e32 v11, v12, v11, vcc
	v_cndmask_b32_e64 v12, 0, 1, vcc
	v_lshrrev_b64 v[8:9], v12, v[8:9]
; %bb.8494:                             ;   in Loop: Header=BB4_7733 Depth=3
	s_andn2_saveexec_b64 vcc, s[30:31]
; %bb.8495:                             ;   in Loop: Header=BB4_7733 Depth=3
	v_bfe_u32 v11, v8, 23, 1
; %bb.8496:                             ;   in Loop: Header=BB4_7733 Depth=3
	s_or_b64 exec, exec, vcc
	v_lshrrev_b64 v[8:9], 21, v[8:9]
	v_cmp_gt_i32_e32 vcc, 32, v11
	v_cndmask_b32_e32 v9, 0, v9, vcc
	v_cndmask_b32_e32 v8, 3, v8, vcc
	v_cmp_eq_u64_e64 s[30:31], 0, v[8:9]
	v_min_i32_e32 v9, 31, v11
	v_lshlrev_b32_e32 v9, 2, v9
	v_cmp_eq_u32_e32 vcc, 0, v11
	v_and_b32_e32 v9, 0xfc, v9
	v_and_or_b32 v8, v8, 3, v9
	s_and_b64 vcc, vcc, s[30:31]
	v_cndmask_b32_e64 v8, v8, 0, vcc
	v_or_b32_e32 v8, v8, v10
.LBB4_8497:                             ;   in Loop: Header=BB4_7733 Depth=3
	s_or_b64 exec, exec, s[74:75]
.LBB4_8498:                             ;   in Loop: Header=BB4_7733 Depth=3
	s_or_b64 exec, exec, s[72:73]
                                        ; implicit-def: $vgpr9
.LBB4_8499:                             ;   in Loop: Header=BB4_7733 Depth=3
	s_andn2_saveexec_b64 s[30:31], s[70:71]
	s_cbranch_execz .LBB4_7732
; %bb.8500:                             ;   in Loop: Header=BB4_7733 Depth=3
	v_or_b32_sdwa v9, v9, s39 dst_sel:DWORD dst_unused:UNUSED_PAD src0_sel:BYTE_3 src1_sel:DWORD
	v_cmp_eq_u64_e32 vcc, 0, v[42:43]
	v_cndmask_b32_e32 v8, v9, v8, vcc
	s_branch .LBB4_7732
.LBB4_8501:                             ;   in Loop: Header=BB4_3264 Depth=2
	s_or_b64 exec, exec, s[66:67]
.LBB4_8502:                             ;   in Loop: Header=BB4_3264 Depth=2
	s_or_b64 exec, exec, s[64:65]
	v_mov_b32_e32 v0, v31
	v_and_b32_e32 v5, 15, v0
	v_cndmask_b32_e64 v7, v28, v5, s[28:29]
	v_cmp_ne_u32_e32 vcc, 0, v7
	s_mov_b64 s[30:31], 0
	v_mov_b32_e32 v0, 0
                                        ; implicit-def: $vgpr30
                                        ; implicit-def: $vgpr4
	s_and_saveexec_b64 s[64:65], vcc
	s_cbranch_execz .LBB4_8504
; %bb.8503:                             ;   in Loop: Header=BB4_3264 Depth=2
	v_sub_u32_e32 v0, v28, v5
	v_cndmask_b32_e64 v0, 0, v0, s[28:29]
	v_cmp_lt_i32_e32 vcc, 0, v27
	v_add3_u32 v0, v26, v2, v0
	v_cndmask_b32_e32 v2, 0, v46, vcc
	v_sub_u32_e32 v2, v2, v27
	v_lshl_add_u32 v30, v2, 6, v3
	v_ashrrev_i32_e32 v2, 31, v30
	v_lshrrev_b32_e32 v2, 26, v2
	v_add_u32_e32 v2, v30, v2
	s_mov_b64 s[30:31], exec
	v_ashrrev_i32_e32 v4, 6, v2
.LBB4_8504:                             ;   in Loop: Header=BB4_3264 Depth=2
	s_or_b64 exec, exec, s[64:65]
	v_accvgpr_read_b32 v29, a9
	s_and_b64 s[28:29], s[30:31], exec
	v_accvgpr_read_b32 v28, a8
.LBB4_8505:                             ;   in Loop: Header=BB4_3264 Depth=2
	s_or_b64 exec, exec, s[34:35]
	s_and_saveexec_b64 s[64:65], s[28:29]
	s_cbranch_execz .LBB4_6188
.LBB4_8506:                             ;   in Loop: Header=BB4_3264 Depth=2
	v_ashrrev_i32_e32 v2, 31, v7
	v_lshrrev_b32_e32 v2, 23, v2
	v_add_u32_e32 v2, v7, v2
	v_ashrrev_i32_e32 v3, 9, v2
	v_sub_u32_e32 v2, v3, v4
	v_cmp_lt_i32_e32 vcc, 0, v2
	s_and_saveexec_b64 s[34:35], vcc
	s_cbranch_execz .LBB4_8926
; %bb.8507:                             ;   in Loop: Header=BB4_3264 Depth=2
	v_ashrrev_i32_e32 v5, 31, v30
	s_trap 2
	v_lshrrev_b32_e32 v5, 26, v5
	ds_read_b128 v[8:11], v0
	ds_read_b64 v[12:13], v0
	v_add_u32_e32 v5, v30, v5
	v_and_b32_e32 v5, 0xffffffc0, v5
	v_sub_u32_e32 v5, v30, v5
	v_lshlrev_b32_e32 v4, 9, v4
	v_add3_u32 v14, v0, v5, v4
	v_ashrrev_i32_e32 v15, 31, v14
	s_waitcnt lgkmcnt(0)
	v_add_co_u32_e32 v4, vcc, v8, v14
	v_addc_co_u32_e32 v5, vcc, v9, v15, vcc
	v_add_co_u32_e32 v8, vcc, v10, v14
	v_addc_co_u32_e32 v9, vcc, v11, v15, vcc
	;; [unrolled: 2-line block ×3, first 2 shown]
	s_bitcmp1_b32 s85, 0
	v_add_co_u32_e32 v10, vcc, v10, v14
	s_cselect_b64 s[66:67], -1, 0
	v_addc_co_u32_e32 v11, vcc, v11, v15, vcc
	s_mov_b64 s[68:69], 0
	s_branch .LBB4_8509
.LBB4_8508:                             ;   in Loop: Header=BB4_8509 Depth=3
	s_or_b64 exec, exec, s[28:29]
	v_add_co_u32_e32 v14, vcc, 0xfffffe40, v10
	v_addc_co_u32_e32 v15, vcc, -1, v11, vcc
	flat_store_byte v[14:15], v45 glc slc
	v_add_co_u32_e32 v14, vcc, 0xfffffe80, v10
	v_addc_co_u32_e32 v15, vcc, -1, v11, vcc
	flat_store_byte v[14:15], v39 glc slc
	;; [unrolled: 3-line block ×6, first 2 shown]
	v_add_co_u32_e32 v14, vcc, s80, v10
	v_addc_co_u32_e32 v15, vcc, -1, v11, vcc
	v_accvgpr_read_b32 v12, a38
	flat_store_byte v[14:15], v17 glc slc
	flat_store_byte v[10:11], v13 glc slc
	v_add_co_u32_e32 v4, vcc, v4, v12
	v_accvgpr_read_b32 v13, a39
	v_addc_co_u32_e32 v5, vcc, v5, v13, vcc
	v_add_co_u32_e32 v8, vcc, v8, v12
	v_addc_co_u32_e32 v9, vcc, v9, v13, vcc
	v_sub_u32_e32 v2, v2, v46
	v_cmp_gt_i32_e32 vcc, 1, v2
	s_or_b64 s[68:69], vcc, s[68:69]
	v_add_co_u32_e32 v10, vcc, v10, v12
	v_addc_co_u32_e32 v11, vcc, v11, v13, vcc
	s_andn2_b64 exec, exec, s[68:69]
	s_cbranch_execz .LBB4_8925
.LBB4_8509:                             ;   Parent Loop BB4_47 Depth=1
                                        ;     Parent Loop BB4_3264 Depth=2
                                        ; =>    This Inner Loop Header: Depth=3
	flat_load_ubyte v15, v[4:5] glc slc
	flat_load_sbyte v46, v[4:5] offset:64 glc slc
	flat_load_sbyte v56, v[4:5] offset:128 glc slc
	;; [unrolled: 1-line block ×7, first 2 shown]
	flat_load_sbyte v44, v[8:9] glc slc
	flat_load_sbyte v38, v[8:9] offset:64 glc slc
	flat_load_sbyte v26, v[8:9] offset:128 glc slc
	;; [unrolled: 1-line block ×7, first 2 shown]
	s_and_b64 vcc, exec, s[66:67]
	s_waitcnt vmcnt(0) lgkmcnt(0)
	v_bfe_i32 v42, v15, 0, 8
	v_and_b32_e32 v13, 0xffff, v15
	v_cmp_ne_u16_e64 s[28:29], 0, v15
	s_cbranch_vccz .LBB4_8527
; %bb.8510:                             ;   in Loop: Header=BB4_8509 Depth=3
	v_mov_b32_e32 v17, 0
	v_mov_b32_e32 v15, 0
	s_and_saveexec_b64 s[30:31], s[28:29]
	s_cbranch_execz .LBB4_8518
; %bb.8511:                             ;   in Loop: Header=BB4_8509 Depth=3
	v_cmp_ne_u16_e32 vcc, s94, v42
	v_bfrev_b32_e32 v15, 1
	s_and_saveexec_b64 s[70:71], vcc
	s_cbranch_execz .LBB4_8517
; %bb.8512:                             ;   in Loop: Header=BB4_8509 Depth=3
	v_and_b32_e32 v15, 0x7c, v13
	v_and_b32_e32 v19, 3, v13
	v_cmp_ne_u32_e32 vcc, s95, v15
                                        ; implicit-def: $vgpr15
	s_and_saveexec_b64 s[72:73], vcc
	s_xor_b64 s[72:73], exec, s[72:73]
	s_cbranch_execz .LBB4_8514
; %bb.8513:                             ;   in Loop: Header=BB4_8509 Depth=3
	v_ffbh_u32_e32 v23, v19
	v_bfe_u32 v15, v13, 2, 5
	v_min_u32_e32 v23, 32, v23
	v_subrev_u32_e32 v25, 29, v23
	v_sub_u32_e32 v23, 30, v23
	v_cmp_eq_u32_e32 vcc, 0, v15
	v_lshlrev_b64 v[36:37], v25, v[42:43]
	v_cndmask_b32_e32 v15, v15, v23, vcc
	v_bfrev_b32_e32 v23, 28
	v_bfe_i32 v21, v42, 0, 16
	v_and_b32_e32 v25, 3, v36
	v_lshl_add_u32 v15, v15, 23, v23
	v_cndmask_b32_e32 v19, v19, v25, vcc
	v_and_or_b32 v15, v21, s96, v15
	v_lshl_or_b32 v15, v19, 21, v15
                                        ; implicit-def: $vgpr19
.LBB4_8514:                             ;   in Loop: Header=BB4_8509 Depth=3
	s_andn2_saveexec_b64 s[72:73], s[72:73]
; %bb.8515:                             ;   in Loop: Header=BB4_8509 Depth=3
	v_cmp_lt_i16_e32 vcc, -1, v42
	v_cndmask_b32_e32 v15, v6, v1, vcc
	v_cmp_eq_u32_e32 vcc, 0, v19
	v_mov_b32_e32 v19, 0x7f800001
	v_cndmask_b32_e32 v15, v19, v15, vcc
; %bb.8516:                             ;   in Loop: Header=BB4_8509 Depth=3
	s_or_b64 exec, exec, s[72:73]
.LBB4_8517:                             ;   in Loop: Header=BB4_8509 Depth=3
	s_or_b64 exec, exec, s[70:71]
.LBB4_8518:                             ;   in Loop: Header=BB4_8509 Depth=3
	s_or_b64 exec, exec, s[30:31]
	v_cmp_ne_u16_e32 vcc, 0, v44
	s_and_saveexec_b64 s[30:31], vcc
	s_cbranch_execz .LBB4_8526
; %bb.8519:                             ;   in Loop: Header=BB4_8509 Depth=3
	v_cmp_ne_u16_e32 vcc, s94, v44
	v_bfrev_b32_e32 v17, 1
	s_and_saveexec_b64 s[70:71], vcc
	s_cbranch_execz .LBB4_8525
; %bb.8520:                             ;   in Loop: Header=BB4_8509 Depth=3
	v_and_b32_e32 v17, 0x7c, v44
	v_and_b32_e32 v19, 3, v44
	v_cmp_ne_u32_e32 vcc, s95, v17
                                        ; implicit-def: $vgpr17
	s_and_saveexec_b64 s[72:73], vcc
	s_xor_b64 s[72:73], exec, s[72:73]
	s_cbranch_execz .LBB4_8522
; %bb.8521:                             ;   in Loop: Header=BB4_8509 Depth=3
	v_and_b32_e32 v17, 0xff, v44
	v_ffbh_u32_e32 v23, v19
	v_bfe_u32 v17, v17, 2, 5
	v_min_u32_e32 v23, 32, v23
	v_mov_b32_e32 v45, v43
	v_subrev_u32_e32 v25, 29, v23
	v_sub_u32_e32 v23, 30, v23
	v_cmp_eq_u32_e32 vcc, 0, v17
	v_lshlrev_b64 v[36:37], v25, v[44:45]
	v_cndmask_b32_e32 v17, v17, v23, vcc
	v_bfrev_b32_e32 v23, 28
	v_bfe_i32 v21, v44, 0, 16
	v_and_b32_e32 v25, 3, v36
	v_lshl_add_u32 v17, v17, 23, v23
	v_cndmask_b32_e32 v19, v19, v25, vcc
	v_and_or_b32 v17, v21, s96, v17
	v_lshl_or_b32 v17, v19, 21, v17
                                        ; implicit-def: $vgpr19
.LBB4_8522:                             ;   in Loop: Header=BB4_8509 Depth=3
	s_andn2_saveexec_b64 s[72:73], s[72:73]
; %bb.8523:                             ;   in Loop: Header=BB4_8509 Depth=3
	v_cmp_lt_i16_e32 vcc, -1, v44
	v_cndmask_b32_e32 v17, v6, v1, vcc
	v_cmp_eq_u32_e32 vcc, 0, v19
	v_mov_b32_e32 v19, 0x7f800001
	v_cndmask_b32_e32 v17, v19, v17, vcc
; %bb.8524:                             ;   in Loop: Header=BB4_8509 Depth=3
	s_or_b64 exec, exec, s[72:73]
.LBB4_8525:                             ;   in Loop: Header=BB4_8509 Depth=3
	s_or_b64 exec, exec, s[70:71]
.LBB4_8526:                             ;   in Loop: Header=BB4_8509 Depth=3
	s_or_b64 exec, exec, s[30:31]
	v_max_f32_e32 v17, v17, v17
	v_max_f32_e32 v15, v15, v15
	;; [unrolled: 1-line block ×3, first 2 shown]
	s_branch .LBB4_8545
.LBB4_8527:                             ;   in Loop: Header=BB4_8509 Depth=3
                                        ; implicit-def: $vgpr15
	s_cbranch_execz .LBB4_8545
; %bb.8528:                             ;   in Loop: Header=BB4_8509 Depth=3
	v_mov_b32_e32 v17, 0
	v_mov_b32_e32 v15, 0
	s_and_saveexec_b64 s[30:31], s[28:29]
	s_cbranch_execz .LBB4_8536
; %bb.8529:                             ;   in Loop: Header=BB4_8509 Depth=3
	v_cmp_ne_u16_e32 vcc, s94, v42
	v_bfrev_b32_e32 v15, 1
	s_and_saveexec_b64 s[28:29], vcc
	s_cbranch_execz .LBB4_8535
; %bb.8530:                             ;   in Loop: Header=BB4_8509 Depth=3
	v_and_b32_e32 v15, 0x7c, v13
	v_and_b32_e32 v19, 3, v13
	v_cmp_ne_u32_e32 vcc, s95, v15
                                        ; implicit-def: $vgpr15
	s_and_saveexec_b64 s[70:71], vcc
	s_xor_b64 s[70:71], exec, s[70:71]
	s_cbranch_execz .LBB4_8532
; %bb.8531:                             ;   in Loop: Header=BB4_8509 Depth=3
	v_ffbh_u32_e32 v21, v19
	v_bfe_u32 v13, v13, 2, 5
	v_min_u32_e32 v21, 32, v21
	v_subrev_u32_e32 v23, 29, v21
	v_sub_u32_e32 v21, 30, v21
	v_cmp_eq_u32_e32 vcc, 0, v13
	v_lshlrev_b64 v[36:37], v23, v[42:43]
	v_cndmask_b32_e32 v13, v13, v21, vcc
	v_bfrev_b32_e32 v21, 28
	v_bfe_i32 v15, v42, 0, 16
	v_and_b32_e32 v23, 3, v36
	v_lshl_add_u32 v13, v13, 23, v21
	v_cndmask_b32_e32 v19, v19, v23, vcc
	v_and_or_b32 v13, v15, s96, v13
	v_lshl_or_b32 v15, v19, 21, v13
                                        ; implicit-def: $vgpr19
.LBB4_8532:                             ;   in Loop: Header=BB4_8509 Depth=3
	s_andn2_saveexec_b64 s[70:71], s[70:71]
; %bb.8533:                             ;   in Loop: Header=BB4_8509 Depth=3
	v_cmp_lt_i16_e32 vcc, -1, v42
	v_cndmask_b32_e32 v13, v6, v1, vcc
	v_cmp_eq_u32_e32 vcc, 0, v19
	v_mov_b32_e32 v15, 0x7f800001
	v_cndmask_b32_e32 v15, v15, v13, vcc
; %bb.8534:                             ;   in Loop: Header=BB4_8509 Depth=3
	s_or_b64 exec, exec, s[70:71]
.LBB4_8535:                             ;   in Loop: Header=BB4_8509 Depth=3
	s_or_b64 exec, exec, s[28:29]
.LBB4_8536:                             ;   in Loop: Header=BB4_8509 Depth=3
	s_or_b64 exec, exec, s[30:31]
	v_cmp_ne_u16_e32 vcc, 0, v44
	s_and_saveexec_b64 s[28:29], vcc
	s_cbranch_execz .LBB4_8544
; %bb.8537:                             ;   in Loop: Header=BB4_8509 Depth=3
	v_cmp_ne_u16_e32 vcc, s94, v44
	v_bfrev_b32_e32 v17, 1
	s_and_saveexec_b64 s[30:31], vcc
	s_cbranch_execz .LBB4_8543
; %bb.8538:                             ;   in Loop: Header=BB4_8509 Depth=3
	v_and_b32_e32 v17, 0x7c, v44
	v_and_b32_e32 v13, 3, v44
	v_cmp_ne_u32_e32 vcc, s95, v17
                                        ; implicit-def: $vgpr17
	s_and_saveexec_b64 s[70:71], vcc
	s_xor_b64 s[70:71], exec, s[70:71]
	s_cbranch_execz .LBB4_8540
; %bb.8539:                             ;   in Loop: Header=BB4_8509 Depth=3
	v_and_b32_e32 v17, 0xff, v44
	v_ffbh_u32_e32 v21, v13
	v_bfe_u32 v17, v17, 2, 5
	v_min_u32_e32 v21, 32, v21
	v_mov_b32_e32 v45, v43
	v_subrev_u32_e32 v23, 29, v21
	v_sub_u32_e32 v21, 30, v21
	v_cmp_eq_u32_e32 vcc, 0, v17
	v_lshlrev_b64 v[36:37], v23, v[44:45]
	v_cndmask_b32_e32 v17, v17, v21, vcc
	v_bfrev_b32_e32 v21, 28
	v_bfe_i32 v19, v44, 0, 16
	v_and_b32_e32 v23, 3, v36
	v_lshl_add_u32 v17, v17, 23, v21
	v_cndmask_b32_e32 v13, v13, v23, vcc
	v_and_or_b32 v17, v19, s96, v17
	v_lshl_or_b32 v17, v13, 21, v17
                                        ; implicit-def: $vgpr13
                                        ; implicit-def: $vgpr44
.LBB4_8540:                             ;   in Loop: Header=BB4_8509 Depth=3
	s_andn2_saveexec_b64 s[70:71], s[70:71]
; %bb.8541:                             ;   in Loop: Header=BB4_8509 Depth=3
	v_cmp_lt_i16_e32 vcc, -1, v44
	v_cndmask_b32_e32 v17, v6, v1, vcc
	v_cmp_eq_u32_e32 vcc, 0, v13
	v_mov_b32_e32 v13, 0x7f800001
	v_cndmask_b32_e32 v17, v13, v17, vcc
; %bb.8542:                             ;   in Loop: Header=BB4_8509 Depth=3
	s_or_b64 exec, exec, s[70:71]
.LBB4_8543:                             ;   in Loop: Header=BB4_8509 Depth=3
	s_or_b64 exec, exec, s[30:31]
.LBB4_8544:                             ;   in Loop: Header=BB4_8509 Depth=3
	s_or_b64 exec, exec, s[28:29]
	v_max_f32_e32 v13, v17, v17
	v_max_f32_e32 v15, v15, v15
	v_min_f32_e32 v15, v15, v13
.LBB4_8545:                             ;   in Loop: Header=BB4_8509 Depth=3
	v_and_b32_sdwa v13, v15, s97 dst_sel:DWORD dst_unused:UNUSED_PAD src0_sel:BYTE_3 src1_sel:DWORD
	v_and_b32_e32 v36, 0x7f800000, v15
	v_mov_b32_e32 v37, v43
	v_and_b32_e32 v42, 0x7fffff, v15
	v_or_b32_e32 v45, 0x7b, v13
	v_cmp_ne_u64_e32 vcc, s[52:53], v[36:37]
	s_and_saveexec_b64 s[28:29], vcc
	s_xor_b64 s[30:31], exec, s[28:29]
	s_cbranch_execz .LBB4_8559
; %bb.8546:                             ;   in Loop: Header=BB4_8509 Depth=3
	v_and_b32_e32 v36, 0x7fffffff, v15
	v_mov_b32_e32 v37, v43
	v_cmp_gt_u64_e32 vcc, s[54:55], v[36:37]
	s_and_saveexec_b64 s[28:29], vcc
	s_xor_b64 s[70:71], exec, s[28:29]
	s_cbranch_execz .LBB4_8558
; %bb.8547:                             ;   in Loop: Header=BB4_8509 Depth=3
	v_cmp_ne_u32_e32 vcc, 0, v15
	v_mov_b32_e32 v45, 0
	s_and_saveexec_b64 s[72:73], vcc
	s_cbranch_execz .LBB4_8557
; %bb.8548:                             ;   in Loop: Header=BB4_8509 Depth=3
	v_bfe_u32 v15, v15, 23, 8
	v_cmp_eq_u32_e32 vcc, 0, v15
	v_add_u32_e32 v17, 0xffffff81, v15
	v_cmp_gt_u32_e64 s[28:29], s38, v15
	v_sub_u32_e32 v15, 0x71, v15
	v_mov_b32_e32 v21, 0xffffff82
	v_cndmask_b32_e64 v15, 0, v15, s[28:29]
	v_cndmask_b32_e32 v17, v17, v21, vcc
	v_mov_b32_e32 v21, 0x70
	v_or_b32_e32 v19, 0x800000, v42
	v_cndmask_b32_e32 v15, v15, v21, vcc
	v_cndmask_b32_e32 v42, v19, v42, vcc
	v_add_u32_e32 v19, 21, v15
	v_lshlrev_b64 v[36:37], v19, -1
	v_not_b32_e32 v19, v37
	v_not_b32_e32 v21, v36
	v_and_b32_e32 v37, 0, v19
	v_add_u32_e32 v19, 20, v15
	v_and_b32_e32 v36, v42, v21
	v_lshlrev_b64 v[50:51], v19, 1
	v_cmp_eq_u64_e32 vcc, v[36:37], v[50:51]
	v_lshrrev_b64 v[36:37], v15, v[42:43]
	v_lshrrev_b32_e32 v19, 23, v36
	v_add3_u32 v19, v15, v17, v19
	v_bfe_u32 v15, v36, 21, 1
	v_add_u32_e32 v15, -1, v15
	v_cndmask_b32_e32 v15, 0, v15, vcc
	v_add_u32_e32 v15, v15, v36
	v_and_b32_e32 v15, 0x1fffff, v15
	v_add_co_u32_e32 v44, vcc, v15, v36
	v_add_u32_e32 v17, 14, v19
	v_addc_co_u32_e32 v45, vcc, 0, v37, vcc
	v_cmp_ne_u32_e32 vcc, 0, v17
                                        ; implicit-def: $vgpr15
	s_and_saveexec_b64 s[28:29], vcc
	s_xor_b64 s[28:29], exec, s[28:29]
; %bb.8549:                             ;   in Loop: Header=BB4_8509 Depth=3
	v_add_u32_e32 v15, 15, v19
	v_cmp_lt_u64_e32 vcc, s[56:57], v[44:45]
	v_cndmask_b32_e32 v15, v17, v15, vcc
	v_cndmask_b32_e64 v17, 0, 1, vcc
	v_lshrrev_b64 v[44:45], v17, v[44:45]
; %bb.8550:                             ;   in Loop: Header=BB4_8509 Depth=3
	s_andn2_saveexec_b64 s[28:29], s[28:29]
; %bb.8551:                             ;   in Loop: Header=BB4_8509 Depth=3
	v_bfe_u32 v15, v44, 23, 1
; %bb.8552:                             ;   in Loop: Header=BB4_8509 Depth=3
	s_or_b64 exec, exec, s[28:29]
	v_lshrrev_b64 v[36:37], 21, v[44:45]
	v_cmp_gt_i32_e32 vcc, 32, v15
	v_cndmask_b32_e32 v45, 0, v37, vcc
	v_cndmask_b32_e32 v44, 3, v36, vcc
	v_cmp_ne_u32_e32 vcc, 0, v15
	v_cmp_ne_u64_e64 s[28:29], 0, v[44:45]
	s_or_b64 s[28:29], vcc, s[28:29]
                                        ; implicit-def: $vgpr45
	s_and_saveexec_b64 vcc, s[28:29]
	s_xor_b64 s[28:29], exec, vcc
; %bb.8553:                             ;   in Loop: Header=BB4_8509 Depth=3
	v_min_i32_e32 v15, 31, v15
	v_lshl_or_b32 v13, v15, 2, v13
	v_and_or_b32 v45, v44, 3, v13
                                        ; implicit-def: $vgpr13
; %bb.8554:                             ;   in Loop: Header=BB4_8509 Depth=3
	s_andn2_saveexec_b64 s[28:29], s[28:29]
; %bb.8555:                             ;   in Loop: Header=BB4_8509 Depth=3
	v_mov_b32_e32 v45, v13
; %bb.8556:                             ;   in Loop: Header=BB4_8509 Depth=3
	s_or_b64 exec, exec, s[28:29]
.LBB4_8557:                             ;   in Loop: Header=BB4_8509 Depth=3
	s_or_b64 exec, exec, s[72:73]
.LBB4_8558:                             ;   in Loop: Header=BB4_8509 Depth=3
	s_andn2_saveexec_b64 s[28:29], s[70:71]
	s_or_b64 exec, exec, s[28:29]
                                        ; implicit-def: $vgpr15
.LBB4_8559:                             ;   in Loop: Header=BB4_8509 Depth=3
	s_andn2_saveexec_b64 s[28:29], s[30:31]
; %bb.8560:                             ;   in Loop: Header=BB4_8509 Depth=3
	v_or_b32_sdwa v13, v15, s39 dst_sel:DWORD dst_unused:UNUSED_PAD src0_sel:BYTE_3 src1_sel:DWORD
	v_cmp_eq_u64_e32 vcc, 0, v[42:43]
	v_cndmask_b32_e32 v45, v13, v45, vcc
; %bb.8561:                             ;   in Loop: Header=BB4_8509 Depth=3
	s_or_b64 exec, exec, s[28:29]
	v_cndmask_b32_e64 v15, 0, 1, s[66:67]
	v_and_b32_e32 v13, 0xff, v46
	v_cmp_ne_u32_e64 s[28:29], 1, v15
	s_andn2_b64 vcc, exec, s[66:67]
	v_cmp_ne_u16_e64 s[30:31], 0, v46
	s_cbranch_vccnz .LBB4_8579
; %bb.8562:                             ;   in Loop: Header=BB4_8509 Depth=3
	v_mov_b32_e32 v17, 0
	v_mov_b32_e32 v15, 0
	s_and_saveexec_b64 s[70:71], s[30:31]
	s_cbranch_execz .LBB4_8570
; %bb.8563:                             ;   in Loop: Header=BB4_8509 Depth=3
	v_cmp_ne_u16_e32 vcc, s94, v46
	v_bfrev_b32_e32 v15, 1
	s_and_saveexec_b64 s[72:73], vcc
	s_cbranch_execz .LBB4_8569
; %bb.8564:                             ;   in Loop: Header=BB4_8509 Depth=3
	v_and_b32_e32 v15, 0x7c, v13
	v_and_b32_e32 v19, 3, v13
	v_cmp_ne_u32_e32 vcc, s95, v15
                                        ; implicit-def: $vgpr15
	s_and_saveexec_b64 s[74:75], vcc
	s_xor_b64 s[74:75], exec, s[74:75]
	s_cbranch_execz .LBB4_8566
; %bb.8565:                             ;   in Loop: Header=BB4_8509 Depth=3
	v_ffbh_u32_e32 v23, v19
	v_bfe_u32 v15, v13, 2, 5
	v_min_u32_e32 v23, 32, v23
	v_mov_b32_e32 v47, v43
	v_subrev_u32_e32 v25, 29, v23
	v_sub_u32_e32 v23, 30, v23
	v_cmp_eq_u32_e32 vcc, 0, v15
	v_lshlrev_b64 v[36:37], v25, v[46:47]
	v_cndmask_b32_e32 v15, v15, v23, vcc
	v_bfrev_b32_e32 v23, 28
	v_bfe_i32 v21, v46, 0, 16
	v_and_b32_e32 v25, 3, v36
	v_lshl_add_u32 v15, v15, 23, v23
	v_cndmask_b32_e32 v19, v19, v25, vcc
	v_and_or_b32 v15, v21, s96, v15
	v_lshl_or_b32 v15, v19, 21, v15
                                        ; implicit-def: $vgpr19
.LBB4_8566:                             ;   in Loop: Header=BB4_8509 Depth=3
	s_andn2_saveexec_b64 s[74:75], s[74:75]
; %bb.8567:                             ;   in Loop: Header=BB4_8509 Depth=3
	v_cmp_lt_i16_e32 vcc, -1, v46
	v_cndmask_b32_e32 v15, v6, v1, vcc
	v_cmp_eq_u32_e32 vcc, 0, v19
	v_mov_b32_e32 v19, 0x7f800001
	v_cndmask_b32_e32 v15, v19, v15, vcc
; %bb.8568:                             ;   in Loop: Header=BB4_8509 Depth=3
	s_or_b64 exec, exec, s[74:75]
.LBB4_8569:                             ;   in Loop: Header=BB4_8509 Depth=3
	s_or_b64 exec, exec, s[72:73]
.LBB4_8570:                             ;   in Loop: Header=BB4_8509 Depth=3
	s_or_b64 exec, exec, s[70:71]
	v_cmp_ne_u16_e32 vcc, 0, v38
	s_and_saveexec_b64 s[70:71], vcc
	s_cbranch_execz .LBB4_8578
; %bb.8571:                             ;   in Loop: Header=BB4_8509 Depth=3
	v_cmp_ne_u16_e32 vcc, s94, v38
	v_bfrev_b32_e32 v17, 1
	s_and_saveexec_b64 s[72:73], vcc
	s_cbranch_execz .LBB4_8577
; %bb.8572:                             ;   in Loop: Header=BB4_8509 Depth=3
	v_and_b32_e32 v17, 0x7c, v38
	v_and_b32_e32 v19, 3, v38
	v_cmp_ne_u32_e32 vcc, s95, v17
                                        ; implicit-def: $vgpr17
	s_and_saveexec_b64 s[74:75], vcc
	s_xor_b64 s[74:75], exec, s[74:75]
	s_cbranch_execz .LBB4_8574
; %bb.8573:                             ;   in Loop: Header=BB4_8509 Depth=3
	v_and_b32_e32 v17, 0xff, v38
	v_ffbh_u32_e32 v23, v19
	v_bfe_u32 v17, v17, 2, 5
	v_min_u32_e32 v23, 32, v23
	v_mov_b32_e32 v39, v43
	v_subrev_u32_e32 v25, 29, v23
	v_sub_u32_e32 v23, 30, v23
	v_cmp_eq_u32_e32 vcc, 0, v17
	v_lshlrev_b64 v[36:37], v25, v[38:39]
	v_cndmask_b32_e32 v17, v17, v23, vcc
	v_bfrev_b32_e32 v23, 28
	v_bfe_i32 v21, v38, 0, 16
	v_and_b32_e32 v25, 3, v36
	v_lshl_add_u32 v17, v17, 23, v23
	v_cndmask_b32_e32 v19, v19, v25, vcc
	v_and_or_b32 v17, v21, s96, v17
	v_lshl_or_b32 v17, v19, 21, v17
                                        ; implicit-def: $vgpr19
.LBB4_8574:                             ;   in Loop: Header=BB4_8509 Depth=3
	s_andn2_saveexec_b64 s[74:75], s[74:75]
; %bb.8575:                             ;   in Loop: Header=BB4_8509 Depth=3
	v_cmp_lt_i16_e32 vcc, -1, v38
	v_cndmask_b32_e32 v17, v6, v1, vcc
	v_cmp_eq_u32_e32 vcc, 0, v19
	v_mov_b32_e32 v19, 0x7f800001
	v_cndmask_b32_e32 v17, v19, v17, vcc
; %bb.8576:                             ;   in Loop: Header=BB4_8509 Depth=3
	s_or_b64 exec, exec, s[74:75]
.LBB4_8577:                             ;   in Loop: Header=BB4_8509 Depth=3
	s_or_b64 exec, exec, s[72:73]
.LBB4_8578:                             ;   in Loop: Header=BB4_8509 Depth=3
	s_or_b64 exec, exec, s[70:71]
	v_max_f32_e32 v17, v17, v17
	v_max_f32_e32 v15, v15, v15
	;; [unrolled: 1-line block ×3, first 2 shown]
	s_branch .LBB4_8597
.LBB4_8579:                             ;   in Loop: Header=BB4_8509 Depth=3
                                        ; implicit-def: $vgpr15
	s_cbranch_execz .LBB4_8597
; %bb.8580:                             ;   in Loop: Header=BB4_8509 Depth=3
	v_mov_b32_e32 v17, 0
	v_mov_b32_e32 v15, 0
	s_and_saveexec_b64 s[70:71], s[30:31]
	s_cbranch_execz .LBB4_8588
; %bb.8581:                             ;   in Loop: Header=BB4_8509 Depth=3
	v_cmp_ne_u16_e32 vcc, s94, v46
	v_bfrev_b32_e32 v15, 1
	s_and_saveexec_b64 s[30:31], vcc
	s_cbranch_execz .LBB4_8587
; %bb.8582:                             ;   in Loop: Header=BB4_8509 Depth=3
	v_and_b32_e32 v15, 0x7c, v13
	v_and_b32_e32 v19, 3, v13
	v_cmp_ne_u32_e32 vcc, s95, v15
                                        ; implicit-def: $vgpr15
	s_and_saveexec_b64 s[72:73], vcc
	s_xor_b64 s[72:73], exec, s[72:73]
	s_cbranch_execz .LBB4_8584
; %bb.8583:                             ;   in Loop: Header=BB4_8509 Depth=3
	v_ffbh_u32_e32 v21, v19
	v_bfe_u32 v13, v13, 2, 5
	v_min_u32_e32 v21, 32, v21
	v_mov_b32_e32 v47, v43
	v_subrev_u32_e32 v23, 29, v21
	v_sub_u32_e32 v21, 30, v21
	v_cmp_eq_u32_e32 vcc, 0, v13
	v_lshlrev_b64 v[36:37], v23, v[46:47]
	v_cndmask_b32_e32 v13, v13, v21, vcc
	v_bfrev_b32_e32 v21, 28
	v_bfe_i32 v15, v46, 0, 16
	v_and_b32_e32 v23, 3, v36
	v_lshl_add_u32 v13, v13, 23, v21
	v_cndmask_b32_e32 v19, v19, v23, vcc
	v_and_or_b32 v13, v15, s96, v13
	v_lshl_or_b32 v15, v19, 21, v13
                                        ; implicit-def: $vgpr19
                                        ; implicit-def: $vgpr46
.LBB4_8584:                             ;   in Loop: Header=BB4_8509 Depth=3
	s_andn2_saveexec_b64 s[72:73], s[72:73]
; %bb.8585:                             ;   in Loop: Header=BB4_8509 Depth=3
	v_cmp_lt_i16_e32 vcc, -1, v46
	v_cndmask_b32_e32 v13, v6, v1, vcc
	v_cmp_eq_u32_e32 vcc, 0, v19
	v_mov_b32_e32 v15, 0x7f800001
	v_cndmask_b32_e32 v15, v15, v13, vcc
; %bb.8586:                             ;   in Loop: Header=BB4_8509 Depth=3
	s_or_b64 exec, exec, s[72:73]
.LBB4_8587:                             ;   in Loop: Header=BB4_8509 Depth=3
	s_or_b64 exec, exec, s[30:31]
.LBB4_8588:                             ;   in Loop: Header=BB4_8509 Depth=3
	s_or_b64 exec, exec, s[70:71]
	v_cmp_ne_u16_e32 vcc, 0, v38
	s_and_saveexec_b64 s[30:31], vcc
	s_cbranch_execz .LBB4_8596
; %bb.8589:                             ;   in Loop: Header=BB4_8509 Depth=3
	v_cmp_ne_u16_e32 vcc, s94, v38
	v_bfrev_b32_e32 v17, 1
	s_and_saveexec_b64 s[70:71], vcc
	s_cbranch_execz .LBB4_8595
; %bb.8590:                             ;   in Loop: Header=BB4_8509 Depth=3
	v_and_b32_e32 v17, 0x7c, v38
	v_and_b32_e32 v13, 3, v38
	v_cmp_ne_u32_e32 vcc, s95, v17
                                        ; implicit-def: $vgpr17
	s_and_saveexec_b64 s[72:73], vcc
	s_xor_b64 s[72:73], exec, s[72:73]
	s_cbranch_execz .LBB4_8592
; %bb.8591:                             ;   in Loop: Header=BB4_8509 Depth=3
	v_and_b32_e32 v17, 0xff, v38
	v_ffbh_u32_e32 v21, v13
	v_bfe_u32 v17, v17, 2, 5
	v_min_u32_e32 v21, 32, v21
	v_mov_b32_e32 v39, v43
	v_subrev_u32_e32 v23, 29, v21
	v_sub_u32_e32 v21, 30, v21
	v_cmp_eq_u32_e32 vcc, 0, v17
	v_lshlrev_b64 v[36:37], v23, v[38:39]
	v_cndmask_b32_e32 v17, v17, v21, vcc
	v_bfrev_b32_e32 v21, 28
	v_bfe_i32 v19, v38, 0, 16
	v_and_b32_e32 v23, 3, v36
	v_lshl_add_u32 v17, v17, 23, v21
	v_cndmask_b32_e32 v13, v13, v23, vcc
	v_and_or_b32 v17, v19, s96, v17
	v_lshl_or_b32 v17, v13, 21, v17
                                        ; implicit-def: $vgpr13
                                        ; implicit-def: $vgpr38
.LBB4_8592:                             ;   in Loop: Header=BB4_8509 Depth=3
	s_andn2_saveexec_b64 s[72:73], s[72:73]
; %bb.8593:                             ;   in Loop: Header=BB4_8509 Depth=3
	v_cmp_lt_i16_e32 vcc, -1, v38
	v_cndmask_b32_e32 v17, v6, v1, vcc
	v_cmp_eq_u32_e32 vcc, 0, v13
	v_mov_b32_e32 v13, 0x7f800001
	v_cndmask_b32_e32 v17, v13, v17, vcc
; %bb.8594:                             ;   in Loop: Header=BB4_8509 Depth=3
	s_or_b64 exec, exec, s[72:73]
.LBB4_8595:                             ;   in Loop: Header=BB4_8509 Depth=3
	s_or_b64 exec, exec, s[70:71]
.LBB4_8596:                             ;   in Loop: Header=BB4_8509 Depth=3
	s_or_b64 exec, exec, s[30:31]
	v_max_f32_e32 v13, v17, v17
	v_max_f32_e32 v15, v15, v15
	v_min_f32_e32 v15, v15, v13
.LBB4_8597:                             ;   in Loop: Header=BB4_8509 Depth=3
	v_and_b32_sdwa v13, v15, s97 dst_sel:DWORD dst_unused:UNUSED_PAD src0_sel:BYTE_3 src1_sel:DWORD
	v_and_b32_e32 v42, 0x7fffff, v15
	v_or_b32_e32 v39, 0x7b, v13
	v_and_b32_e32 v36, 0x7f800000, v15
	v_mov_b32_e32 v37, v43
	v_cmp_ne_u64_e32 vcc, s[52:53], v[36:37]
	s_mov_b64 s[30:31], exec
	s_and_b64 vcc, s[30:31], vcc
	s_xor_b64 s[70:71], vcc, s[30:31]
	v_accvgpr_read_b32 v46, a24
	s_mov_b64 exec, vcc
	s_cbranch_execz .LBB4_8611
; %bb.8598:                             ;   in Loop: Header=BB4_8509 Depth=3
	v_and_b32_e32 v36, 0x7fffffff, v15
	v_mov_b32_e32 v37, v43
	v_cmp_gt_u64_e32 vcc, s[54:55], v[36:37]
	s_and_saveexec_b64 s[30:31], vcc
	s_xor_b64 s[72:73], exec, s[30:31]
	s_cbranch_execz .LBB4_8610
; %bb.8599:                             ;   in Loop: Header=BB4_8509 Depth=3
	v_cmp_ne_u32_e32 vcc, 0, v15
	v_mov_b32_e32 v39, 0
	s_and_saveexec_b64 s[74:75], vcc
	s_cbranch_execz .LBB4_8609
; %bb.8600:                             ;   in Loop: Header=BB4_8509 Depth=3
	v_bfe_u32 v15, v15, 23, 8
	v_cmp_eq_u32_e32 vcc, 0, v15
	v_add_u32_e32 v17, 0xffffff81, v15
	v_cmp_gt_u32_e64 s[30:31], s38, v15
	v_sub_u32_e32 v15, 0x71, v15
	v_mov_b32_e32 v21, 0xffffff82
	v_cndmask_b32_e64 v15, 0, v15, s[30:31]
	v_cndmask_b32_e32 v17, v17, v21, vcc
	v_mov_b32_e32 v21, 0x70
	v_or_b32_e32 v19, 0x800000, v42
	v_cndmask_b32_e32 v15, v15, v21, vcc
	v_cndmask_b32_e32 v42, v19, v42, vcc
	v_add_u32_e32 v19, 21, v15
	v_lshlrev_b64 v[36:37], v19, -1
	v_not_b32_e32 v19, v37
	v_not_b32_e32 v21, v36
	v_and_b32_e32 v37, 0, v19
	v_add_u32_e32 v19, 20, v15
	v_and_b32_e32 v36, v42, v21
	v_lshlrev_b64 v[38:39], v19, 1
	v_cmp_eq_u64_e32 vcc, v[36:37], v[38:39]
	v_lshrrev_b64 v[36:37], v15, v[42:43]
	v_lshrrev_b32_e32 v19, 23, v36
	v_add3_u32 v19, v15, v17, v19
	v_bfe_u32 v15, v36, 21, 1
	v_add_u32_e32 v15, -1, v15
	v_cndmask_b32_e32 v15, 0, v15, vcc
	v_add_u32_e32 v15, v15, v36
	v_and_b32_e32 v15, 0x1fffff, v15
	v_add_co_u32_e32 v38, vcc, v15, v36
	v_add_u32_e32 v17, 14, v19
	v_addc_co_u32_e32 v39, vcc, 0, v37, vcc
	v_cmp_ne_u32_e32 vcc, 0, v17
                                        ; implicit-def: $vgpr15
	s_and_saveexec_b64 s[30:31], vcc
	s_xor_b64 s[30:31], exec, s[30:31]
; %bb.8601:                             ;   in Loop: Header=BB4_8509 Depth=3
	v_add_u32_e32 v15, 15, v19
	v_cmp_lt_u64_e32 vcc, s[56:57], v[38:39]
	v_cndmask_b32_e32 v15, v17, v15, vcc
	v_cndmask_b32_e64 v17, 0, 1, vcc
	v_lshrrev_b64 v[38:39], v17, v[38:39]
; %bb.8602:                             ;   in Loop: Header=BB4_8509 Depth=3
	s_andn2_saveexec_b64 vcc, s[30:31]
; %bb.8603:                             ;   in Loop: Header=BB4_8509 Depth=3
	v_bfe_u32 v15, v38, 23, 1
; %bb.8604:                             ;   in Loop: Header=BB4_8509 Depth=3
	s_or_b64 exec, exec, vcc
	v_lshrrev_b64 v[36:37], 21, v[38:39]
	v_cmp_gt_i32_e32 vcc, 32, v15
	v_cndmask_b32_e32 v39, 0, v37, vcc
	v_cndmask_b32_e32 v38, 3, v36, vcc
	v_cmp_ne_u32_e32 vcc, 0, v15
	v_cmp_ne_u64_e64 s[30:31], 0, v[38:39]
	s_or_b64 vcc, vcc, s[30:31]
                                        ; implicit-def: $vgpr39
	s_and_saveexec_b64 s[30:31], vcc
	s_xor_b64 vcc, exec, s[30:31]
; %bb.8605:                             ;   in Loop: Header=BB4_8509 Depth=3
	v_min_i32_e32 v15, 31, v15
	v_lshl_or_b32 v13, v15, 2, v13
	v_and_or_b32 v39, v38, 3, v13
                                        ; implicit-def: $vgpr13
; %bb.8606:                             ;   in Loop: Header=BB4_8509 Depth=3
	s_andn2_saveexec_b64 vcc, vcc
; %bb.8607:                             ;   in Loop: Header=BB4_8509 Depth=3
	v_mov_b32_e32 v39, v13
; %bb.8608:                             ;   in Loop: Header=BB4_8509 Depth=3
	s_or_b64 exec, exec, vcc
.LBB4_8609:                             ;   in Loop: Header=BB4_8509 Depth=3
	s_or_b64 exec, exec, s[74:75]
.LBB4_8610:                             ;   in Loop: Header=BB4_8509 Depth=3
	s_andn2_saveexec_b64 vcc, s[72:73]
	s_or_b64 exec, exec, vcc
                                        ; implicit-def: $vgpr15
.LBB4_8611:                             ;   in Loop: Header=BB4_8509 Depth=3
	s_andn2_saveexec_b64 s[30:31], s[70:71]
; %bb.8612:                             ;   in Loop: Header=BB4_8509 Depth=3
	v_or_b32_sdwa v13, v15, s39 dst_sel:DWORD dst_unused:UNUSED_PAD src0_sel:BYTE_3 src1_sel:DWORD
	v_cmp_eq_u64_e32 vcc, 0, v[42:43]
	v_cndmask_b32_e32 v39, v13, v39, vcc
; %bb.8613:                             ;   in Loop: Header=BB4_8509 Depth=3
	s_or_b64 exec, exec, s[30:31]
	v_and_b32_e32 v13, 0xff, v56
	s_and_b64 vcc, exec, s[28:29]
	v_cmp_ne_u16_e64 s[30:31], 0, v56
	s_cbranch_vccnz .LBB4_8631
; %bb.8614:                             ;   in Loop: Header=BB4_8509 Depth=3
	v_mov_b32_e32 v17, 0
	v_mov_b32_e32 v15, 0
	s_and_saveexec_b64 s[70:71], s[30:31]
	s_cbranch_execz .LBB4_8622
; %bb.8615:                             ;   in Loop: Header=BB4_8509 Depth=3
	v_cmp_ne_u16_e32 vcc, s94, v56
	v_bfrev_b32_e32 v15, 1
	s_and_saveexec_b64 s[72:73], vcc
	s_cbranch_execz .LBB4_8621
; %bb.8616:                             ;   in Loop: Header=BB4_8509 Depth=3
	v_and_b32_e32 v15, 0x7c, v13
	v_and_b32_e32 v19, 3, v13
	v_cmp_ne_u32_e32 vcc, s95, v15
                                        ; implicit-def: $vgpr15
	s_and_saveexec_b64 s[74:75], vcc
	s_xor_b64 s[74:75], exec, s[74:75]
	s_cbranch_execz .LBB4_8618
; %bb.8617:                             ;   in Loop: Header=BB4_8509 Depth=3
	v_ffbh_u32_e32 v23, v19
	v_bfe_u32 v15, v13, 2, 5
	v_min_u32_e32 v23, 32, v23
	v_mov_b32_e32 v57, v43
	v_subrev_u32_e32 v25, 29, v23
	v_sub_u32_e32 v23, 30, v23
	v_cmp_eq_u32_e32 vcc, 0, v15
	v_lshlrev_b64 v[36:37], v25, v[56:57]
	v_cndmask_b32_e32 v15, v15, v23, vcc
	v_bfrev_b32_e32 v23, 28
	v_bfe_i32 v21, v56, 0, 16
	v_and_b32_e32 v25, 3, v36
	v_lshl_add_u32 v15, v15, 23, v23
	v_cndmask_b32_e32 v19, v19, v25, vcc
	v_and_or_b32 v15, v21, s96, v15
	v_lshl_or_b32 v15, v19, 21, v15
                                        ; implicit-def: $vgpr19
.LBB4_8618:                             ;   in Loop: Header=BB4_8509 Depth=3
	s_andn2_saveexec_b64 s[74:75], s[74:75]
; %bb.8619:                             ;   in Loop: Header=BB4_8509 Depth=3
	v_cmp_lt_i16_e32 vcc, -1, v56
	v_cndmask_b32_e32 v15, v6, v1, vcc
	v_cmp_eq_u32_e32 vcc, 0, v19
	v_mov_b32_e32 v19, 0x7f800001
	v_cndmask_b32_e32 v15, v19, v15, vcc
; %bb.8620:                             ;   in Loop: Header=BB4_8509 Depth=3
	s_or_b64 exec, exec, s[74:75]
.LBB4_8621:                             ;   in Loop: Header=BB4_8509 Depth=3
	s_or_b64 exec, exec, s[72:73]
.LBB4_8622:                             ;   in Loop: Header=BB4_8509 Depth=3
	s_or_b64 exec, exec, s[70:71]
	v_cmp_ne_u16_e32 vcc, 0, v26
	s_and_saveexec_b64 s[70:71], vcc
	s_cbranch_execz .LBB4_8630
; %bb.8623:                             ;   in Loop: Header=BB4_8509 Depth=3
	v_cmp_ne_u16_e32 vcc, s94, v26
	v_bfrev_b32_e32 v17, 1
	s_and_saveexec_b64 s[72:73], vcc
	s_cbranch_execz .LBB4_8629
; %bb.8624:                             ;   in Loop: Header=BB4_8509 Depth=3
	v_and_b32_e32 v17, 0x7c, v26
	v_and_b32_e32 v19, 3, v26
	v_cmp_ne_u32_e32 vcc, s95, v17
                                        ; implicit-def: $vgpr17
	s_and_saveexec_b64 s[74:75], vcc
	s_xor_b64 s[74:75], exec, s[74:75]
	s_cbranch_execz .LBB4_8626
; %bb.8625:                             ;   in Loop: Header=BB4_8509 Depth=3
	v_and_b32_e32 v17, 0xff, v26
	v_ffbh_u32_e32 v23, v19
	v_bfe_u32 v17, v17, 2, 5
	v_min_u32_e32 v23, 32, v23
	v_mov_b32_e32 v27, v43
	v_subrev_u32_e32 v25, 29, v23
	v_sub_u32_e32 v23, 30, v23
	v_cmp_eq_u32_e32 vcc, 0, v17
	v_lshlrev_b64 v[36:37], v25, v[26:27]
	v_cndmask_b32_e32 v17, v17, v23, vcc
	v_bfrev_b32_e32 v23, 28
	v_bfe_i32 v21, v26, 0, 16
	v_and_b32_e32 v25, 3, v36
	v_lshl_add_u32 v17, v17, 23, v23
	v_cndmask_b32_e32 v19, v19, v25, vcc
	v_and_or_b32 v17, v21, s96, v17
	v_lshl_or_b32 v17, v19, 21, v17
                                        ; implicit-def: $vgpr19
.LBB4_8626:                             ;   in Loop: Header=BB4_8509 Depth=3
	s_andn2_saveexec_b64 s[74:75], s[74:75]
; %bb.8627:                             ;   in Loop: Header=BB4_8509 Depth=3
	v_cmp_lt_i16_e32 vcc, -1, v26
	v_cndmask_b32_e32 v17, v6, v1, vcc
	v_cmp_eq_u32_e32 vcc, 0, v19
	v_mov_b32_e32 v19, 0x7f800001
	v_cndmask_b32_e32 v17, v19, v17, vcc
; %bb.8628:                             ;   in Loop: Header=BB4_8509 Depth=3
	s_or_b64 exec, exec, s[74:75]
.LBB4_8629:                             ;   in Loop: Header=BB4_8509 Depth=3
	s_or_b64 exec, exec, s[72:73]
.LBB4_8630:                             ;   in Loop: Header=BB4_8509 Depth=3
	s_or_b64 exec, exec, s[70:71]
	v_max_f32_e32 v17, v17, v17
	v_max_f32_e32 v15, v15, v15
	v_max_f32_e32 v15, v15, v17
	s_branch .LBB4_8649
.LBB4_8631:                             ;   in Loop: Header=BB4_8509 Depth=3
                                        ; implicit-def: $vgpr15
	s_cbranch_execz .LBB4_8649
; %bb.8632:                             ;   in Loop: Header=BB4_8509 Depth=3
	v_mov_b32_e32 v17, 0
	v_mov_b32_e32 v15, 0
	s_and_saveexec_b64 s[70:71], s[30:31]
	s_cbranch_execz .LBB4_8640
; %bb.8633:                             ;   in Loop: Header=BB4_8509 Depth=3
	v_cmp_ne_u16_e32 vcc, s94, v56
	v_bfrev_b32_e32 v15, 1
	s_and_saveexec_b64 s[30:31], vcc
	s_cbranch_execz .LBB4_8639
; %bb.8634:                             ;   in Loop: Header=BB4_8509 Depth=3
	v_and_b32_e32 v15, 0x7c, v13
	v_and_b32_e32 v19, 3, v13
	v_cmp_ne_u32_e32 vcc, s95, v15
                                        ; implicit-def: $vgpr15
	s_and_saveexec_b64 s[72:73], vcc
	s_xor_b64 s[72:73], exec, s[72:73]
	s_cbranch_execz .LBB4_8636
; %bb.8635:                             ;   in Loop: Header=BB4_8509 Depth=3
	v_ffbh_u32_e32 v21, v19
	v_bfe_u32 v13, v13, 2, 5
	v_min_u32_e32 v21, 32, v21
	v_mov_b32_e32 v57, v43
	v_subrev_u32_e32 v23, 29, v21
	v_sub_u32_e32 v21, 30, v21
	v_cmp_eq_u32_e32 vcc, 0, v13
	v_lshlrev_b64 v[36:37], v23, v[56:57]
	v_cndmask_b32_e32 v13, v13, v21, vcc
	v_bfrev_b32_e32 v21, 28
	v_bfe_i32 v15, v56, 0, 16
	v_and_b32_e32 v23, 3, v36
	v_lshl_add_u32 v13, v13, 23, v21
	v_cndmask_b32_e32 v19, v19, v23, vcc
	v_and_or_b32 v13, v15, s96, v13
	v_lshl_or_b32 v15, v19, 21, v13
                                        ; implicit-def: $vgpr19
                                        ; implicit-def: $vgpr56
.LBB4_8636:                             ;   in Loop: Header=BB4_8509 Depth=3
	s_andn2_saveexec_b64 s[72:73], s[72:73]
; %bb.8637:                             ;   in Loop: Header=BB4_8509 Depth=3
	v_cmp_lt_i16_e32 vcc, -1, v56
	v_cndmask_b32_e32 v13, v6, v1, vcc
	v_cmp_eq_u32_e32 vcc, 0, v19
	v_mov_b32_e32 v15, 0x7f800001
	v_cndmask_b32_e32 v15, v15, v13, vcc
; %bb.8638:                             ;   in Loop: Header=BB4_8509 Depth=3
	s_or_b64 exec, exec, s[72:73]
.LBB4_8639:                             ;   in Loop: Header=BB4_8509 Depth=3
	s_or_b64 exec, exec, s[30:31]
.LBB4_8640:                             ;   in Loop: Header=BB4_8509 Depth=3
	s_or_b64 exec, exec, s[70:71]
	v_cmp_ne_u16_e32 vcc, 0, v26
	s_and_saveexec_b64 s[30:31], vcc
	s_cbranch_execz .LBB4_8648
; %bb.8641:                             ;   in Loop: Header=BB4_8509 Depth=3
	v_cmp_ne_u16_e32 vcc, s94, v26
	v_bfrev_b32_e32 v17, 1
	s_and_saveexec_b64 s[70:71], vcc
	s_cbranch_execz .LBB4_8647
; %bb.8642:                             ;   in Loop: Header=BB4_8509 Depth=3
	v_and_b32_e32 v17, 0x7c, v26
	v_and_b32_e32 v13, 3, v26
	v_cmp_ne_u32_e32 vcc, s95, v17
                                        ; implicit-def: $vgpr17
	s_and_saveexec_b64 s[72:73], vcc
	s_xor_b64 s[72:73], exec, s[72:73]
	s_cbranch_execz .LBB4_8644
; %bb.8643:                             ;   in Loop: Header=BB4_8509 Depth=3
	v_and_b32_e32 v17, 0xff, v26
	v_ffbh_u32_e32 v21, v13
	v_bfe_u32 v17, v17, 2, 5
	v_min_u32_e32 v21, 32, v21
	v_mov_b32_e32 v27, v43
	v_subrev_u32_e32 v23, 29, v21
	v_sub_u32_e32 v21, 30, v21
	v_cmp_eq_u32_e32 vcc, 0, v17
	v_bfe_i32 v19, v26, 0, 16
	v_lshlrev_b64 v[26:27], v23, v[26:27]
	v_cndmask_b32_e32 v17, v17, v21, vcc
	v_bfrev_b32_e32 v21, 28
	v_and_b32_e32 v23, 3, v26
	v_lshl_add_u32 v17, v17, 23, v21
	v_cndmask_b32_e32 v13, v13, v23, vcc
	v_and_or_b32 v17, v19, s96, v17
	v_lshl_or_b32 v17, v13, 21, v17
                                        ; implicit-def: $vgpr13
                                        ; implicit-def: $vgpr26
.LBB4_8644:                             ;   in Loop: Header=BB4_8509 Depth=3
	s_andn2_saveexec_b64 s[72:73], s[72:73]
; %bb.8645:                             ;   in Loop: Header=BB4_8509 Depth=3
	v_cmp_lt_i16_e32 vcc, -1, v26
	v_cndmask_b32_e32 v17, v6, v1, vcc
	v_cmp_eq_u32_e32 vcc, 0, v13
	v_mov_b32_e32 v13, 0x7f800001
	v_cndmask_b32_e32 v17, v13, v17, vcc
; %bb.8646:                             ;   in Loop: Header=BB4_8509 Depth=3
	s_or_b64 exec, exec, s[72:73]
.LBB4_8647:                             ;   in Loop: Header=BB4_8509 Depth=3
	s_or_b64 exec, exec, s[70:71]
.LBB4_8648:                             ;   in Loop: Header=BB4_8509 Depth=3
	s_or_b64 exec, exec, s[30:31]
	v_max_f32_e32 v13, v17, v17
	v_max_f32_e32 v15, v15, v15
	v_min_f32_e32 v15, v15, v13
.LBB4_8649:                             ;   in Loop: Header=BB4_8509 Depth=3
	v_and_b32_sdwa v13, v15, s97 dst_sel:DWORD dst_unused:UNUSED_PAD src0_sel:BYTE_3 src1_sel:DWORD
	v_and_b32_e32 v26, 0x7f800000, v15
	v_mov_b32_e32 v27, v43
	v_and_b32_e32 v42, 0x7fffff, v15
	v_or_b32_e32 v38, 0x7b, v13
	v_cmp_ne_u64_e32 vcc, s[52:53], v[26:27]
	s_and_saveexec_b64 s[30:31], vcc
	s_xor_b64 s[70:71], exec, s[30:31]
	s_cbranch_execz .LBB4_8663
; %bb.8650:                             ;   in Loop: Header=BB4_8509 Depth=3
	v_and_b32_e32 v26, 0x7fffffff, v15
	v_mov_b32_e32 v27, v43
	v_cmp_gt_u64_e32 vcc, s[54:55], v[26:27]
	s_and_saveexec_b64 s[30:31], vcc
	s_xor_b64 s[72:73], exec, s[30:31]
	s_cbranch_execz .LBB4_8662
; %bb.8651:                             ;   in Loop: Header=BB4_8509 Depth=3
	v_cmp_ne_u32_e32 vcc, 0, v15
	v_mov_b32_e32 v38, 0
	s_and_saveexec_b64 s[74:75], vcc
	s_cbranch_execz .LBB4_8661
; %bb.8652:                             ;   in Loop: Header=BB4_8509 Depth=3
	v_bfe_u32 v15, v15, 23, 8
	v_cmp_eq_u32_e32 vcc, 0, v15
	v_add_u32_e32 v17, 0xffffff81, v15
	v_cmp_gt_u32_e64 s[30:31], s38, v15
	v_sub_u32_e32 v15, 0x71, v15
	v_mov_b32_e32 v21, 0xffffff82
	v_cndmask_b32_e64 v15, 0, v15, s[30:31]
	v_cndmask_b32_e32 v17, v17, v21, vcc
	v_mov_b32_e32 v21, 0x70
	v_or_b32_e32 v19, 0x800000, v42
	v_cndmask_b32_e32 v15, v15, v21, vcc
	v_cndmask_b32_e32 v42, v19, v42, vcc
	v_add_u32_e32 v19, 21, v15
	v_lshlrev_b64 v[26:27], v19, -1
	v_not_b32_e32 v19, v27
	v_not_b32_e32 v21, v26
	v_and_b32_e32 v27, 0, v19
	v_add_u32_e32 v19, 20, v15
	v_and_b32_e32 v26, v42, v21
	v_lshlrev_b64 v[36:37], v19, 1
	v_cmp_eq_u64_e32 vcc, v[26:27], v[36:37]
	v_lshrrev_b64 v[26:27], v15, v[42:43]
	v_lshrrev_b32_e32 v19, 23, v26
	v_add3_u32 v19, v15, v17, v19
	v_bfe_u32 v15, v26, 21, 1
	v_add_u32_e32 v15, -1, v15
	v_cndmask_b32_e32 v15, 0, v15, vcc
	v_add_u32_e32 v15, v15, v26
	v_and_b32_e32 v15, 0x1fffff, v15
	v_add_co_u32_e32 v26, vcc, v15, v26
	v_add_u32_e32 v17, 14, v19
	v_addc_co_u32_e32 v27, vcc, 0, v27, vcc
	v_cmp_ne_u32_e32 vcc, 0, v17
                                        ; implicit-def: $vgpr15
	s_and_saveexec_b64 s[30:31], vcc
	s_xor_b64 s[30:31], exec, s[30:31]
; %bb.8653:                             ;   in Loop: Header=BB4_8509 Depth=3
	v_add_u32_e32 v15, 15, v19
	v_cmp_lt_u64_e32 vcc, s[56:57], v[26:27]
	v_cndmask_b32_e32 v15, v17, v15, vcc
	v_cndmask_b32_e64 v17, 0, 1, vcc
	v_lshrrev_b64 v[26:27], v17, v[26:27]
; %bb.8654:                             ;   in Loop: Header=BB4_8509 Depth=3
	s_andn2_saveexec_b64 vcc, s[30:31]
; %bb.8655:                             ;   in Loop: Header=BB4_8509 Depth=3
	v_bfe_u32 v15, v26, 23, 1
; %bb.8656:                             ;   in Loop: Header=BB4_8509 Depth=3
	s_or_b64 exec, exec, vcc
	v_lshrrev_b64 v[26:27], 21, v[26:27]
	v_cmp_gt_i32_e32 vcc, 32, v15
	v_cndmask_b32_e32 v27, 0, v27, vcc
	v_cndmask_b32_e32 v26, 3, v26, vcc
	v_cmp_ne_u32_e32 vcc, 0, v15
	v_cmp_ne_u64_e64 s[30:31], 0, v[26:27]
	s_or_b64 vcc, vcc, s[30:31]
                                        ; implicit-def: $vgpr38
	s_and_saveexec_b64 s[30:31], vcc
	s_xor_b64 vcc, exec, s[30:31]
; %bb.8657:                             ;   in Loop: Header=BB4_8509 Depth=3
	v_min_i32_e32 v15, 31, v15
	v_lshl_or_b32 v13, v15, 2, v13
	v_and_or_b32 v38, v26, 3, v13
                                        ; implicit-def: $vgpr13
; %bb.8658:                             ;   in Loop: Header=BB4_8509 Depth=3
	s_andn2_saveexec_b64 vcc, vcc
; %bb.8659:                             ;   in Loop: Header=BB4_8509 Depth=3
	v_mov_b32_e32 v38, v13
; %bb.8660:                             ;   in Loop: Header=BB4_8509 Depth=3
	s_or_b64 exec, exec, vcc
.LBB4_8661:                             ;   in Loop: Header=BB4_8509 Depth=3
	s_or_b64 exec, exec, s[74:75]
.LBB4_8662:                             ;   in Loop: Header=BB4_8509 Depth=3
	s_andn2_saveexec_b64 vcc, s[72:73]
	s_or_b64 exec, exec, vcc
                                        ; implicit-def: $vgpr15
.LBB4_8663:                             ;   in Loop: Header=BB4_8509 Depth=3
	s_andn2_saveexec_b64 s[30:31], s[70:71]
; %bb.8664:                             ;   in Loop: Header=BB4_8509 Depth=3
	v_or_b32_sdwa v13, v15, s39 dst_sel:DWORD dst_unused:UNUSED_PAD src0_sel:BYTE_3 src1_sel:DWORD
	v_cmp_eq_u64_e32 vcc, 0, v[42:43]
	v_cndmask_b32_e32 v38, v13, v38, vcc
; %bb.8665:                             ;   in Loop: Header=BB4_8509 Depth=3
	s_or_b64 exec, exec, s[30:31]
	v_and_b32_e32 v13, 0xff, v52
	s_and_b64 vcc, exec, s[28:29]
	v_cmp_ne_u16_e64 s[30:31], 0, v52
	s_cbranch_vccnz .LBB4_8683
; %bb.8666:                             ;   in Loop: Header=BB4_8509 Depth=3
	v_mov_b32_e32 v17, 0
	v_mov_b32_e32 v15, 0
	s_and_saveexec_b64 s[70:71], s[30:31]
	s_cbranch_execz .LBB4_8674
; %bb.8667:                             ;   in Loop: Header=BB4_8509 Depth=3
	v_cmp_ne_u16_e32 vcc, s94, v52
	v_bfrev_b32_e32 v15, 1
	s_and_saveexec_b64 s[72:73], vcc
	s_cbranch_execz .LBB4_8673
; %bb.8668:                             ;   in Loop: Header=BB4_8509 Depth=3
	v_and_b32_e32 v15, 0x7c, v13
	v_and_b32_e32 v19, 3, v13
	v_cmp_ne_u32_e32 vcc, s95, v15
                                        ; implicit-def: $vgpr15
	s_and_saveexec_b64 s[74:75], vcc
	s_xor_b64 s[74:75], exec, s[74:75]
	s_cbranch_execz .LBB4_8670
; %bb.8669:                             ;   in Loop: Header=BB4_8509 Depth=3
	v_ffbh_u32_e32 v23, v19
	v_bfe_u32 v15, v13, 2, 5
	v_min_u32_e32 v23, 32, v23
	v_mov_b32_e32 v53, v43
	v_subrev_u32_e32 v25, 29, v23
	v_sub_u32_e32 v23, 30, v23
	v_cmp_eq_u32_e32 vcc, 0, v15
	v_lshlrev_b64 v[26:27], v25, v[52:53]
	v_cndmask_b32_e32 v15, v15, v23, vcc
	v_bfrev_b32_e32 v23, 28
	v_bfe_i32 v21, v52, 0, 16
	v_and_b32_e32 v25, 3, v26
	v_lshl_add_u32 v15, v15, 23, v23
	v_cndmask_b32_e32 v19, v19, v25, vcc
	v_and_or_b32 v15, v21, s96, v15
	v_lshl_or_b32 v15, v19, 21, v15
                                        ; implicit-def: $vgpr19
.LBB4_8670:                             ;   in Loop: Header=BB4_8509 Depth=3
	s_andn2_saveexec_b64 s[74:75], s[74:75]
; %bb.8671:                             ;   in Loop: Header=BB4_8509 Depth=3
	v_cmp_lt_i16_e32 vcc, -1, v52
	v_cndmask_b32_e32 v15, v6, v1, vcc
	v_cmp_eq_u32_e32 vcc, 0, v19
	v_mov_b32_e32 v19, 0x7f800001
	v_cndmask_b32_e32 v15, v19, v15, vcc
; %bb.8672:                             ;   in Loop: Header=BB4_8509 Depth=3
	s_or_b64 exec, exec, s[74:75]
.LBB4_8673:                             ;   in Loop: Header=BB4_8509 Depth=3
	s_or_b64 exec, exec, s[72:73]
.LBB4_8674:                             ;   in Loop: Header=BB4_8509 Depth=3
	s_or_b64 exec, exec, s[70:71]
	v_cmp_ne_u16_e32 vcc, 0, v40
	s_and_saveexec_b64 s[70:71], vcc
	s_cbranch_execz .LBB4_8682
; %bb.8675:                             ;   in Loop: Header=BB4_8509 Depth=3
	v_cmp_ne_u16_e32 vcc, s94, v40
	v_bfrev_b32_e32 v17, 1
	s_and_saveexec_b64 s[72:73], vcc
	s_cbranch_execz .LBB4_8681
; %bb.8676:                             ;   in Loop: Header=BB4_8509 Depth=3
	v_and_b32_e32 v17, 0x7c, v40
	v_and_b32_e32 v19, 3, v40
	v_cmp_ne_u32_e32 vcc, s95, v17
                                        ; implicit-def: $vgpr17
	s_and_saveexec_b64 s[74:75], vcc
	s_xor_b64 s[74:75], exec, s[74:75]
	s_cbranch_execz .LBB4_8678
; %bb.8677:                             ;   in Loop: Header=BB4_8509 Depth=3
	v_and_b32_e32 v17, 0xff, v40
	v_ffbh_u32_e32 v23, v19
	v_bfe_u32 v17, v17, 2, 5
	v_min_u32_e32 v23, 32, v23
	v_mov_b32_e32 v41, v43
	v_subrev_u32_e32 v25, 29, v23
	v_sub_u32_e32 v23, 30, v23
	v_cmp_eq_u32_e32 vcc, 0, v17
	v_lshlrev_b64 v[26:27], v25, v[40:41]
	v_cndmask_b32_e32 v17, v17, v23, vcc
	v_bfrev_b32_e32 v23, 28
	v_bfe_i32 v21, v40, 0, 16
	v_and_b32_e32 v25, 3, v26
	v_lshl_add_u32 v17, v17, 23, v23
	v_cndmask_b32_e32 v19, v19, v25, vcc
	v_and_or_b32 v17, v21, s96, v17
	v_accvgpr_read_b32 v41, a25
	v_lshl_or_b32 v17, v19, 21, v17
                                        ; implicit-def: $vgpr19
.LBB4_8678:                             ;   in Loop: Header=BB4_8509 Depth=3
	s_andn2_saveexec_b64 s[74:75], s[74:75]
; %bb.8679:                             ;   in Loop: Header=BB4_8509 Depth=3
	v_cmp_lt_i16_e32 vcc, -1, v40
	v_cndmask_b32_e32 v17, v6, v1, vcc
	v_cmp_eq_u32_e32 vcc, 0, v19
	v_mov_b32_e32 v19, 0x7f800001
	v_cndmask_b32_e32 v17, v19, v17, vcc
; %bb.8680:                             ;   in Loop: Header=BB4_8509 Depth=3
	s_or_b64 exec, exec, s[74:75]
.LBB4_8681:                             ;   in Loop: Header=BB4_8509 Depth=3
	s_or_b64 exec, exec, s[72:73]
.LBB4_8682:                             ;   in Loop: Header=BB4_8509 Depth=3
	s_or_b64 exec, exec, s[70:71]
	v_max_f32_e32 v17, v17, v17
	v_max_f32_e32 v15, v15, v15
	;; [unrolled: 1-line block ×3, first 2 shown]
	s_branch .LBB4_8701
.LBB4_8683:                             ;   in Loop: Header=BB4_8509 Depth=3
                                        ; implicit-def: $vgpr15
	s_cbranch_execz .LBB4_8701
; %bb.8684:                             ;   in Loop: Header=BB4_8509 Depth=3
	v_mov_b32_e32 v17, 0
	v_mov_b32_e32 v15, 0
	s_and_saveexec_b64 s[70:71], s[30:31]
	s_cbranch_execz .LBB4_8692
; %bb.8685:                             ;   in Loop: Header=BB4_8509 Depth=3
	v_cmp_ne_u16_e32 vcc, s94, v52
	v_bfrev_b32_e32 v15, 1
	s_and_saveexec_b64 s[30:31], vcc
	s_cbranch_execz .LBB4_8691
; %bb.8686:                             ;   in Loop: Header=BB4_8509 Depth=3
	v_and_b32_e32 v15, 0x7c, v13
	v_and_b32_e32 v19, 3, v13
	v_cmp_ne_u32_e32 vcc, s95, v15
                                        ; implicit-def: $vgpr15
	s_and_saveexec_b64 s[72:73], vcc
	s_xor_b64 s[72:73], exec, s[72:73]
	s_cbranch_execz .LBB4_8688
; %bb.8687:                             ;   in Loop: Header=BB4_8509 Depth=3
	v_ffbh_u32_e32 v21, v19
	v_bfe_u32 v13, v13, 2, 5
	v_min_u32_e32 v21, 32, v21
	v_mov_b32_e32 v53, v43
	v_subrev_u32_e32 v23, 29, v21
	v_sub_u32_e32 v21, 30, v21
	v_cmp_eq_u32_e32 vcc, 0, v13
	v_lshlrev_b64 v[26:27], v23, v[52:53]
	v_cndmask_b32_e32 v13, v13, v21, vcc
	v_bfrev_b32_e32 v21, 28
	v_bfe_i32 v15, v52, 0, 16
	v_and_b32_e32 v23, 3, v26
	v_lshl_add_u32 v13, v13, 23, v21
	v_cndmask_b32_e32 v19, v19, v23, vcc
	v_and_or_b32 v13, v15, s96, v13
	v_lshl_or_b32 v15, v19, 21, v13
                                        ; implicit-def: $vgpr19
                                        ; implicit-def: $vgpr52
.LBB4_8688:                             ;   in Loop: Header=BB4_8509 Depth=3
	s_andn2_saveexec_b64 s[72:73], s[72:73]
; %bb.8689:                             ;   in Loop: Header=BB4_8509 Depth=3
	v_cmp_lt_i16_e32 vcc, -1, v52
	v_cndmask_b32_e32 v13, v6, v1, vcc
	v_cmp_eq_u32_e32 vcc, 0, v19
	v_mov_b32_e32 v15, 0x7f800001
	v_cndmask_b32_e32 v15, v15, v13, vcc
; %bb.8690:                             ;   in Loop: Header=BB4_8509 Depth=3
	s_or_b64 exec, exec, s[72:73]
.LBB4_8691:                             ;   in Loop: Header=BB4_8509 Depth=3
	s_or_b64 exec, exec, s[30:31]
.LBB4_8692:                             ;   in Loop: Header=BB4_8509 Depth=3
	s_or_b64 exec, exec, s[70:71]
	v_cmp_ne_u16_e32 vcc, 0, v40
	s_and_saveexec_b64 s[30:31], vcc
	s_cbranch_execz .LBB4_8700
; %bb.8693:                             ;   in Loop: Header=BB4_8509 Depth=3
	v_cmp_ne_u16_e32 vcc, s94, v40
	v_bfrev_b32_e32 v17, 1
	s_and_saveexec_b64 s[70:71], vcc
	s_cbranch_execz .LBB4_8699
; %bb.8694:                             ;   in Loop: Header=BB4_8509 Depth=3
	v_and_b32_e32 v17, 0x7c, v40
	v_and_b32_e32 v13, 3, v40
	v_cmp_ne_u32_e32 vcc, s95, v17
                                        ; implicit-def: $vgpr17
	s_and_saveexec_b64 s[72:73], vcc
	s_xor_b64 s[72:73], exec, s[72:73]
	s_cbranch_execz .LBB4_8696
; %bb.8695:                             ;   in Loop: Header=BB4_8509 Depth=3
	v_and_b32_e32 v17, 0xff, v40
	v_ffbh_u32_e32 v21, v13
	v_bfe_u32 v17, v17, 2, 5
	v_min_u32_e32 v21, 32, v21
	v_mov_b32_e32 v41, v43
	v_subrev_u32_e32 v23, 29, v21
	v_sub_u32_e32 v21, 30, v21
	v_cmp_eq_u32_e32 vcc, 0, v17
	v_lshlrev_b64 v[26:27], v23, v[40:41]
	v_cndmask_b32_e32 v17, v17, v21, vcc
	v_bfrev_b32_e32 v21, 28
	v_bfe_i32 v19, v40, 0, 16
	v_and_b32_e32 v23, 3, v26
	v_lshl_add_u32 v17, v17, 23, v21
	v_cndmask_b32_e32 v13, v13, v23, vcc
	v_and_or_b32 v17, v19, s96, v17
	v_accvgpr_read_b32 v41, a25
	v_lshl_or_b32 v17, v13, 21, v17
                                        ; implicit-def: $vgpr13
                                        ; implicit-def: $vgpr40
.LBB4_8696:                             ;   in Loop: Header=BB4_8509 Depth=3
	s_andn2_saveexec_b64 s[72:73], s[72:73]
; %bb.8697:                             ;   in Loop: Header=BB4_8509 Depth=3
	v_cmp_lt_i16_e32 vcc, -1, v40
	v_cndmask_b32_e32 v17, v6, v1, vcc
	v_cmp_eq_u32_e32 vcc, 0, v13
	v_mov_b32_e32 v13, 0x7f800001
	v_cndmask_b32_e32 v17, v13, v17, vcc
; %bb.8698:                             ;   in Loop: Header=BB4_8509 Depth=3
	s_or_b64 exec, exec, s[72:73]
.LBB4_8699:                             ;   in Loop: Header=BB4_8509 Depth=3
	s_or_b64 exec, exec, s[70:71]
.LBB4_8700:                             ;   in Loop: Header=BB4_8509 Depth=3
	s_or_b64 exec, exec, s[30:31]
	v_max_f32_e32 v13, v17, v17
	v_max_f32_e32 v15, v15, v15
	v_min_f32_e32 v15, v15, v13
.LBB4_8701:                             ;   in Loop: Header=BB4_8509 Depth=3
	v_and_b32_sdwa v13, v15, s97 dst_sel:DWORD dst_unused:UNUSED_PAD src0_sel:BYTE_3 src1_sel:DWORD
	v_and_b32_e32 v36, 0x7f800000, v15
	v_mov_b32_e32 v37, v43
	v_and_b32_e32 v42, 0x7fffff, v15
	v_or_b32_e32 v27, 0x7b, v13
	v_cmp_ne_u64_e32 vcc, s[52:53], v[36:37]
	s_and_saveexec_b64 s[30:31], vcc
	s_xor_b64 s[70:71], exec, s[30:31]
	s_cbranch_execz .LBB4_8715
; %bb.8702:                             ;   in Loop: Header=BB4_8509 Depth=3
	v_and_b32_e32 v36, 0x7fffffff, v15
	v_mov_b32_e32 v37, v43
	v_cmp_gt_u64_e32 vcc, s[54:55], v[36:37]
	s_and_saveexec_b64 s[30:31], vcc
	s_xor_b64 s[72:73], exec, s[30:31]
	s_cbranch_execz .LBB4_8714
; %bb.8703:                             ;   in Loop: Header=BB4_8509 Depth=3
	v_cmp_ne_u32_e32 vcc, 0, v15
	v_mov_b32_e32 v27, 0
	s_and_saveexec_b64 s[74:75], vcc
	s_cbranch_execz .LBB4_8713
; %bb.8704:                             ;   in Loop: Header=BB4_8509 Depth=3
	v_bfe_u32 v15, v15, 23, 8
	v_cmp_eq_u32_e32 vcc, 0, v15
	v_add_u32_e32 v17, 0xffffff81, v15
	v_cmp_gt_u32_e64 s[30:31], s38, v15
	v_sub_u32_e32 v15, 0x71, v15
	v_mov_b32_e32 v21, 0xffffff82
	v_cndmask_b32_e64 v15, 0, v15, s[30:31]
	v_cndmask_b32_e32 v17, v17, v21, vcc
	v_mov_b32_e32 v21, 0x70
	v_or_b32_e32 v19, 0x800000, v42
	v_cndmask_b32_e32 v15, v15, v21, vcc
	v_cndmask_b32_e32 v42, v19, v42, vcc
	v_add_u32_e32 v19, 21, v15
	v_lshlrev_b64 v[26:27], v19, -1
	v_not_b32_e32 v19, v27
	v_not_b32_e32 v21, v26
	v_and_b32_e32 v27, 0, v19
	v_add_u32_e32 v19, 20, v15
	v_and_b32_e32 v26, v42, v21
	v_lshlrev_b64 v[36:37], v19, 1
	v_cmp_eq_u64_e32 vcc, v[26:27], v[36:37]
	v_lshrrev_b64 v[26:27], v15, v[42:43]
	v_lshrrev_b32_e32 v19, 23, v26
	v_add3_u32 v19, v15, v17, v19
	v_bfe_u32 v15, v26, 21, 1
	v_add_u32_e32 v15, -1, v15
	v_cndmask_b32_e32 v15, 0, v15, vcc
	v_add_u32_e32 v15, v15, v26
	v_and_b32_e32 v15, 0x1fffff, v15
	v_add_co_u32_e32 v26, vcc, v15, v26
	v_add_u32_e32 v17, 14, v19
	v_addc_co_u32_e32 v27, vcc, 0, v27, vcc
	v_cmp_ne_u32_e32 vcc, 0, v17
                                        ; implicit-def: $vgpr15
	s_and_saveexec_b64 s[30:31], vcc
	s_xor_b64 s[30:31], exec, s[30:31]
; %bb.8705:                             ;   in Loop: Header=BB4_8509 Depth=3
	v_add_u32_e32 v15, 15, v19
	v_cmp_lt_u64_e32 vcc, s[56:57], v[26:27]
	v_cndmask_b32_e32 v15, v17, v15, vcc
	v_cndmask_b32_e64 v17, 0, 1, vcc
	v_lshrrev_b64 v[26:27], v17, v[26:27]
; %bb.8706:                             ;   in Loop: Header=BB4_8509 Depth=3
	s_andn2_saveexec_b64 vcc, s[30:31]
; %bb.8707:                             ;   in Loop: Header=BB4_8509 Depth=3
	v_bfe_u32 v15, v26, 23, 1
; %bb.8708:                             ;   in Loop: Header=BB4_8509 Depth=3
	s_or_b64 exec, exec, vcc
	v_lshrrev_b64 v[26:27], 21, v[26:27]
	v_cmp_gt_i32_e32 vcc, 32, v15
	v_cndmask_b32_e32 v27, 0, v27, vcc
	v_cndmask_b32_e32 v26, 3, v26, vcc
	v_cmp_ne_u32_e32 vcc, 0, v15
	v_cmp_ne_u64_e64 s[30:31], 0, v[26:27]
	s_or_b64 vcc, vcc, s[30:31]
                                        ; implicit-def: $vgpr27
	s_and_saveexec_b64 s[30:31], vcc
	s_xor_b64 vcc, exec, s[30:31]
; %bb.8709:                             ;   in Loop: Header=BB4_8509 Depth=3
	v_min_i32_e32 v15, 31, v15
	v_lshl_or_b32 v13, v15, 2, v13
	v_and_or_b32 v27, v26, 3, v13
                                        ; implicit-def: $vgpr13
; %bb.8710:                             ;   in Loop: Header=BB4_8509 Depth=3
	s_andn2_saveexec_b64 vcc, vcc
; %bb.8711:                             ;   in Loop: Header=BB4_8509 Depth=3
	v_mov_b32_e32 v27, v13
; %bb.8712:                             ;   in Loop: Header=BB4_8509 Depth=3
	s_or_b64 exec, exec, vcc
.LBB4_8713:                             ;   in Loop: Header=BB4_8509 Depth=3
	s_or_b64 exec, exec, s[74:75]
.LBB4_8714:                             ;   in Loop: Header=BB4_8509 Depth=3
	s_andn2_saveexec_b64 vcc, s[72:73]
	s_or_b64 exec, exec, vcc
                                        ; implicit-def: $vgpr15
.LBB4_8715:                             ;   in Loop: Header=BB4_8509 Depth=3
	s_andn2_saveexec_b64 s[30:31], s[70:71]
; %bb.8716:                             ;   in Loop: Header=BB4_8509 Depth=3
	v_or_b32_sdwa v13, v15, s39 dst_sel:DWORD dst_unused:UNUSED_PAD src0_sel:BYTE_3 src1_sel:DWORD
	v_cmp_eq_u64_e32 vcc, 0, v[42:43]
	v_cndmask_b32_e32 v27, v13, v27, vcc
; %bb.8717:                             ;   in Loop: Header=BB4_8509 Depth=3
	s_or_b64 exec, exec, s[30:31]
	v_and_b32_e32 v13, 0xff, v28
	s_and_b64 vcc, exec, s[28:29]
	v_cmp_ne_u16_e64 s[30:31], 0, v28
	s_cbranch_vccnz .LBB4_8735
; %bb.8718:                             ;   in Loop: Header=BB4_8509 Depth=3
	v_mov_b32_e32 v17, 0
	v_mov_b32_e32 v15, 0
	s_and_saveexec_b64 s[70:71], s[30:31]
	s_cbranch_execz .LBB4_8726
; %bb.8719:                             ;   in Loop: Header=BB4_8509 Depth=3
	v_cmp_ne_u16_e32 vcc, s94, v28
	v_bfrev_b32_e32 v15, 1
	s_and_saveexec_b64 s[72:73], vcc
	s_cbranch_execz .LBB4_8725
; %bb.8720:                             ;   in Loop: Header=BB4_8509 Depth=3
	v_and_b32_e32 v15, 0x7c, v13
	v_and_b32_e32 v19, 3, v13
	v_cmp_ne_u32_e32 vcc, s95, v15
                                        ; implicit-def: $vgpr15
	s_and_saveexec_b64 s[74:75], vcc
	s_xor_b64 s[74:75], exec, s[74:75]
	s_cbranch_execz .LBB4_8722
; %bb.8721:                             ;   in Loop: Header=BB4_8509 Depth=3
	v_ffbh_u32_e32 v23, v19
	v_bfe_u32 v15, v13, 2, 5
	v_min_u32_e32 v23, 32, v23
	v_mov_b32_e32 v29, v43
	v_subrev_u32_e32 v25, 29, v23
	v_sub_u32_e32 v23, 30, v23
	v_cmp_eq_u32_e32 vcc, 0, v15
	v_lshlrev_b64 v[36:37], v25, v[28:29]
	v_cndmask_b32_e32 v15, v15, v23, vcc
	v_bfrev_b32_e32 v23, 28
	v_bfe_i32 v21, v28, 0, 16
	v_and_b32_e32 v25, 3, v36
	v_lshl_add_u32 v15, v15, 23, v23
	v_cndmask_b32_e32 v19, v19, v25, vcc
	v_and_or_b32 v15, v21, s96, v15
	v_lshl_or_b32 v15, v19, 21, v15
                                        ; implicit-def: $vgpr19
.LBB4_8722:                             ;   in Loop: Header=BB4_8509 Depth=3
	s_andn2_saveexec_b64 s[74:75], s[74:75]
; %bb.8723:                             ;   in Loop: Header=BB4_8509 Depth=3
	v_cmp_lt_i16_e32 vcc, -1, v28
	v_cndmask_b32_e32 v15, v6, v1, vcc
	v_cmp_eq_u32_e32 vcc, 0, v19
	v_mov_b32_e32 v19, 0x7f800001
	v_cndmask_b32_e32 v15, v19, v15, vcc
; %bb.8724:                             ;   in Loop: Header=BB4_8509 Depth=3
	s_or_b64 exec, exec, s[74:75]
.LBB4_8725:                             ;   in Loop: Header=BB4_8509 Depth=3
	s_or_b64 exec, exec, s[72:73]
.LBB4_8726:                             ;   in Loop: Header=BB4_8509 Depth=3
	s_or_b64 exec, exec, s[70:71]
	v_cmp_ne_u16_e32 vcc, 0, v24
	s_and_saveexec_b64 s[70:71], vcc
	s_cbranch_execz .LBB4_8734
; %bb.8727:                             ;   in Loop: Header=BB4_8509 Depth=3
	v_cmp_ne_u16_e32 vcc, s94, v24
	v_bfrev_b32_e32 v17, 1
	s_and_saveexec_b64 s[72:73], vcc
	s_cbranch_execz .LBB4_8733
; %bb.8728:                             ;   in Loop: Header=BB4_8509 Depth=3
	v_and_b32_e32 v17, 0x7c, v24
	v_and_b32_e32 v19, 3, v24
	v_cmp_ne_u32_e32 vcc, s95, v17
                                        ; implicit-def: $vgpr17
	s_and_saveexec_b64 s[74:75], vcc
	s_xor_b64 s[74:75], exec, s[74:75]
	s_cbranch_execz .LBB4_8730
; %bb.8729:                             ;   in Loop: Header=BB4_8509 Depth=3
	v_and_b32_e32 v17, 0xff, v24
	v_ffbh_u32_e32 v23, v19
	v_bfe_u32 v17, v17, 2, 5
	v_min_u32_e32 v23, 32, v23
	v_mov_b32_e32 v25, v43
	v_subrev_u32_e32 v26, 29, v23
	v_sub_u32_e32 v23, 30, v23
	v_cmp_eq_u32_e32 vcc, 0, v17
	v_lshlrev_b64 v[36:37], v26, v[24:25]
	v_cndmask_b32_e32 v17, v17, v23, vcc
	v_bfrev_b32_e32 v23, 28
	v_bfe_i32 v21, v24, 0, 16
	v_and_b32_e32 v25, 3, v36
	v_lshl_add_u32 v17, v17, 23, v23
	v_cndmask_b32_e32 v19, v19, v25, vcc
	v_and_or_b32 v17, v21, s96, v17
	v_lshl_or_b32 v17, v19, 21, v17
                                        ; implicit-def: $vgpr19
.LBB4_8730:                             ;   in Loop: Header=BB4_8509 Depth=3
	s_andn2_saveexec_b64 s[74:75], s[74:75]
; %bb.8731:                             ;   in Loop: Header=BB4_8509 Depth=3
	v_cmp_lt_i16_e32 vcc, -1, v24
	v_cndmask_b32_e32 v17, v6, v1, vcc
	v_cmp_eq_u32_e32 vcc, 0, v19
	v_mov_b32_e32 v19, 0x7f800001
	v_cndmask_b32_e32 v17, v19, v17, vcc
; %bb.8732:                             ;   in Loop: Header=BB4_8509 Depth=3
	s_or_b64 exec, exec, s[74:75]
.LBB4_8733:                             ;   in Loop: Header=BB4_8509 Depth=3
	s_or_b64 exec, exec, s[72:73]
.LBB4_8734:                             ;   in Loop: Header=BB4_8509 Depth=3
	s_or_b64 exec, exec, s[70:71]
	v_max_f32_e32 v17, v17, v17
	v_max_f32_e32 v15, v15, v15
	;; [unrolled: 1-line block ×3, first 2 shown]
	s_branch .LBB4_8753
.LBB4_8735:                             ;   in Loop: Header=BB4_8509 Depth=3
                                        ; implicit-def: $vgpr15
	s_cbranch_execz .LBB4_8753
; %bb.8736:                             ;   in Loop: Header=BB4_8509 Depth=3
	v_mov_b32_e32 v17, 0
	v_mov_b32_e32 v15, 0
	s_and_saveexec_b64 s[70:71], s[30:31]
	s_cbranch_execz .LBB4_8744
; %bb.8737:                             ;   in Loop: Header=BB4_8509 Depth=3
	v_cmp_ne_u16_e32 vcc, s94, v28
	v_bfrev_b32_e32 v15, 1
	s_and_saveexec_b64 s[30:31], vcc
	s_cbranch_execz .LBB4_8743
; %bb.8738:                             ;   in Loop: Header=BB4_8509 Depth=3
	v_and_b32_e32 v15, 0x7c, v13
	v_and_b32_e32 v19, 3, v13
	v_cmp_ne_u32_e32 vcc, s95, v15
                                        ; implicit-def: $vgpr15
	s_and_saveexec_b64 s[72:73], vcc
	s_xor_b64 s[72:73], exec, s[72:73]
	s_cbranch_execz .LBB4_8740
; %bb.8739:                             ;   in Loop: Header=BB4_8509 Depth=3
	v_ffbh_u32_e32 v21, v19
	v_bfe_u32 v13, v13, 2, 5
	v_min_u32_e32 v21, 32, v21
	v_mov_b32_e32 v29, v43
	v_subrev_u32_e32 v23, 29, v21
	v_sub_u32_e32 v21, 30, v21
	v_cmp_eq_u32_e32 vcc, 0, v13
	v_bfe_i32 v15, v28, 0, 16
	v_lshlrev_b64 v[28:29], v23, v[28:29]
	v_cndmask_b32_e32 v13, v13, v21, vcc
	v_bfrev_b32_e32 v21, 28
	v_and_b32_e32 v23, 3, v28
	v_lshl_add_u32 v13, v13, 23, v21
	v_cndmask_b32_e32 v19, v19, v23, vcc
	v_and_or_b32 v13, v15, s96, v13
	v_lshl_or_b32 v15, v19, 21, v13
                                        ; implicit-def: $vgpr19
                                        ; implicit-def: $vgpr28
.LBB4_8740:                             ;   in Loop: Header=BB4_8509 Depth=3
	s_andn2_saveexec_b64 s[72:73], s[72:73]
; %bb.8741:                             ;   in Loop: Header=BB4_8509 Depth=3
	v_cmp_lt_i16_e32 vcc, -1, v28
	v_cndmask_b32_e32 v13, v6, v1, vcc
	v_cmp_eq_u32_e32 vcc, 0, v19
	v_mov_b32_e32 v15, 0x7f800001
	v_cndmask_b32_e32 v15, v15, v13, vcc
; %bb.8742:                             ;   in Loop: Header=BB4_8509 Depth=3
	s_or_b64 exec, exec, s[72:73]
.LBB4_8743:                             ;   in Loop: Header=BB4_8509 Depth=3
	s_or_b64 exec, exec, s[30:31]
.LBB4_8744:                             ;   in Loop: Header=BB4_8509 Depth=3
	s_or_b64 exec, exec, s[70:71]
	v_cmp_ne_u16_e32 vcc, 0, v24
	s_and_saveexec_b64 s[30:31], vcc
	s_cbranch_execz .LBB4_8752
; %bb.8745:                             ;   in Loop: Header=BB4_8509 Depth=3
	v_cmp_ne_u16_e32 vcc, s94, v24
	v_bfrev_b32_e32 v17, 1
	s_and_saveexec_b64 s[70:71], vcc
	s_cbranch_execz .LBB4_8751
; %bb.8746:                             ;   in Loop: Header=BB4_8509 Depth=3
	v_and_b32_e32 v17, 0x7c, v24
	v_and_b32_e32 v13, 3, v24
	v_cmp_ne_u32_e32 vcc, s95, v17
                                        ; implicit-def: $vgpr17
	s_and_saveexec_b64 s[72:73], vcc
	s_xor_b64 s[72:73], exec, s[72:73]
	s_cbranch_execz .LBB4_8748
; %bb.8747:                             ;   in Loop: Header=BB4_8509 Depth=3
	v_and_b32_e32 v17, 0xff, v24
	v_ffbh_u32_e32 v21, v13
	v_bfe_u32 v17, v17, 2, 5
	v_min_u32_e32 v21, 32, v21
	v_mov_b32_e32 v25, v43
	v_subrev_u32_e32 v23, 29, v21
	v_sub_u32_e32 v21, 30, v21
	v_cmp_eq_u32_e32 vcc, 0, v17
	v_bfe_i32 v19, v24, 0, 16
	v_lshlrev_b64 v[24:25], v23, v[24:25]
	v_cndmask_b32_e32 v17, v17, v21, vcc
	v_bfrev_b32_e32 v21, 28
	v_and_b32_e32 v23, 3, v24
	v_lshl_add_u32 v17, v17, 23, v21
	v_cndmask_b32_e32 v13, v13, v23, vcc
	v_and_or_b32 v17, v19, s96, v17
	v_lshl_or_b32 v17, v13, 21, v17
                                        ; implicit-def: $vgpr13
                                        ; implicit-def: $vgpr24
.LBB4_8748:                             ;   in Loop: Header=BB4_8509 Depth=3
	s_andn2_saveexec_b64 s[72:73], s[72:73]
; %bb.8749:                             ;   in Loop: Header=BB4_8509 Depth=3
	v_cmp_lt_i16_e32 vcc, -1, v24
	v_cndmask_b32_e32 v17, v6, v1, vcc
	v_cmp_eq_u32_e32 vcc, 0, v13
	v_mov_b32_e32 v13, 0x7f800001
	v_cndmask_b32_e32 v17, v13, v17, vcc
; %bb.8750:                             ;   in Loop: Header=BB4_8509 Depth=3
	s_or_b64 exec, exec, s[72:73]
.LBB4_8751:                             ;   in Loop: Header=BB4_8509 Depth=3
	s_or_b64 exec, exec, s[70:71]
.LBB4_8752:                             ;   in Loop: Header=BB4_8509 Depth=3
	s_or_b64 exec, exec, s[30:31]
	v_max_f32_e32 v13, v17, v17
	v_max_f32_e32 v15, v15, v15
	v_min_f32_e32 v15, v15, v13
.LBB4_8753:                             ;   in Loop: Header=BB4_8509 Depth=3
	v_and_b32_sdwa v13, v15, s97 dst_sel:DWORD dst_unused:UNUSED_PAD src0_sel:BYTE_3 src1_sel:DWORD
	v_and_b32_e32 v28, 0x7f800000, v15
	v_mov_b32_e32 v29, v43
	v_and_b32_e32 v42, 0x7fffff, v15
	v_or_b32_e32 v25, 0x7b, v13
	v_cmp_ne_u64_e32 vcc, s[52:53], v[28:29]
	s_and_saveexec_b64 s[30:31], vcc
	s_xor_b64 s[70:71], exec, s[30:31]
	s_cbranch_execz .LBB4_8767
; %bb.8754:                             ;   in Loop: Header=BB4_8509 Depth=3
	v_and_b32_e32 v28, 0x7fffffff, v15
	v_mov_b32_e32 v29, v43
	v_cmp_gt_u64_e32 vcc, s[54:55], v[28:29]
	s_and_saveexec_b64 s[30:31], vcc
	s_xor_b64 s[72:73], exec, s[30:31]
	s_cbranch_execz .LBB4_8766
; %bb.8755:                             ;   in Loop: Header=BB4_8509 Depth=3
	v_cmp_ne_u32_e32 vcc, 0, v15
	v_mov_b32_e32 v25, 0
	s_and_saveexec_b64 s[74:75], vcc
	s_cbranch_execz .LBB4_8765
; %bb.8756:                             ;   in Loop: Header=BB4_8509 Depth=3
	v_bfe_u32 v15, v15, 23, 8
	v_cmp_eq_u32_e32 vcc, 0, v15
	v_add_u32_e32 v17, 0xffffff81, v15
	v_cmp_gt_u32_e64 s[30:31], s38, v15
	v_sub_u32_e32 v15, 0x71, v15
	v_mov_b32_e32 v21, 0xffffff82
	v_cndmask_b32_e64 v15, 0, v15, s[30:31]
	v_cndmask_b32_e32 v17, v17, v21, vcc
	v_mov_b32_e32 v21, 0x70
	v_or_b32_e32 v19, 0x800000, v42
	v_cndmask_b32_e32 v15, v15, v21, vcc
	v_cndmask_b32_e32 v42, v19, v42, vcc
	v_add_u32_e32 v19, 21, v15
	v_lshlrev_b64 v[24:25], v19, -1
	v_not_b32_e32 v19, v25
	v_not_b32_e32 v21, v24
	v_and_b32_e32 v25, 0, v19
	v_add_u32_e32 v19, 20, v15
	v_and_b32_e32 v24, v42, v21
	v_lshlrev_b64 v[28:29], v19, 1
	v_cmp_eq_u64_e32 vcc, v[24:25], v[28:29]
	v_lshrrev_b64 v[24:25], v15, v[42:43]
	v_lshrrev_b32_e32 v19, 23, v24
	v_add3_u32 v19, v15, v17, v19
	v_bfe_u32 v15, v24, 21, 1
	v_add_u32_e32 v15, -1, v15
	v_cndmask_b32_e32 v15, 0, v15, vcc
	v_add_u32_e32 v15, v15, v24
	v_and_b32_e32 v15, 0x1fffff, v15
	v_add_co_u32_e32 v24, vcc, v15, v24
	v_add_u32_e32 v17, 14, v19
	v_addc_co_u32_e32 v25, vcc, 0, v25, vcc
	v_cmp_ne_u32_e32 vcc, 0, v17
                                        ; implicit-def: $vgpr15
	s_and_saveexec_b64 s[30:31], vcc
	s_xor_b64 s[30:31], exec, s[30:31]
; %bb.8757:                             ;   in Loop: Header=BB4_8509 Depth=3
	v_add_u32_e32 v15, 15, v19
	v_cmp_lt_u64_e32 vcc, s[56:57], v[24:25]
	v_cndmask_b32_e32 v15, v17, v15, vcc
	v_cndmask_b32_e64 v17, 0, 1, vcc
	v_lshrrev_b64 v[24:25], v17, v[24:25]
; %bb.8758:                             ;   in Loop: Header=BB4_8509 Depth=3
	s_andn2_saveexec_b64 vcc, s[30:31]
; %bb.8759:                             ;   in Loop: Header=BB4_8509 Depth=3
	v_bfe_u32 v15, v24, 23, 1
; %bb.8760:                             ;   in Loop: Header=BB4_8509 Depth=3
	s_or_b64 exec, exec, vcc
	v_lshrrev_b64 v[24:25], 21, v[24:25]
	v_cmp_gt_i32_e32 vcc, 32, v15
	v_cndmask_b32_e32 v25, 0, v25, vcc
	v_cndmask_b32_e32 v24, 3, v24, vcc
	v_cmp_ne_u32_e32 vcc, 0, v15
	v_cmp_ne_u64_e64 s[30:31], 0, v[24:25]
	s_or_b64 vcc, vcc, s[30:31]
                                        ; implicit-def: $vgpr25
	s_and_saveexec_b64 s[30:31], vcc
	s_xor_b64 vcc, exec, s[30:31]
; %bb.8761:                             ;   in Loop: Header=BB4_8509 Depth=3
	v_min_i32_e32 v15, 31, v15
	v_lshl_or_b32 v13, v15, 2, v13
	v_and_or_b32 v25, v24, 3, v13
                                        ; implicit-def: $vgpr13
; %bb.8762:                             ;   in Loop: Header=BB4_8509 Depth=3
	s_andn2_saveexec_b64 vcc, vcc
; %bb.8763:                             ;   in Loop: Header=BB4_8509 Depth=3
	v_mov_b32_e32 v25, v13
; %bb.8764:                             ;   in Loop: Header=BB4_8509 Depth=3
	s_or_b64 exec, exec, vcc
.LBB4_8765:                             ;   in Loop: Header=BB4_8509 Depth=3
	s_or_b64 exec, exec, s[74:75]
.LBB4_8766:                             ;   in Loop: Header=BB4_8509 Depth=3
	s_andn2_saveexec_b64 vcc, s[72:73]
	s_or_b64 exec, exec, vcc
                                        ; implicit-def: $vgpr15
.LBB4_8767:                             ;   in Loop: Header=BB4_8509 Depth=3
	s_andn2_saveexec_b64 s[30:31], s[70:71]
; %bb.8768:                             ;   in Loop: Header=BB4_8509 Depth=3
	v_or_b32_sdwa v13, v15, s39 dst_sel:DWORD dst_unused:UNUSED_PAD src0_sel:BYTE_3 src1_sel:DWORD
	v_cmp_eq_u64_e32 vcc, 0, v[42:43]
	v_cndmask_b32_e32 v25, v13, v25, vcc
; %bb.8769:                             ;   in Loop: Header=BB4_8509 Depth=3
	s_or_b64 exec, exec, s[30:31]
	v_and_b32_e32 v13, 0xff, v22
	s_and_b64 vcc, exec, s[28:29]
	v_cmp_ne_u16_e64 s[30:31], 0, v22
	s_cbranch_vccnz .LBB4_8787
; %bb.8770:                             ;   in Loop: Header=BB4_8509 Depth=3
	v_mov_b32_e32 v17, 0
	v_mov_b32_e32 v15, 0
	s_and_saveexec_b64 s[70:71], s[30:31]
	s_cbranch_execz .LBB4_8778
; %bb.8771:                             ;   in Loop: Header=BB4_8509 Depth=3
	v_cmp_ne_u16_e32 vcc, s94, v22
	v_bfrev_b32_e32 v15, 1
	s_and_saveexec_b64 s[72:73], vcc
	s_cbranch_execz .LBB4_8777
; %bb.8772:                             ;   in Loop: Header=BB4_8509 Depth=3
	v_and_b32_e32 v15, 0x7c, v13
	v_and_b32_e32 v19, 3, v13
	v_cmp_ne_u32_e32 vcc, s95, v15
                                        ; implicit-def: $vgpr15
	s_and_saveexec_b64 s[74:75], vcc
	s_xor_b64 s[74:75], exec, s[74:75]
	s_cbranch_execz .LBB4_8774
; %bb.8773:                             ;   in Loop: Header=BB4_8509 Depth=3
	v_ffbh_u32_e32 v24, v19
	v_min_u32_e32 v24, 32, v24
	v_mov_b32_e32 v23, v43
	v_bfe_u32 v15, v13, 2, 5
	v_subrev_u32_e32 v26, 29, v24
	v_lshlrev_b64 v[28:29], v26, v[22:23]
	v_sub_u32_e32 v23, 30, v24
	v_cmp_eq_u32_e32 vcc, 0, v15
	v_cndmask_b32_e32 v15, v15, v23, vcc
	v_bfrev_b32_e32 v23, 28
	v_bfe_i32 v21, v22, 0, 16
	v_and_b32_e32 v24, 3, v28
	v_lshl_add_u32 v15, v15, 23, v23
	v_cndmask_b32_e32 v19, v19, v24, vcc
	v_and_or_b32 v15, v21, s96, v15
	v_lshl_or_b32 v15, v19, 21, v15
                                        ; implicit-def: $vgpr19
.LBB4_8774:                             ;   in Loop: Header=BB4_8509 Depth=3
	s_andn2_saveexec_b64 s[74:75], s[74:75]
; %bb.8775:                             ;   in Loop: Header=BB4_8509 Depth=3
	v_cmp_lt_i16_e32 vcc, -1, v22
	v_cndmask_b32_e32 v15, v6, v1, vcc
	v_cmp_eq_u32_e32 vcc, 0, v19
	v_mov_b32_e32 v19, 0x7f800001
	v_cndmask_b32_e32 v15, v19, v15, vcc
; %bb.8776:                             ;   in Loop: Header=BB4_8509 Depth=3
	s_or_b64 exec, exec, s[74:75]
.LBB4_8777:                             ;   in Loop: Header=BB4_8509 Depth=3
	s_or_b64 exec, exec, s[72:73]
.LBB4_8778:                             ;   in Loop: Header=BB4_8509 Depth=3
	s_or_b64 exec, exec, s[70:71]
	v_cmp_ne_u16_e32 vcc, 0, v20
	s_and_saveexec_b64 s[70:71], vcc
	s_cbranch_execz .LBB4_8786
; %bb.8779:                             ;   in Loop: Header=BB4_8509 Depth=3
	v_cmp_ne_u16_e32 vcc, s94, v20
	v_bfrev_b32_e32 v17, 1
	s_and_saveexec_b64 s[72:73], vcc
	s_cbranch_execz .LBB4_8785
; %bb.8780:                             ;   in Loop: Header=BB4_8509 Depth=3
	v_and_b32_e32 v17, 0x7c, v20
	v_and_b32_e32 v19, 3, v20
	v_cmp_ne_u32_e32 vcc, s95, v17
                                        ; implicit-def: $vgpr17
	s_and_saveexec_b64 s[74:75], vcc
	s_xor_b64 s[74:75], exec, s[74:75]
	s_cbranch_execz .LBB4_8782
; %bb.8781:                             ;   in Loop: Header=BB4_8509 Depth=3
	v_ffbh_u32_e32 v24, v19
	v_and_b32_e32 v17, 0xff, v20
	v_min_u32_e32 v24, 32, v24
	v_mov_b32_e32 v21, v43
	v_bfe_u32 v17, v17, 2, 5
	v_subrev_u32_e32 v26, 29, v24
	v_lshlrev_b64 v[28:29], v26, v[20:21]
	v_sub_u32_e32 v21, 30, v24
	v_cmp_eq_u32_e32 vcc, 0, v17
	v_cndmask_b32_e32 v17, v17, v21, vcc
	v_bfrev_b32_e32 v21, 28
	v_bfe_i32 v23, v20, 0, 16
	v_and_b32_e32 v24, 3, v28
	v_lshl_add_u32 v17, v17, 23, v21
	v_cndmask_b32_e32 v19, v19, v24, vcc
	v_and_or_b32 v17, v23, s96, v17
	v_lshl_or_b32 v17, v19, 21, v17
                                        ; implicit-def: $vgpr19
.LBB4_8782:                             ;   in Loop: Header=BB4_8509 Depth=3
	s_andn2_saveexec_b64 s[74:75], s[74:75]
; %bb.8783:                             ;   in Loop: Header=BB4_8509 Depth=3
	v_cmp_lt_i16_e32 vcc, -1, v20
	v_cndmask_b32_e32 v17, v6, v1, vcc
	v_cmp_eq_u32_e32 vcc, 0, v19
	v_mov_b32_e32 v19, 0x7f800001
	v_cndmask_b32_e32 v17, v19, v17, vcc
; %bb.8784:                             ;   in Loop: Header=BB4_8509 Depth=3
	s_or_b64 exec, exec, s[74:75]
.LBB4_8785:                             ;   in Loop: Header=BB4_8509 Depth=3
	s_or_b64 exec, exec, s[72:73]
.LBB4_8786:                             ;   in Loop: Header=BB4_8509 Depth=3
	s_or_b64 exec, exec, s[70:71]
	v_max_f32_e32 v17, v17, v17
	v_max_f32_e32 v15, v15, v15
	;; [unrolled: 1-line block ×3, first 2 shown]
	s_branch .LBB4_8805
.LBB4_8787:                             ;   in Loop: Header=BB4_8509 Depth=3
                                        ; implicit-def: $vgpr15
	s_cbranch_execz .LBB4_8805
; %bb.8788:                             ;   in Loop: Header=BB4_8509 Depth=3
	v_mov_b32_e32 v17, 0
	v_mov_b32_e32 v15, 0
	s_and_saveexec_b64 s[70:71], s[30:31]
	s_cbranch_execz .LBB4_8796
; %bb.8789:                             ;   in Loop: Header=BB4_8509 Depth=3
	v_cmp_ne_u16_e32 vcc, s94, v22
	v_bfrev_b32_e32 v15, 1
	s_and_saveexec_b64 s[30:31], vcc
	s_cbranch_execz .LBB4_8795
; %bb.8790:                             ;   in Loop: Header=BB4_8509 Depth=3
	v_and_b32_e32 v15, 0x7c, v13
	v_and_b32_e32 v19, 3, v13
	v_cmp_ne_u32_e32 vcc, s95, v15
                                        ; implicit-def: $vgpr15
	s_and_saveexec_b64 s[72:73], vcc
	s_xor_b64 s[72:73], exec, s[72:73]
	s_cbranch_execz .LBB4_8792
; %bb.8791:                             ;   in Loop: Header=BB4_8509 Depth=3
	v_ffbh_u32_e32 v21, v19
	v_bfe_u32 v13, v13, 2, 5
	v_min_u32_e32 v21, 32, v21
	v_mov_b32_e32 v23, v43
	v_subrev_u32_e32 v24, 29, v21
	v_sub_u32_e32 v21, 30, v21
	v_cmp_eq_u32_e32 vcc, 0, v13
	v_bfe_i32 v15, v22, 0, 16
	v_lshlrev_b64 v[22:23], v24, v[22:23]
	v_cndmask_b32_e32 v13, v13, v21, vcc
	v_bfrev_b32_e32 v21, 28
	v_and_b32_e32 v22, 3, v22
	v_lshl_add_u32 v13, v13, 23, v21
	v_cndmask_b32_e32 v19, v19, v22, vcc
	v_and_or_b32 v13, v15, s96, v13
	v_lshl_or_b32 v15, v19, 21, v13
                                        ; implicit-def: $vgpr19
                                        ; implicit-def: $vgpr22
.LBB4_8792:                             ;   in Loop: Header=BB4_8509 Depth=3
	s_andn2_saveexec_b64 s[72:73], s[72:73]
; %bb.8793:                             ;   in Loop: Header=BB4_8509 Depth=3
	v_cmp_lt_i16_e32 vcc, -1, v22
	v_cndmask_b32_e32 v13, v6, v1, vcc
	v_cmp_eq_u32_e32 vcc, 0, v19
	v_mov_b32_e32 v15, 0x7f800001
	v_cndmask_b32_e32 v15, v15, v13, vcc
; %bb.8794:                             ;   in Loop: Header=BB4_8509 Depth=3
	s_or_b64 exec, exec, s[72:73]
.LBB4_8795:                             ;   in Loop: Header=BB4_8509 Depth=3
	s_or_b64 exec, exec, s[30:31]
.LBB4_8796:                             ;   in Loop: Header=BB4_8509 Depth=3
	s_or_b64 exec, exec, s[70:71]
	v_cmp_ne_u16_e32 vcc, 0, v20
	s_and_saveexec_b64 s[30:31], vcc
	s_cbranch_execz .LBB4_8804
; %bb.8797:                             ;   in Loop: Header=BB4_8509 Depth=3
	v_cmp_ne_u16_e32 vcc, s94, v20
	v_bfrev_b32_e32 v17, 1
	s_and_saveexec_b64 s[70:71], vcc
	s_cbranch_execz .LBB4_8803
; %bb.8798:                             ;   in Loop: Header=BB4_8509 Depth=3
	v_and_b32_e32 v17, 0x7c, v20
	v_and_b32_e32 v13, 3, v20
	v_cmp_ne_u32_e32 vcc, s95, v17
                                        ; implicit-def: $vgpr17
	s_and_saveexec_b64 s[72:73], vcc
	s_xor_b64 s[72:73], exec, s[72:73]
	s_cbranch_execz .LBB4_8800
; %bb.8799:                             ;   in Loop: Header=BB4_8509 Depth=3
	v_ffbh_u32_e32 v22, v13
	v_min_u32_e32 v22, 32, v22
	v_and_b32_e32 v17, 0xff, v20
	v_mov_b32_e32 v21, v43
	v_subrev_u32_e32 v23, 29, v22
	v_bfe_u32 v17, v17, 2, 5
	v_bfe_i32 v19, v20, 0, 16
	v_lshlrev_b64 v[20:21], v23, v[20:21]
	v_sub_u32_e32 v21, 30, v22
	v_and_b32_e32 v20, 3, v20
	v_cmp_eq_u32_e32 vcc, 0, v17
	v_cndmask_b32_e32 v17, v17, v21, vcc
	v_cndmask_b32_e32 v13, v13, v20, vcc
	v_bfrev_b32_e32 v20, 28
	v_lshl_add_u32 v17, v17, 23, v20
	v_and_or_b32 v17, v19, s96, v17
	v_lshl_or_b32 v17, v13, 21, v17
                                        ; implicit-def: $vgpr13
                                        ; implicit-def: $vgpr20
.LBB4_8800:                             ;   in Loop: Header=BB4_8509 Depth=3
	s_andn2_saveexec_b64 s[72:73], s[72:73]
; %bb.8801:                             ;   in Loop: Header=BB4_8509 Depth=3
	v_cmp_lt_i16_e32 vcc, -1, v20
	v_cndmask_b32_e32 v17, v6, v1, vcc
	v_cmp_eq_u32_e32 vcc, 0, v13
	v_mov_b32_e32 v13, 0x7f800001
	v_cndmask_b32_e32 v17, v13, v17, vcc
; %bb.8802:                             ;   in Loop: Header=BB4_8509 Depth=3
	s_or_b64 exec, exec, s[72:73]
.LBB4_8803:                             ;   in Loop: Header=BB4_8509 Depth=3
	s_or_b64 exec, exec, s[70:71]
.LBB4_8804:                             ;   in Loop: Header=BB4_8509 Depth=3
	s_or_b64 exec, exec, s[30:31]
	v_max_f32_e32 v13, v17, v17
	v_max_f32_e32 v15, v15, v15
	v_min_f32_e32 v15, v15, v13
.LBB4_8805:                             ;   in Loop: Header=BB4_8509 Depth=3
	v_and_b32_sdwa v13, v15, s97 dst_sel:DWORD dst_unused:UNUSED_PAD src0_sel:BYTE_3 src1_sel:DWORD
	v_and_b32_e32 v22, 0x7f800000, v15
	v_mov_b32_e32 v23, v43
	v_and_b32_e32 v42, 0x7fffff, v15
	v_or_b32_e32 v21, 0x7b, v13
	v_cmp_ne_u64_e32 vcc, s[52:53], v[22:23]
	s_and_saveexec_b64 s[30:31], vcc
	s_xor_b64 s[70:71], exec, s[30:31]
	s_cbranch_execz .LBB4_8819
; %bb.8806:                             ;   in Loop: Header=BB4_8509 Depth=3
	v_and_b32_e32 v22, 0x7fffffff, v15
	v_mov_b32_e32 v23, v43
	v_cmp_gt_u64_e32 vcc, s[54:55], v[22:23]
	s_and_saveexec_b64 s[30:31], vcc
	s_xor_b64 s[72:73], exec, s[30:31]
	s_cbranch_execz .LBB4_8818
; %bb.8807:                             ;   in Loop: Header=BB4_8509 Depth=3
	v_cmp_ne_u32_e32 vcc, 0, v15
	v_mov_b32_e32 v21, 0
	s_and_saveexec_b64 s[74:75], vcc
	s_cbranch_execz .LBB4_8817
; %bb.8808:                             ;   in Loop: Header=BB4_8509 Depth=3
	v_bfe_u32 v15, v15, 23, 8
	v_cmp_eq_u32_e32 vcc, 0, v15
	v_add_u32_e32 v17, 0xffffff81, v15
	v_cmp_gt_u32_e64 s[30:31], s38, v15
	v_sub_u32_e32 v15, 0x71, v15
	v_mov_b32_e32 v20, 0xffffff82
	v_cndmask_b32_e64 v15, 0, v15, s[30:31]
	v_cndmask_b32_e32 v17, v17, v20, vcc
	v_mov_b32_e32 v20, 0x70
	v_or_b32_e32 v19, 0x800000, v42
	v_cndmask_b32_e32 v15, v15, v20, vcc
	v_cndmask_b32_e32 v42, v19, v42, vcc
	v_add_u32_e32 v19, 21, v15
	v_lshlrev_b64 v[20:21], v19, -1
	v_not_b32_e32 v19, v21
	v_not_b32_e32 v20, v20
	v_and_b32_e32 v21, 0, v19
	v_add_u32_e32 v19, 20, v15
	v_and_b32_e32 v20, v42, v20
	v_lshlrev_b64 v[22:23], v19, 1
	v_cmp_eq_u64_e32 vcc, v[20:21], v[22:23]
	v_lshrrev_b64 v[20:21], v15, v[42:43]
	v_lshrrev_b32_e32 v19, 23, v20
	v_add3_u32 v19, v15, v17, v19
	v_bfe_u32 v15, v20, 21, 1
	v_add_u32_e32 v15, -1, v15
	v_cndmask_b32_e32 v15, 0, v15, vcc
	v_add_u32_e32 v15, v15, v20
	v_and_b32_e32 v15, 0x1fffff, v15
	v_add_co_u32_e32 v20, vcc, v15, v20
	v_add_u32_e32 v17, 14, v19
	v_addc_co_u32_e32 v21, vcc, 0, v21, vcc
	v_cmp_ne_u32_e32 vcc, 0, v17
                                        ; implicit-def: $vgpr15
	s_and_saveexec_b64 s[30:31], vcc
	s_xor_b64 s[30:31], exec, s[30:31]
; %bb.8809:                             ;   in Loop: Header=BB4_8509 Depth=3
	v_add_u32_e32 v15, 15, v19
	v_cmp_lt_u64_e32 vcc, s[56:57], v[20:21]
	v_cndmask_b32_e32 v15, v17, v15, vcc
	v_cndmask_b32_e64 v17, 0, 1, vcc
	v_lshrrev_b64 v[20:21], v17, v[20:21]
; %bb.8810:                             ;   in Loop: Header=BB4_8509 Depth=3
	s_andn2_saveexec_b64 vcc, s[30:31]
; %bb.8811:                             ;   in Loop: Header=BB4_8509 Depth=3
	v_bfe_u32 v15, v20, 23, 1
; %bb.8812:                             ;   in Loop: Header=BB4_8509 Depth=3
	s_or_b64 exec, exec, vcc
	v_lshrrev_b64 v[20:21], 21, v[20:21]
	v_cmp_gt_i32_e32 vcc, 32, v15
	v_cndmask_b32_e32 v21, 0, v21, vcc
	v_cndmask_b32_e32 v20, 3, v20, vcc
	v_cmp_ne_u32_e32 vcc, 0, v15
	v_cmp_ne_u64_e64 s[30:31], 0, v[20:21]
	s_or_b64 vcc, vcc, s[30:31]
                                        ; implicit-def: $vgpr21
	s_and_saveexec_b64 s[30:31], vcc
	s_xor_b64 vcc, exec, s[30:31]
; %bb.8813:                             ;   in Loop: Header=BB4_8509 Depth=3
	v_min_i32_e32 v15, 31, v15
	v_lshl_or_b32 v13, v15, 2, v13
	v_and_or_b32 v21, v20, 3, v13
                                        ; implicit-def: $vgpr13
; %bb.8814:                             ;   in Loop: Header=BB4_8509 Depth=3
	s_andn2_saveexec_b64 vcc, vcc
; %bb.8815:                             ;   in Loop: Header=BB4_8509 Depth=3
	v_mov_b32_e32 v21, v13
; %bb.8816:                             ;   in Loop: Header=BB4_8509 Depth=3
	s_or_b64 exec, exec, vcc
.LBB4_8817:                             ;   in Loop: Header=BB4_8509 Depth=3
	s_or_b64 exec, exec, s[74:75]
.LBB4_8818:                             ;   in Loop: Header=BB4_8509 Depth=3
	s_andn2_saveexec_b64 vcc, s[72:73]
	s_or_b64 exec, exec, vcc
                                        ; implicit-def: $vgpr15
.LBB4_8819:                             ;   in Loop: Header=BB4_8509 Depth=3
	s_andn2_saveexec_b64 s[30:31], s[70:71]
; %bb.8820:                             ;   in Loop: Header=BB4_8509 Depth=3
	v_or_b32_sdwa v13, v15, s39 dst_sel:DWORD dst_unused:UNUSED_PAD src0_sel:BYTE_3 src1_sel:DWORD
	v_cmp_eq_u64_e32 vcc, 0, v[42:43]
	v_cndmask_b32_e32 v21, v13, v21, vcc
; %bb.8821:                             ;   in Loop: Header=BB4_8509 Depth=3
	s_or_b64 exec, exec, s[30:31]
	v_and_b32_e32 v13, 0xff, v18
	s_and_b64 vcc, exec, s[28:29]
	v_cmp_ne_u16_e64 s[30:31], 0, v18
	s_cbranch_vccnz .LBB4_8839
; %bb.8822:                             ;   in Loop: Header=BB4_8509 Depth=3
	v_mov_b32_e32 v17, 0
	v_mov_b32_e32 v15, 0
	s_and_saveexec_b64 s[70:71], s[30:31]
	s_cbranch_execz .LBB4_8830
; %bb.8823:                             ;   in Loop: Header=BB4_8509 Depth=3
	v_cmp_ne_u16_e32 vcc, s94, v18
	v_bfrev_b32_e32 v15, 1
	s_and_saveexec_b64 s[72:73], vcc
	s_cbranch_execz .LBB4_8829
; %bb.8824:                             ;   in Loop: Header=BB4_8509 Depth=3
	v_and_b32_e32 v15, 0x7c, v13
	v_and_b32_e32 v20, 3, v13
	v_cmp_ne_u32_e32 vcc, s95, v15
                                        ; implicit-def: $vgpr15
	s_and_saveexec_b64 s[74:75], vcc
	s_xor_b64 s[74:75], exec, s[74:75]
	s_cbranch_execz .LBB4_8826
; %bb.8825:                             ;   in Loop: Header=BB4_8509 Depth=3
	v_ffbh_u32_e32 v22, v20
	v_min_u32_e32 v26, 32, v22
	v_mov_b32_e32 v19, v43
	v_subrev_u32_e32 v22, 29, v26
	v_bfe_u32 v15, v13, 2, 5
	v_lshlrev_b64 v[22:23], v22, v[18:19]
	v_sub_u32_e32 v19, 30, v26
	v_and_b32_e32 v22, 3, v22
	v_cmp_eq_u32_e32 vcc, 0, v15
	v_cndmask_b32_e32 v15, v15, v19, vcc
	v_cndmask_b32_e32 v19, v20, v22, vcc
	v_bfrev_b32_e32 v20, 28
	v_bfe_i32 v24, v18, 0, 16
	v_lshl_add_u32 v15, v15, 23, v20
	v_and_or_b32 v15, v24, s96, v15
	v_lshl_or_b32 v15, v19, 21, v15
                                        ; implicit-def: $vgpr20
.LBB4_8826:                             ;   in Loop: Header=BB4_8509 Depth=3
	s_andn2_saveexec_b64 s[74:75], s[74:75]
; %bb.8827:                             ;   in Loop: Header=BB4_8509 Depth=3
	v_cmp_lt_i16_e32 vcc, -1, v18
	v_cndmask_b32_e32 v15, v6, v1, vcc
	v_cmp_eq_u32_e32 vcc, 0, v20
	v_mov_b32_e32 v19, 0x7f800001
	v_cndmask_b32_e32 v15, v19, v15, vcc
; %bb.8828:                             ;   in Loop: Header=BB4_8509 Depth=3
	s_or_b64 exec, exec, s[74:75]
.LBB4_8829:                             ;   in Loop: Header=BB4_8509 Depth=3
	s_or_b64 exec, exec, s[72:73]
.LBB4_8830:                             ;   in Loop: Header=BB4_8509 Depth=3
	s_or_b64 exec, exec, s[70:71]
	v_cmp_ne_u16_e32 vcc, 0, v16
	s_and_saveexec_b64 s[70:71], vcc
	s_cbranch_execz .LBB4_8838
; %bb.8831:                             ;   in Loop: Header=BB4_8509 Depth=3
	v_cmp_ne_u16_e32 vcc, s94, v16
	v_bfrev_b32_e32 v17, 1
	s_and_saveexec_b64 s[72:73], vcc
	s_cbranch_execz .LBB4_8837
; %bb.8832:                             ;   in Loop: Header=BB4_8509 Depth=3
	v_and_b32_e32 v17, 0x7c, v16
	v_and_b32_e32 v19, 3, v16
	v_cmp_ne_u32_e32 vcc, s95, v17
                                        ; implicit-def: $vgpr17
	s_and_saveexec_b64 s[74:75], vcc
	s_xor_b64 s[74:75], exec, s[74:75]
	s_cbranch_execz .LBB4_8834
; %bb.8833:                             ;   in Loop: Header=BB4_8509 Depth=3
	v_ffbh_u32_e32 v22, v19
	v_and_b32_e32 v20, 0xff, v16
	v_min_u32_e32 v26, 32, v22
	v_mov_b32_e32 v17, v43
	v_bfe_u32 v20, v20, 2, 5
	v_subrev_u32_e32 v22, 29, v26
	v_lshlrev_b64 v[22:23], v22, v[16:17]
	v_sub_u32_e32 v17, 30, v26
	v_cmp_eq_u32_e32 vcc, 0, v20
	v_cndmask_b32_e32 v17, v20, v17, vcc
	v_bfrev_b32_e32 v20, 28
	v_bfe_i32 v24, v16, 0, 16
	v_and_b32_e32 v22, 3, v22
	v_lshl_add_u32 v17, v17, 23, v20
	v_cndmask_b32_e32 v19, v19, v22, vcc
	v_and_or_b32 v17, v24, s96, v17
	v_lshl_or_b32 v17, v19, 21, v17
                                        ; implicit-def: $vgpr19
.LBB4_8834:                             ;   in Loop: Header=BB4_8509 Depth=3
	s_andn2_saveexec_b64 s[74:75], s[74:75]
; %bb.8835:                             ;   in Loop: Header=BB4_8509 Depth=3
	v_cmp_lt_i16_e32 vcc, -1, v16
	v_cndmask_b32_e32 v17, v6, v1, vcc
	v_cmp_eq_u32_e32 vcc, 0, v19
	v_mov_b32_e32 v19, 0x7f800001
	v_cndmask_b32_e32 v17, v19, v17, vcc
; %bb.8836:                             ;   in Loop: Header=BB4_8509 Depth=3
	s_or_b64 exec, exec, s[74:75]
.LBB4_8837:                             ;   in Loop: Header=BB4_8509 Depth=3
	s_or_b64 exec, exec, s[72:73]
.LBB4_8838:                             ;   in Loop: Header=BB4_8509 Depth=3
	s_or_b64 exec, exec, s[70:71]
	v_max_f32_e32 v17, v17, v17
	v_max_f32_e32 v15, v15, v15
	;; [unrolled: 1-line block ×3, first 2 shown]
	s_branch .LBB4_8857
.LBB4_8839:                             ;   in Loop: Header=BB4_8509 Depth=3
                                        ; implicit-def: $vgpr15
	s_cbranch_execz .LBB4_8857
; %bb.8840:                             ;   in Loop: Header=BB4_8509 Depth=3
	v_mov_b32_e32 v17, 0
	v_mov_b32_e32 v15, 0
	s_and_saveexec_b64 s[70:71], s[30:31]
	s_cbranch_execz .LBB4_8848
; %bb.8841:                             ;   in Loop: Header=BB4_8509 Depth=3
	v_cmp_ne_u16_e32 vcc, s94, v18
	v_bfrev_b32_e32 v15, 1
	s_and_saveexec_b64 s[30:31], vcc
	s_cbranch_execz .LBB4_8847
; %bb.8842:                             ;   in Loop: Header=BB4_8509 Depth=3
	v_and_b32_e32 v15, 0x7c, v13
	v_and_b32_e32 v20, 3, v13
	v_cmp_ne_u32_e32 vcc, s95, v15
                                        ; implicit-def: $vgpr15
	s_and_saveexec_b64 s[72:73], vcc
	s_xor_b64 s[72:73], exec, s[72:73]
	s_cbranch_execz .LBB4_8844
; %bb.8843:                             ;   in Loop: Header=BB4_8509 Depth=3
	v_ffbh_u32_e32 v22, v20
	v_min_u32_e32 v22, 32, v22
	v_mov_b32_e32 v19, v43
	v_subrev_u32_e32 v23, 29, v22
	v_bfe_u32 v13, v13, 2, 5
	v_bfe_i32 v15, v18, 0, 16
	v_lshlrev_b64 v[18:19], v23, v[18:19]
	v_sub_u32_e32 v19, 30, v22
	v_cmp_eq_u32_e32 vcc, 0, v13
	v_cndmask_b32_e32 v13, v13, v19, vcc
	v_bfrev_b32_e32 v19, 28
	v_and_b32_e32 v18, 3, v18
	v_lshl_add_u32 v13, v13, 23, v19
	v_cndmask_b32_e32 v18, v20, v18, vcc
	v_and_or_b32 v13, v15, s96, v13
	v_lshl_or_b32 v15, v18, 21, v13
                                        ; implicit-def: $vgpr20
                                        ; implicit-def: $vgpr18
.LBB4_8844:                             ;   in Loop: Header=BB4_8509 Depth=3
	s_andn2_saveexec_b64 s[72:73], s[72:73]
; %bb.8845:                             ;   in Loop: Header=BB4_8509 Depth=3
	v_cmp_lt_i16_e32 vcc, -1, v18
	v_cndmask_b32_e32 v13, v6, v1, vcc
	v_cmp_eq_u32_e32 vcc, 0, v20
	v_mov_b32_e32 v15, 0x7f800001
	v_cndmask_b32_e32 v15, v15, v13, vcc
; %bb.8846:                             ;   in Loop: Header=BB4_8509 Depth=3
	s_or_b64 exec, exec, s[72:73]
.LBB4_8847:                             ;   in Loop: Header=BB4_8509 Depth=3
	s_or_b64 exec, exec, s[30:31]
.LBB4_8848:                             ;   in Loop: Header=BB4_8509 Depth=3
	s_or_b64 exec, exec, s[70:71]
	v_cmp_ne_u16_e32 vcc, 0, v16
	s_and_saveexec_b64 s[30:31], vcc
	s_cbranch_execz .LBB4_8856
; %bb.8849:                             ;   in Loop: Header=BB4_8509 Depth=3
	v_cmp_ne_u16_e32 vcc, s94, v16
	v_bfrev_b32_e32 v17, 1
	s_and_saveexec_b64 s[70:71], vcc
	s_cbranch_execz .LBB4_8855
; %bb.8850:                             ;   in Loop: Header=BB4_8509 Depth=3
	v_and_b32_e32 v17, 0x7c, v16
	v_and_b32_e32 v13, 3, v16
	v_cmp_ne_u32_e32 vcc, s95, v17
                                        ; implicit-def: $vgpr17
	s_and_saveexec_b64 s[72:73], vcc
	s_xor_b64 s[72:73], exec, s[72:73]
	s_cbranch_execz .LBB4_8852
; %bb.8851:                             ;   in Loop: Header=BB4_8509 Depth=3
	v_ffbh_u32_e32 v20, v13
	v_min_u32_e32 v20, 32, v20
	v_and_b32_e32 v18, 0xff, v16
	v_mov_b32_e32 v17, v43
	v_subrev_u32_e32 v22, 29, v20
	v_bfe_u32 v18, v18, 2, 5
	v_bfe_i32 v19, v16, 0, 16
	v_lshlrev_b64 v[16:17], v22, v[16:17]
	v_sub_u32_e32 v17, 30, v20
	v_and_b32_e32 v16, 3, v16
	v_cmp_eq_u32_e32 vcc, 0, v18
	v_cndmask_b32_e32 v17, v18, v17, vcc
	v_cndmask_b32_e32 v13, v13, v16, vcc
	v_bfrev_b32_e32 v16, 28
	v_lshl_add_u32 v16, v17, 23, v16
	v_and_or_b32 v16, v19, s96, v16
	v_lshl_or_b32 v17, v13, 21, v16
                                        ; implicit-def: $vgpr13
                                        ; implicit-def: $vgpr16
.LBB4_8852:                             ;   in Loop: Header=BB4_8509 Depth=3
	s_andn2_saveexec_b64 s[72:73], s[72:73]
; %bb.8853:                             ;   in Loop: Header=BB4_8509 Depth=3
	v_cmp_lt_i16_e32 vcc, -1, v16
	v_cndmask_b32_e32 v16, v6, v1, vcc
	v_cmp_eq_u32_e32 vcc, 0, v13
	v_mov_b32_e32 v13, 0x7f800001
	v_cndmask_b32_e32 v17, v13, v16, vcc
; %bb.8854:                             ;   in Loop: Header=BB4_8509 Depth=3
	s_or_b64 exec, exec, s[72:73]
.LBB4_8855:                             ;   in Loop: Header=BB4_8509 Depth=3
	s_or_b64 exec, exec, s[70:71]
.LBB4_8856:                             ;   in Loop: Header=BB4_8509 Depth=3
	s_or_b64 exec, exec, s[30:31]
	v_max_f32_e32 v13, v17, v17
	v_max_f32_e32 v15, v15, v15
	v_min_f32_e32 v15, v15, v13
.LBB4_8857:                             ;   in Loop: Header=BB4_8509 Depth=3
	v_and_b32_sdwa v13, v15, s97 dst_sel:DWORD dst_unused:UNUSED_PAD src0_sel:BYTE_3 src1_sel:DWORD
	v_and_b32_e32 v18, 0x7f800000, v15
	v_mov_b32_e32 v19, v43
	v_and_b32_e32 v42, 0x7fffff, v15
	v_or_b32_e32 v17, 0x7b, v13
	v_cmp_ne_u64_e32 vcc, s[52:53], v[18:19]
	s_and_saveexec_b64 s[30:31], vcc
	s_xor_b64 s[70:71], exec, s[30:31]
	s_cbranch_execz .LBB4_8871
; %bb.8858:                             ;   in Loop: Header=BB4_8509 Depth=3
	v_and_b32_e32 v18, 0x7fffffff, v15
	v_mov_b32_e32 v19, v43
	v_cmp_gt_u64_e32 vcc, s[54:55], v[18:19]
	s_and_saveexec_b64 s[30:31], vcc
	s_xor_b64 s[72:73], exec, s[30:31]
	s_cbranch_execz .LBB4_8870
; %bb.8859:                             ;   in Loop: Header=BB4_8509 Depth=3
	v_cmp_ne_u32_e32 vcc, 0, v15
	v_mov_b32_e32 v17, 0
	s_and_saveexec_b64 s[74:75], vcc
	s_cbranch_execz .LBB4_8869
; %bb.8860:                             ;   in Loop: Header=BB4_8509 Depth=3
	v_bfe_u32 v15, v15, 23, 8
	v_cmp_eq_u32_e32 vcc, 0, v15
	v_add_u32_e32 v16, 0xffffff81, v15
	v_cmp_gt_u32_e64 s[30:31], s38, v15
	v_sub_u32_e32 v15, 0x71, v15
	v_mov_b32_e32 v18, 0xffffff82
	v_cndmask_b32_e64 v15, 0, v15, s[30:31]
	v_cndmask_b32_e32 v20, v16, v18, vcc
	v_mov_b32_e32 v16, 0x70
	v_cndmask_b32_e32 v15, v15, v16, vcc
	v_or_b32_e32 v17, 0x800000, v42
	v_add_u32_e32 v16, 21, v15
	v_cndmask_b32_e32 v42, v17, v42, vcc
	v_lshlrev_b64 v[16:17], v16, -1
	v_not_b32_e32 v17, v17
	v_not_b32_e32 v16, v16
	v_add_u32_e32 v18, 20, v15
	v_and_b32_e32 v17, 0, v17
	v_and_b32_e32 v16, v42, v16
	v_lshlrev_b64 v[18:19], v18, 1
	v_cmp_eq_u64_e32 vcc, v[16:17], v[18:19]
	v_lshrrev_b64 v[16:17], v15, v[42:43]
	v_lshrrev_b32_e32 v18, 23, v16
	v_add3_u32 v19, v15, v20, v18
	v_bfe_u32 v15, v16, 21, 1
	v_add_u32_e32 v15, -1, v15
	v_cndmask_b32_e32 v15, 0, v15, vcc
	v_add_u32_e32 v15, v15, v16
	v_and_b32_e32 v15, 0x1fffff, v15
	v_add_co_u32_e32 v16, vcc, v15, v16
	v_add_u32_e32 v18, 14, v19
	v_addc_co_u32_e32 v17, vcc, 0, v17, vcc
	v_cmp_ne_u32_e32 vcc, 0, v18
                                        ; implicit-def: $vgpr15
	s_and_saveexec_b64 s[30:31], vcc
	s_xor_b64 s[30:31], exec, s[30:31]
; %bb.8861:                             ;   in Loop: Header=BB4_8509 Depth=3
	v_add_u32_e32 v15, 15, v19
	v_cmp_lt_u64_e32 vcc, s[56:57], v[16:17]
	v_cndmask_b32_e32 v15, v18, v15, vcc
	v_cndmask_b32_e64 v18, 0, 1, vcc
	v_lshrrev_b64 v[16:17], v18, v[16:17]
; %bb.8862:                             ;   in Loop: Header=BB4_8509 Depth=3
	s_andn2_saveexec_b64 vcc, s[30:31]
; %bb.8863:                             ;   in Loop: Header=BB4_8509 Depth=3
	v_bfe_u32 v15, v16, 23, 1
; %bb.8864:                             ;   in Loop: Header=BB4_8509 Depth=3
	s_or_b64 exec, exec, vcc
	v_lshrrev_b64 v[16:17], 21, v[16:17]
	v_cmp_gt_i32_e32 vcc, 32, v15
	v_cndmask_b32_e32 v17, 0, v17, vcc
	v_cndmask_b32_e32 v16, 3, v16, vcc
	v_cmp_ne_u32_e32 vcc, 0, v15
	v_cmp_ne_u64_e64 s[30:31], 0, v[16:17]
	s_or_b64 vcc, vcc, s[30:31]
                                        ; implicit-def: $vgpr17
	s_and_saveexec_b64 s[30:31], vcc
	s_xor_b64 vcc, exec, s[30:31]
; %bb.8865:                             ;   in Loop: Header=BB4_8509 Depth=3
	v_min_i32_e32 v15, 31, v15
	v_lshl_or_b32 v13, v15, 2, v13
	v_and_or_b32 v17, v16, 3, v13
                                        ; implicit-def: $vgpr13
; %bb.8866:                             ;   in Loop: Header=BB4_8509 Depth=3
	s_andn2_saveexec_b64 vcc, vcc
; %bb.8867:                             ;   in Loop: Header=BB4_8509 Depth=3
	v_mov_b32_e32 v17, v13
; %bb.8868:                             ;   in Loop: Header=BB4_8509 Depth=3
	s_or_b64 exec, exec, vcc
.LBB4_8869:                             ;   in Loop: Header=BB4_8509 Depth=3
	s_or_b64 exec, exec, s[74:75]
.LBB4_8870:                             ;   in Loop: Header=BB4_8509 Depth=3
	s_andn2_saveexec_b64 vcc, s[72:73]
	s_or_b64 exec, exec, vcc
                                        ; implicit-def: $vgpr15
.LBB4_8871:                             ;   in Loop: Header=BB4_8509 Depth=3
	s_andn2_saveexec_b64 s[30:31], s[70:71]
; %bb.8872:                             ;   in Loop: Header=BB4_8509 Depth=3
	v_or_b32_sdwa v13, v15, s39 dst_sel:DWORD dst_unused:UNUSED_PAD src0_sel:BYTE_3 src1_sel:DWORD
	v_cmp_eq_u64_e32 vcc, 0, v[42:43]
	v_cndmask_b32_e32 v17, v13, v17, vcc
; %bb.8873:                             ;   in Loop: Header=BB4_8509 Depth=3
	s_or_b64 exec, exec, s[30:31]
	v_and_b32_e32 v16, 0xff, v14
	s_and_b64 vcc, exec, s[28:29]
	v_cmp_ne_u16_e64 s[28:29], 0, v14
	s_cbranch_vccnz .LBB4_8891
; %bb.8874:                             ;   in Loop: Header=BB4_8509 Depth=3
	v_mov_b32_e32 v13, 0
	v_mov_b32_e32 v15, 0
	s_and_saveexec_b64 s[30:31], s[28:29]
	s_cbranch_execz .LBB4_8882
; %bb.8875:                             ;   in Loop: Header=BB4_8509 Depth=3
	v_cmp_ne_u16_e32 vcc, s94, v14
	v_bfrev_b32_e32 v15, 1
	s_and_saveexec_b64 s[70:71], vcc
	s_cbranch_execz .LBB4_8881
; %bb.8876:                             ;   in Loop: Header=BB4_8509 Depth=3
	v_and_b32_e32 v15, 0x7c, v16
	v_and_b32_e32 v18, 3, v16
	v_cmp_ne_u32_e32 vcc, s95, v15
                                        ; implicit-def: $vgpr15
	s_and_saveexec_b64 s[72:73], vcc
	s_xor_b64 s[72:73], exec, s[72:73]
	s_cbranch_execz .LBB4_8878
; %bb.8877:                             ;   in Loop: Header=BB4_8509 Depth=3
	v_ffbh_u32_e32 v22, v18
	v_min_u32_e32 v24, 32, v22
	v_mov_b32_e32 v15, v43
	v_bfe_u32 v19, v16, 2, 5
	v_subrev_u32_e32 v22, 29, v24
	v_lshlrev_b64 v[22:23], v22, v[14:15]
	v_sub_u32_e32 v15, 30, v24
	v_cmp_eq_u32_e32 vcc, 0, v19
	v_cndmask_b32_e32 v15, v19, v15, vcc
	v_bfrev_b32_e32 v19, 28
	v_bfe_i32 v20, v14, 0, 16
	v_and_b32_e32 v22, 3, v22
	v_lshl_add_u32 v15, v15, 23, v19
	v_cndmask_b32_e32 v18, v18, v22, vcc
	v_and_or_b32 v15, v20, s96, v15
	v_lshl_or_b32 v15, v18, 21, v15
                                        ; implicit-def: $vgpr18
.LBB4_8878:                             ;   in Loop: Header=BB4_8509 Depth=3
	s_andn2_saveexec_b64 s[72:73], s[72:73]
; %bb.8879:                             ;   in Loop: Header=BB4_8509 Depth=3
	v_cmp_lt_i16_e32 vcc, -1, v14
	v_cndmask_b32_e32 v15, v6, v1, vcc
	v_cmp_eq_u32_e32 vcc, 0, v18
	v_mov_b32_e32 v18, 0x7f800001
	v_cndmask_b32_e32 v15, v18, v15, vcc
; %bb.8880:                             ;   in Loop: Header=BB4_8509 Depth=3
	s_or_b64 exec, exec, s[72:73]
.LBB4_8881:                             ;   in Loop: Header=BB4_8509 Depth=3
	s_or_b64 exec, exec, s[70:71]
.LBB4_8882:                             ;   in Loop: Header=BB4_8509 Depth=3
	s_or_b64 exec, exec, s[30:31]
	v_cmp_ne_u16_e32 vcc, 0, v12
	s_and_saveexec_b64 s[30:31], vcc
	s_cbranch_execz .LBB4_8890
; %bb.8883:                             ;   in Loop: Header=BB4_8509 Depth=3
	v_cmp_ne_u16_e32 vcc, s94, v12
	v_bfrev_b32_e32 v13, 1
	s_and_saveexec_b64 s[70:71], vcc
	s_cbranch_execz .LBB4_8889
; %bb.8884:                             ;   in Loop: Header=BB4_8509 Depth=3
	v_and_b32_e32 v13, 0x7c, v12
	v_and_b32_e32 v18, 3, v12
	v_cmp_ne_u32_e32 vcc, s95, v13
                                        ; implicit-def: $vgpr13
	s_and_saveexec_b64 s[72:73], vcc
	s_xor_b64 s[72:73], exec, s[72:73]
	s_cbranch_execz .LBB4_8886
; %bb.8885:                             ;   in Loop: Header=BB4_8509 Depth=3
	v_ffbh_u32_e32 v22, v18
	v_and_b32_e32 v19, 0xff, v12
	v_min_u32_e32 v24, 32, v22
	v_mov_b32_e32 v13, v43
	v_bfe_u32 v19, v19, 2, 5
	v_subrev_u32_e32 v22, 29, v24
	v_lshlrev_b64 v[22:23], v22, v[12:13]
	v_sub_u32_e32 v13, 30, v24
	v_cmp_eq_u32_e32 vcc, 0, v19
	v_cndmask_b32_e32 v13, v19, v13, vcc
	v_bfrev_b32_e32 v19, 28
	v_bfe_i32 v20, v12, 0, 16
	v_and_b32_e32 v22, 3, v22
	v_lshl_add_u32 v13, v13, 23, v19
	v_cndmask_b32_e32 v18, v18, v22, vcc
	v_and_or_b32 v13, v20, s96, v13
	v_lshl_or_b32 v13, v18, 21, v13
                                        ; implicit-def: $vgpr18
.LBB4_8886:                             ;   in Loop: Header=BB4_8509 Depth=3
	s_andn2_saveexec_b64 s[72:73], s[72:73]
; %bb.8887:                             ;   in Loop: Header=BB4_8509 Depth=3
	v_cmp_lt_i16_e32 vcc, -1, v12
	v_cndmask_b32_e32 v13, v6, v1, vcc
	v_cmp_eq_u32_e32 vcc, 0, v18
	v_mov_b32_e32 v18, 0x7f800001
	v_cndmask_b32_e32 v13, v18, v13, vcc
; %bb.8888:                             ;   in Loop: Header=BB4_8509 Depth=3
	s_or_b64 exec, exec, s[72:73]
.LBB4_8889:                             ;   in Loop: Header=BB4_8509 Depth=3
	s_or_b64 exec, exec, s[70:71]
.LBB4_8890:                             ;   in Loop: Header=BB4_8509 Depth=3
	s_or_b64 exec, exec, s[30:31]
	v_max_f32_e32 v13, v13, v13
	v_max_f32_e32 v15, v15, v15
	;; [unrolled: 1-line block ×3, first 2 shown]
	s_branch .LBB4_8909
.LBB4_8891:                             ;   in Loop: Header=BB4_8509 Depth=3
                                        ; implicit-def: $vgpr15
	s_cbranch_execz .LBB4_8909
; %bb.8892:                             ;   in Loop: Header=BB4_8509 Depth=3
	v_mov_b32_e32 v13, 0
	v_mov_b32_e32 v15, 0
	s_and_saveexec_b64 s[30:31], s[28:29]
	s_cbranch_execz .LBB4_8900
; %bb.8893:                             ;   in Loop: Header=BB4_8509 Depth=3
	v_cmp_ne_u16_e32 vcc, s94, v14
	v_bfrev_b32_e32 v15, 1
	s_and_saveexec_b64 s[28:29], vcc
	s_cbranch_execz .LBB4_8899
; %bb.8894:                             ;   in Loop: Header=BB4_8509 Depth=3
	v_and_b32_e32 v15, 0x7c, v16
	v_and_b32_e32 v18, 3, v16
	v_cmp_ne_u32_e32 vcc, s95, v15
                                        ; implicit-def: $vgpr15
	s_and_saveexec_b64 s[70:71], vcc
	s_xor_b64 s[70:71], exec, s[70:71]
	s_cbranch_execz .LBB4_8896
; %bb.8895:                             ;   in Loop: Header=BB4_8509 Depth=3
	v_ffbh_u32_e32 v20, v18
	v_min_u32_e32 v20, 32, v20
	v_mov_b32_e32 v15, v43
	v_subrev_u32_e32 v22, 29, v20
	v_bfe_u32 v16, v16, 2, 5
	v_bfe_i32 v19, v14, 0, 16
	v_lshlrev_b64 v[14:15], v22, v[14:15]
	v_sub_u32_e32 v15, 30, v20
	v_cmp_eq_u32_e32 vcc, 0, v16
	v_cndmask_b32_e32 v15, v16, v15, vcc
	v_bfrev_b32_e32 v16, 28
	v_and_b32_e32 v14, 3, v14
	v_lshl_add_u32 v15, v15, 23, v16
	v_cndmask_b32_e32 v14, v18, v14, vcc
	v_and_or_b32 v15, v19, s96, v15
	v_lshl_or_b32 v15, v14, 21, v15
                                        ; implicit-def: $vgpr18
                                        ; implicit-def: $vgpr14
.LBB4_8896:                             ;   in Loop: Header=BB4_8509 Depth=3
	s_andn2_saveexec_b64 s[70:71], s[70:71]
; %bb.8897:                             ;   in Loop: Header=BB4_8509 Depth=3
	v_cmp_lt_i16_e32 vcc, -1, v14
	v_cndmask_b32_e32 v14, v6, v1, vcc
	v_cmp_eq_u32_e32 vcc, 0, v18
	v_mov_b32_e32 v15, 0x7f800001
	v_cndmask_b32_e32 v15, v15, v14, vcc
; %bb.8898:                             ;   in Loop: Header=BB4_8509 Depth=3
	s_or_b64 exec, exec, s[70:71]
.LBB4_8899:                             ;   in Loop: Header=BB4_8509 Depth=3
	s_or_b64 exec, exec, s[28:29]
.LBB4_8900:                             ;   in Loop: Header=BB4_8509 Depth=3
	s_or_b64 exec, exec, s[30:31]
	v_cmp_ne_u16_e32 vcc, 0, v12
	s_and_saveexec_b64 s[28:29], vcc
	s_cbranch_execz .LBB4_8908
; %bb.8901:                             ;   in Loop: Header=BB4_8509 Depth=3
	v_cmp_ne_u16_e32 vcc, s94, v12
	v_bfrev_b32_e32 v13, 1
	s_and_saveexec_b64 s[30:31], vcc
	s_cbranch_execz .LBB4_8907
; %bb.8902:                             ;   in Loop: Header=BB4_8509 Depth=3
	v_and_b32_e32 v13, 0x7c, v12
	v_and_b32_e32 v14, 3, v12
	v_cmp_ne_u32_e32 vcc, s95, v13
                                        ; implicit-def: $vgpr13
	s_and_saveexec_b64 s[70:71], vcc
	s_xor_b64 s[70:71], exec, s[70:71]
	s_cbranch_execz .LBB4_8904
; %bb.8903:                             ;   in Loop: Header=BB4_8509 Depth=3
	v_ffbh_u32_e32 v19, v14
	v_min_u32_e32 v19, 32, v19
	v_and_b32_e32 v16, 0xff, v12
	v_mov_b32_e32 v13, v43
	v_subrev_u32_e32 v20, 29, v19
	v_bfe_u32 v16, v16, 2, 5
	v_bfe_i32 v18, v12, 0, 16
	v_lshlrev_b64 v[12:13], v20, v[12:13]
	v_sub_u32_e32 v13, 30, v19
	v_and_b32_e32 v12, 3, v12
	v_cmp_eq_u32_e32 vcc, 0, v16
	v_cndmask_b32_e32 v13, v16, v13, vcc
	v_cndmask_b32_e32 v12, v14, v12, vcc
	v_bfrev_b32_e32 v14, 28
	v_lshl_add_u32 v13, v13, 23, v14
	v_and_or_b32 v13, v18, s96, v13
	v_lshl_or_b32 v13, v12, 21, v13
                                        ; implicit-def: $vgpr14
                                        ; implicit-def: $vgpr12
.LBB4_8904:                             ;   in Loop: Header=BB4_8509 Depth=3
	s_andn2_saveexec_b64 s[70:71], s[70:71]
; %bb.8905:                             ;   in Loop: Header=BB4_8509 Depth=3
	v_cmp_lt_i16_e32 vcc, -1, v12
	v_cndmask_b32_e32 v12, v6, v1, vcc
	v_cmp_eq_u32_e32 vcc, 0, v14
	v_mov_b32_e32 v13, 0x7f800001
	v_cndmask_b32_e32 v13, v13, v12, vcc
; %bb.8906:                             ;   in Loop: Header=BB4_8509 Depth=3
	s_or_b64 exec, exec, s[70:71]
.LBB4_8907:                             ;   in Loop: Header=BB4_8509 Depth=3
	s_or_b64 exec, exec, s[30:31]
.LBB4_8908:                             ;   in Loop: Header=BB4_8509 Depth=3
	s_or_b64 exec, exec, s[28:29]
	v_max_f32_e32 v12, v13, v13
	v_max_f32_e32 v13, v15, v15
	v_min_f32_e32 v15, v13, v12
.LBB4_8909:                             ;   in Loop: Header=BB4_8509 Depth=3
	v_and_b32_sdwa v14, v15, s97 dst_sel:DWORD dst_unused:UNUSED_PAD src0_sel:BYTE_3 src1_sel:DWORD
	v_and_b32_e32 v18, 0x7f800000, v15
	v_mov_b32_e32 v19, v43
	v_and_b32_e32 v42, 0x7fffff, v15
	v_or_b32_e32 v13, 0x7b, v14
	v_cmp_ne_u64_e32 vcc, s[52:53], v[18:19]
	s_and_saveexec_b64 s[28:29], vcc
	s_xor_b64 s[30:31], exec, s[28:29]
	s_cbranch_execz .LBB4_8923
; %bb.8910:                             ;   in Loop: Header=BB4_8509 Depth=3
	v_and_b32_e32 v18, 0x7fffffff, v15
	v_mov_b32_e32 v19, v43
	v_cmp_gt_u64_e32 vcc, s[54:55], v[18:19]
	s_and_saveexec_b64 s[28:29], vcc
	s_xor_b64 s[70:71], exec, s[28:29]
	s_cbranch_execz .LBB4_8922
; %bb.8911:                             ;   in Loop: Header=BB4_8509 Depth=3
	v_cmp_ne_u32_e32 vcc, 0, v15
	v_mov_b32_e32 v13, 0
	s_and_saveexec_b64 s[72:73], vcc
	s_cbranch_execz .LBB4_8921
; %bb.8912:                             ;   in Loop: Header=BB4_8509 Depth=3
	v_bfe_u32 v12, v15, 23, 8
	v_cmp_eq_u32_e32 vcc, 0, v12
	v_add_u32_e32 v13, 0xffffff81, v12
	v_cmp_gt_u32_e64 s[28:29], s38, v12
	v_sub_u32_e32 v12, 0x71, v12
	v_mov_b32_e32 v16, 0xffffff82
	v_cndmask_b32_e64 v12, 0, v12, s[28:29]
	v_cndmask_b32_e32 v16, v13, v16, vcc
	v_mov_b32_e32 v13, 0x70
	v_cndmask_b32_e32 v20, v12, v13, vcc
	v_add_u32_e32 v12, 21, v20
	v_or_b32_e32 v15, 0x800000, v42
	v_lshlrev_b64 v[12:13], v12, -1
	v_cndmask_b32_e32 v42, v15, v42, vcc
	v_not_b32_e32 v13, v13
	v_not_b32_e32 v12, v12
	v_add_u32_e32 v15, 20, v20
	v_and_b32_e32 v13, 0, v13
	v_and_b32_e32 v12, v42, v12
	v_lshlrev_b64 v[18:19], v15, 1
	v_cmp_eq_u64_e32 vcc, v[12:13], v[18:19]
	v_lshrrev_b64 v[12:13], v20, v[42:43]
	v_lshrrev_b32_e32 v15, 23, v12
	v_add3_u32 v18, v20, v16, v15
	v_bfe_u32 v15, v12, 21, 1
	v_add_u32_e32 v15, -1, v15
	v_cndmask_b32_e32 v15, 0, v15, vcc
	v_add_u32_e32 v15, v15, v12
	v_and_b32_e32 v15, 0x1fffff, v15
	v_add_co_u32_e32 v12, vcc, v15, v12
	v_add_u32_e32 v16, 14, v18
	v_addc_co_u32_e32 v13, vcc, 0, v13, vcc
	v_cmp_ne_u32_e32 vcc, 0, v16
                                        ; implicit-def: $vgpr15
	s_and_saveexec_b64 s[28:29], vcc
	s_xor_b64 s[28:29], exec, s[28:29]
; %bb.8913:                             ;   in Loop: Header=BB4_8509 Depth=3
	v_add_u32_e32 v15, 15, v18
	v_cmp_lt_u64_e32 vcc, s[56:57], v[12:13]
	v_cndmask_b32_e32 v15, v16, v15, vcc
	v_cndmask_b32_e64 v16, 0, 1, vcc
	v_lshrrev_b64 v[12:13], v16, v[12:13]
; %bb.8914:                             ;   in Loop: Header=BB4_8509 Depth=3
	s_andn2_saveexec_b64 s[28:29], s[28:29]
; %bb.8915:                             ;   in Loop: Header=BB4_8509 Depth=3
	v_bfe_u32 v15, v12, 23, 1
; %bb.8916:                             ;   in Loop: Header=BB4_8509 Depth=3
	s_or_b64 exec, exec, s[28:29]
	v_lshrrev_b64 v[12:13], 21, v[12:13]
	v_cmp_gt_i32_e32 vcc, 32, v15
	v_cndmask_b32_e32 v13, 0, v13, vcc
	v_cndmask_b32_e32 v12, 3, v12, vcc
	v_cmp_ne_u32_e32 vcc, 0, v15
	v_cmp_ne_u64_e64 s[28:29], 0, v[12:13]
	s_or_b64 s[28:29], vcc, s[28:29]
                                        ; implicit-def: $vgpr13
	s_and_saveexec_b64 vcc, s[28:29]
	s_xor_b64 s[28:29], exec, vcc
; %bb.8917:                             ;   in Loop: Header=BB4_8509 Depth=3
	v_min_i32_e32 v13, 31, v15
	v_lshl_or_b32 v13, v13, 2, v14
	v_and_or_b32 v13, v12, 3, v13
                                        ; implicit-def: $vgpr14
; %bb.8918:                             ;   in Loop: Header=BB4_8509 Depth=3
	s_andn2_saveexec_b64 s[28:29], s[28:29]
; %bb.8919:                             ;   in Loop: Header=BB4_8509 Depth=3
	v_mov_b32_e32 v13, v14
; %bb.8920:                             ;   in Loop: Header=BB4_8509 Depth=3
	s_or_b64 exec, exec, s[28:29]
.LBB4_8921:                             ;   in Loop: Header=BB4_8509 Depth=3
	s_or_b64 exec, exec, s[72:73]
.LBB4_8922:                             ;   in Loop: Header=BB4_8509 Depth=3
	s_andn2_saveexec_b64 s[28:29], s[70:71]
	s_or_b64 exec, exec, s[28:29]
                                        ; implicit-def: $vgpr15
.LBB4_8923:                             ;   in Loop: Header=BB4_8509 Depth=3
	s_andn2_saveexec_b64 s[28:29], s[30:31]
	s_cbranch_execz .LBB4_8508
; %bb.8924:                             ;   in Loop: Header=BB4_8509 Depth=3
	v_or_b32_sdwa v12, v15, s39 dst_sel:DWORD dst_unused:UNUSED_PAD src0_sel:BYTE_3 src1_sel:DWORD
	v_cmp_eq_u64_e32 vcc, 0, v[42:43]
	v_cndmask_b32_e32 v13, v12, v13, vcc
	s_branch .LBB4_8508
.LBB4_8925:                             ;   in Loop: Header=BB4_3264 Depth=2
	s_or_b64 exec, exec, s[68:69]
	v_accvgpr_read_b32 v29, a9
	v_accvgpr_read_b32 v28, a8
	;; [unrolled: 1-line block ×3, first 2 shown]
.LBB4_8926:                             ;   in Loop: Header=BB4_3264 Depth=2
	s_or_b64 exec, exec, s[34:35]
	v_lshlrev_b32_e32 v3, 9, v3
	v_cmp_ne_u32_e32 vcc, v7, v3
	s_and_saveexec_b64 s[66:67], vcc
	s_cbranch_execz .LBB4_8982
; %bb.8927:                             ;   in Loop: Header=BB4_3264 Depth=2
	v_ashrrev_i32_e32 v4, 31, v30
	v_lshrrev_b32_e32 v4, 26, v4
	v_add_u32_e32 v4, v30, v4
	v_and_b32_e32 v4, 0xffffffc0, v4
	v_sub_u32_e32 v4, v30, v4
	v_lshlrev_b32_e32 v2, 6, v2
	v_sub_u32_e32 v2, v4, v2
	v_add_u32_e32 v3, v3, v2
	v_sub_u32_e32 v2, v7, v3
	v_cmp_lt_i32_e32 vcc, 0, v2
	s_and_b64 exec, exec, vcc
	s_cbranch_execz .LBB4_8982
; %bb.8928:                             ;   in Loop: Header=BB4_3264 Depth=2
	s_trap 2
	ds_read_b128 v[8:11], v0
	v_add_u32_e32 v0, v3, v0
	ds_read_b64 v[12:13], v0
	v_ashrrev_i32_e32 v3, 31, v0
	s_bitcmp1_b32 s85, 0
	s_waitcnt lgkmcnt(0)
	v_add_co_u32_e32 v4, vcc, v8, v0
	v_addc_co_u32_e32 v5, vcc, v9, v3, vcc
	v_add_co_u32_e32 v8, vcc, v10, v0
	v_addc_co_u32_e32 v9, vcc, v11, v3, vcc
	;; [unrolled: 2-line block ×3, first 2 shown]
	s_mov_b64 s[68:69], 0
	s_cselect_b64 s[70:71], -1, 0
	s_branch .LBB4_8930
.LBB4_8929:                             ;   in Loop: Header=BB4_8930 Depth=3
	s_or_b64 exec, exec, s[28:29]
	v_accvgpr_read_b32 v0, a36
	flat_store_byte v[10:11], v3 glc slc
	v_add_co_u32_e32 v4, vcc, v4, v0
	v_accvgpr_read_b32 v3, a37
	v_addc_co_u32_e32 v5, vcc, v5, v3, vcc
	v_add_co_u32_e32 v8, vcc, v8, v0
	v_addc_co_u32_e32 v9, vcc, v9, v3, vcc
	v_sub_u32_e32 v2, v2, v41
	v_cmp_gt_i32_e32 vcc, 1, v2
	s_or_b64 s[68:69], vcc, s[68:69]
	v_add_co_u32_e32 v10, vcc, v10, v0
	v_addc_co_u32_e32 v11, vcc, v11, v3, vcc
	s_andn2_b64 exec, exec, s[68:69]
	s_cbranch_execz .LBB4_8982
.LBB4_8930:                             ;   Parent Loop BB4_47 Depth=1
                                        ;     Parent Loop BB4_3264 Depth=2
                                        ; =>    This Inner Loop Header: Depth=3
	flat_load_ubyte v7, v[4:5] glc slc
	flat_load_ubyte v0, v[8:9] glc slc
	v_mov_b32_e32 v3, -1
	s_and_b64 vcc, exec, s[70:71]
	s_waitcnt vmcnt(0) lgkmcnt(0)
	v_bfe_i32 v12, v7, 0, 8
	v_lshlrev_b32_e32 v13, 24, v0
	v_cmp_gt_i16_sdwa s[34:35], sext(v0), v3 src0_sel:BYTE_0 src1_sel:DWORD
	v_cmp_ne_u16_e64 s[30:31], 0, v0
	v_and_b32_e32 v42, 0xffff, v0
	v_cmp_ne_u16_e64 s[28:29], s97, v0
	v_cndmask_b32_e64 v3, v6, v1, s[34:35]
	v_and_b32_e32 v14, 0xffff, v7
	v_cmp_ne_u16_e64 s[34:35], 0, v7
	v_and_b32_e32 v7, 0x80000000, v13
	s_cbranch_vccz .LBB4_8948
; %bb.8931:                             ;   in Loop: Header=BB4_8930 Depth=3
	v_mov_b32_e32 v15, 0
	v_mov_b32_e32 v13, 0
	s_and_saveexec_b64 s[72:73], s[34:35]
	s_cbranch_execz .LBB4_8939
; %bb.8932:                             ;   in Loop: Header=BB4_8930 Depth=3
	v_cmp_ne_u16_e32 vcc, s94, v12
	v_bfrev_b32_e32 v13, 1
	s_and_saveexec_b64 s[74:75], vcc
	s_cbranch_execz .LBB4_8938
; %bb.8933:                             ;   in Loop: Header=BB4_8930 Depth=3
	v_and_b32_e32 v13, 0x7c, v14
	v_and_b32_e32 v16, 3, v14
	v_cmp_ne_u32_e32 vcc, s95, v13
                                        ; implicit-def: $vgpr13
	s_and_saveexec_b64 s[76:77], vcc
	s_xor_b64 s[76:77], exec, s[76:77]
	s_cbranch_execz .LBB4_8935
; %bb.8934:                             ;   in Loop: Header=BB4_8930 Depth=3
	v_ffbh_u32_e32 v18, v16
	v_min_u32_e32 v21, 32, v18
	v_mov_b32_e32 v13, v43
	v_bfe_u32 v17, v14, 2, 5
	v_subrev_u32_e32 v18, 29, v21
	v_lshlrev_b64 v[18:19], v18, v[12:13]
	v_sub_u32_e32 v13, 30, v21
	v_cmp_eq_u32_e32 vcc, 0, v17
	v_cndmask_b32_e32 v13, v17, v13, vcc
	v_bfrev_b32_e32 v17, 28
	v_bfe_i32 v20, v12, 0, 16
	v_and_b32_e32 v18, 3, v18
	v_lshl_add_u32 v13, v13, 23, v17
	v_cndmask_b32_e32 v16, v16, v18, vcc
	v_and_or_b32 v13, v20, s96, v13
	v_lshl_or_b32 v13, v16, 21, v13
                                        ; implicit-def: $vgpr16
.LBB4_8935:                             ;   in Loop: Header=BB4_8930 Depth=3
	s_andn2_saveexec_b64 s[76:77], s[76:77]
; %bb.8936:                             ;   in Loop: Header=BB4_8930 Depth=3
	v_cmp_lt_i16_e32 vcc, -1, v12
	v_cndmask_b32_e32 v13, v6, v1, vcc
	v_cmp_eq_u32_e32 vcc, 0, v16
	v_mov_b32_e32 v16, 0x7f800001
	v_cndmask_b32_e32 v13, v16, v13, vcc
; %bb.8937:                             ;   in Loop: Header=BB4_8930 Depth=3
	s_or_b64 exec, exec, s[76:77]
.LBB4_8938:                             ;   in Loop: Header=BB4_8930 Depth=3
	s_or_b64 exec, exec, s[74:75]
.LBB4_8939:                             ;   in Loop: Header=BB4_8930 Depth=3
	s_or_b64 exec, exec, s[72:73]
	s_and_saveexec_b64 s[72:73], s[30:31]
	s_cbranch_execz .LBB4_8947
; %bb.8940:                             ;   in Loop: Header=BB4_8930 Depth=3
	v_bfrev_b32_e32 v15, 1
	s_and_saveexec_b64 s[74:75], s[28:29]
	s_cbranch_execz .LBB4_8946
; %bb.8941:                             ;   in Loop: Header=BB4_8930 Depth=3
	v_mov_b32_e32 v15, 3
	v_and_b32_sdwa v16, sext(v0), v15 dst_sel:DWORD dst_unused:UNUSED_PAD src0_sel:BYTE_0 src1_sel:DWORD
	v_and_b32_sdwa v15, sext(v0), s95 dst_sel:DWORD dst_unused:UNUSED_PAD src0_sel:BYTE_0 src1_sel:DWORD
	v_cmp_ne_u32_e32 vcc, s95, v15
                                        ; implicit-def: $vgpr15
	s_and_saveexec_b64 s[76:77], vcc
	s_xor_b64 s[76:77], exec, s[76:77]
	s_cbranch_execz .LBB4_8943
; %bb.8942:                             ;   in Loop: Header=BB4_8930 Depth=3
	v_ffbh_u32_e32 v17, v16
	v_min_u32_e32 v17, 32, v17
	v_and_b32_sdwa v15, sext(v0), s93 dst_sel:DWORD dst_unused:UNUSED_PAD src0_sel:BYTE_0 src1_sel:DWORD
	v_subrev_u32_e32 v18, 29, v17
	v_bfe_u32 v15, v15, 2, 5
	v_lshlrev_b64 v[18:19], v18, v[42:43]
	v_and_b32_e32 v18, 3, v18
	v_cmp_eq_u32_e32 vcc, 0, v15
	v_sub_u32_e32 v17, 30, v17
	v_cndmask_b32_e32 v16, v16, v18, vcc
	v_cndmask_b32_e32 v15, v15, v17, vcc
	v_lshlrev_b32_e32 v16, 21, v16
	v_lshl_or_b32 v15, v15, 23, v16
	v_add_u32_e32 v15, 0x38000000, v15
	v_or_b32_e32 v15, v15, v7
                                        ; implicit-def: $vgpr16
.LBB4_8943:                             ;   in Loop: Header=BB4_8930 Depth=3
	s_andn2_saveexec_b64 s[76:77], s[76:77]
; %bb.8944:                             ;   in Loop: Header=BB4_8930 Depth=3
	v_cmp_eq_u32_e32 vcc, 0, v16
	v_mov_b32_e32 v15, 0x7f800001
	v_cndmask_b32_e32 v15, v15, v3, vcc
; %bb.8945:                             ;   in Loop: Header=BB4_8930 Depth=3
	s_or_b64 exec, exec, s[76:77]
.LBB4_8946:                             ;   in Loop: Header=BB4_8930 Depth=3
	s_or_b64 exec, exec, s[74:75]
.LBB4_8947:                             ;   in Loop: Header=BB4_8930 Depth=3
	s_or_b64 exec, exec, s[72:73]
	v_max_f32_e32 v15, v15, v15
	v_max_f32_e32 v13, v13, v13
	;; [unrolled: 1-line block ×3, first 2 shown]
	s_branch .LBB4_8966
.LBB4_8948:                             ;   in Loop: Header=BB4_8930 Depth=3
                                        ; implicit-def: $vgpr13
	s_cbranch_execz .LBB4_8966
; %bb.8949:                             ;   in Loop: Header=BB4_8930 Depth=3
	v_mov_b32_e32 v15, 0
	v_mov_b32_e32 v13, 0
	s_and_saveexec_b64 s[72:73], s[34:35]
	s_cbranch_execz .LBB4_8957
; %bb.8950:                             ;   in Loop: Header=BB4_8930 Depth=3
	v_cmp_ne_u16_e32 vcc, s94, v12
	v_bfrev_b32_e32 v13, 1
	s_and_saveexec_b64 s[34:35], vcc
	s_cbranch_execz .LBB4_8956
; %bb.8951:                             ;   in Loop: Header=BB4_8930 Depth=3
	v_and_b32_e32 v13, 0x7c, v14
	v_and_b32_e32 v16, 3, v14
	v_cmp_ne_u32_e32 vcc, s95, v13
                                        ; implicit-def: $vgpr13
	s_and_saveexec_b64 s[74:75], vcc
	s_xor_b64 s[74:75], exec, s[74:75]
	s_cbranch_execz .LBB4_8953
; %bb.8952:                             ;   in Loop: Header=BB4_8930 Depth=3
	v_ffbh_u32_e32 v18, v16
	v_min_u32_e32 v18, 32, v18
	v_mov_b32_e32 v13, v43
	v_subrev_u32_e32 v19, 29, v18
	v_bfe_u32 v14, v14, 2, 5
	v_bfe_i32 v17, v12, 0, 16
	v_lshlrev_b64 v[12:13], v19, v[12:13]
	v_sub_u32_e32 v13, 30, v18
	v_cmp_eq_u32_e32 vcc, 0, v14
	v_cndmask_b32_e32 v13, v14, v13, vcc
	v_bfrev_b32_e32 v14, 28
	v_and_b32_e32 v12, 3, v12
	v_lshl_add_u32 v13, v13, 23, v14
	v_cndmask_b32_e32 v12, v16, v12, vcc
	v_and_or_b32 v13, v17, s96, v13
	v_lshl_or_b32 v13, v12, 21, v13
                                        ; implicit-def: $vgpr16
                                        ; implicit-def: $vgpr12
.LBB4_8953:                             ;   in Loop: Header=BB4_8930 Depth=3
	s_andn2_saveexec_b64 s[74:75], s[74:75]
; %bb.8954:                             ;   in Loop: Header=BB4_8930 Depth=3
	v_cmp_lt_i16_e32 vcc, -1, v12
	v_cndmask_b32_e32 v12, v6, v1, vcc
	v_cmp_eq_u32_e32 vcc, 0, v16
	v_mov_b32_e32 v13, 0x7f800001
	v_cndmask_b32_e32 v13, v13, v12, vcc
; %bb.8955:                             ;   in Loop: Header=BB4_8930 Depth=3
	s_or_b64 exec, exec, s[74:75]
.LBB4_8956:                             ;   in Loop: Header=BB4_8930 Depth=3
	s_or_b64 exec, exec, s[34:35]
.LBB4_8957:                             ;   in Loop: Header=BB4_8930 Depth=3
	s_or_b64 exec, exec, s[72:73]
	s_and_saveexec_b64 s[34:35], s[30:31]
	s_cbranch_execz .LBB4_8965
; %bb.8958:                             ;   in Loop: Header=BB4_8930 Depth=3
	v_bfrev_b32_e32 v15, 1
	s_and_saveexec_b64 s[30:31], s[28:29]
	s_cbranch_execz .LBB4_8964
; %bb.8959:                             ;   in Loop: Header=BB4_8930 Depth=3
	v_mov_b32_e32 v12, 3
	v_and_b32_sdwa v14, sext(v0), s95 dst_sel:DWORD dst_unused:UNUSED_PAD src0_sel:BYTE_0 src1_sel:DWORD
	v_and_b32_sdwa v12, sext(v0), v12 dst_sel:DWORD dst_unused:UNUSED_PAD src0_sel:BYTE_0 src1_sel:DWORD
	v_cmp_ne_u32_e32 vcc, s95, v14
                                        ; implicit-def: $vgpr15
	s_and_saveexec_b64 s[28:29], vcc
	s_xor_b64 s[28:29], exec, s[28:29]
	s_cbranch_execz .LBB4_8961
; %bb.8960:                             ;   in Loop: Header=BB4_8930 Depth=3
	v_ffbh_u32_e32 v3, v12
	v_min_u32_e32 v3, 32, v3
	v_and_b32_sdwa v0, sext(v0), s93 dst_sel:DWORD dst_unused:UNUSED_PAD src0_sel:BYTE_0 src1_sel:DWORD
	v_subrev_u32_e32 v14, 29, v3
	v_bfe_u32 v0, v0, 2, 5
	v_lshlrev_b64 v[14:15], v14, v[42:43]
	v_sub_u32_e32 v3, 30, v3
	v_and_b32_e32 v14, 3, v14
	v_cmp_eq_u32_e32 vcc, 0, v0
	v_cndmask_b32_e32 v0, v0, v3, vcc
	v_cndmask_b32_e32 v3, v12, v14, vcc
	v_lshlrev_b32_e32 v3, 21, v3
	v_lshl_or_b32 v0, v0, 23, v3
	v_add_u32_e32 v0, 0x38000000, v0
	v_or_b32_e32 v15, v0, v7
                                        ; implicit-def: $vgpr12
                                        ; implicit-def: $vgpr3
.LBB4_8961:                             ;   in Loop: Header=BB4_8930 Depth=3
	s_andn2_saveexec_b64 s[28:29], s[28:29]
; %bb.8962:                             ;   in Loop: Header=BB4_8930 Depth=3
	v_cmp_eq_u32_e32 vcc, 0, v12
	v_mov_b32_e32 v0, 0x7f800001
	v_cndmask_b32_e32 v15, v0, v3, vcc
; %bb.8963:                             ;   in Loop: Header=BB4_8930 Depth=3
	s_or_b64 exec, exec, s[28:29]
.LBB4_8964:                             ;   in Loop: Header=BB4_8930 Depth=3
	s_or_b64 exec, exec, s[30:31]
.LBB4_8965:                             ;   in Loop: Header=BB4_8930 Depth=3
	s_or_b64 exec, exec, s[34:35]
	v_max_f32_e32 v0, v15, v15
	v_max_f32_e32 v3, v13, v13
	v_min_f32_e32 v13, v3, v0
.LBB4_8966:                             ;   in Loop: Header=BB4_8930 Depth=3
	v_and_b32_sdwa v0, v13, s97 dst_sel:DWORD dst_unused:UNUSED_PAD src0_sel:BYTE_3 src1_sel:DWORD
	v_and_b32_e32 v14, 0x7f800000, v13
	v_mov_b32_e32 v15, v43
	v_and_b32_e32 v42, 0x7fffff, v13
	v_or_b32_e32 v3, 0x7b, v0
	v_cmp_ne_u64_e32 vcc, s[52:53], v[14:15]
	s_and_saveexec_b64 s[28:29], vcc
	s_xor_b64 s[30:31], exec, s[28:29]
	s_cbranch_execz .LBB4_8980
; %bb.8967:                             ;   in Loop: Header=BB4_8930 Depth=3
	v_and_b32_e32 v14, 0x7fffffff, v13
	v_mov_b32_e32 v15, v43
	v_cmp_gt_u64_e32 vcc, s[54:55], v[14:15]
	s_and_saveexec_b64 s[28:29], vcc
	s_xor_b64 s[34:35], exec, s[28:29]
	s_cbranch_execz .LBB4_8979
; %bb.8968:                             ;   in Loop: Header=BB4_8930 Depth=3
	v_cmp_ne_u32_e32 vcc, 0, v13
	v_mov_b32_e32 v3, 0
	s_and_saveexec_b64 s[72:73], vcc
	s_cbranch_execz .LBB4_8978
; %bb.8969:                             ;   in Loop: Header=BB4_8930 Depth=3
	v_bfe_u32 v3, v13, 23, 8
	v_sub_u32_e32 v12, 0x71, v3
	v_cmp_gt_u32_e32 vcc, s38, v3
	v_add_u32_e32 v7, 0xffffff81, v3
	v_cndmask_b32_e32 v12, 0, v12, vcc
	v_cmp_eq_u32_e32 vcc, 0, v3
	v_mov_b32_e32 v3, 0xffffff82
	v_cndmask_b32_e32 v3, v7, v3, vcc
	v_mov_b32_e32 v7, 0x70
	v_or_b32_e32 v13, 0x800000, v42
	v_cndmask_b32_e32 v7, v12, v7, vcc
	v_cndmask_b32_e32 v42, v13, v42, vcc
	v_add_u32_e32 v12, 21, v7
	v_lshlrev_b64 v[12:13], v12, -1
	v_add_u32_e32 v14, 20, v7
	v_lshrrev_b64 v[18:19], v7, v[42:43]
	v_not_b32_e32 v13, v13
	v_not_b32_e32 v12, v12
	v_lshlrev_b64 v[16:17], v14, 1
	v_lshrrev_b32_e32 v14, 23, v18
	v_and_b32_e32 v13, 0, v13
	v_and_b32_e32 v12, v42, v12
	v_add3_u32 v14, v7, v3, v14
	v_bfe_u32 v7, v18, 21, 1
	v_add_u32_e32 v7, -1, v7
	v_cmp_eq_u64_e32 vcc, v[12:13], v[16:17]
	v_cndmask_b32_e32 v7, 0, v7, vcc
	v_add_u32_e32 v7, v7, v18
	v_and_b32_e32 v7, 0x1fffff, v7
	v_add_co_u32_e32 v12, vcc, v7, v18
	v_add_u32_e32 v3, 14, v14
	v_addc_co_u32_e32 v13, vcc, 0, v19, vcc
	v_cmp_ne_u32_e32 vcc, 0, v3
                                        ; implicit-def: $vgpr7
	s_and_saveexec_b64 s[28:29], vcc
	s_xor_b64 s[28:29], exec, s[28:29]
; %bb.8970:                             ;   in Loop: Header=BB4_8930 Depth=3
	v_add_u32_e32 v7, 15, v14
	v_cmp_lt_u64_e32 vcc, s[56:57], v[12:13]
	v_cndmask_b32_e32 v7, v3, v7, vcc
	v_cndmask_b32_e64 v3, 0, 1, vcc
	v_lshrrev_b64 v[12:13], v3, v[12:13]
; %bb.8971:                             ;   in Loop: Header=BB4_8930 Depth=3
	s_andn2_saveexec_b64 s[28:29], s[28:29]
; %bb.8972:                             ;   in Loop: Header=BB4_8930 Depth=3
	v_bfe_u32 v7, v12, 23, 1
; %bb.8973:                             ;   in Loop: Header=BB4_8930 Depth=3
	s_or_b64 exec, exec, s[28:29]
	v_lshrrev_b64 v[12:13], 21, v[12:13]
	v_cmp_gt_i32_e32 vcc, 32, v7
	v_cndmask_b32_e32 v13, 0, v13, vcc
	v_cndmask_b32_e32 v12, 3, v12, vcc
	v_cmp_ne_u32_e32 vcc, 0, v7
	v_cmp_ne_u64_e64 s[28:29], 0, v[12:13]
	s_or_b64 s[28:29], vcc, s[28:29]
                                        ; implicit-def: $vgpr3
	s_and_saveexec_b64 vcc, s[28:29]
	s_xor_b64 s[28:29], exec, vcc
; %bb.8974:                             ;   in Loop: Header=BB4_8930 Depth=3
	v_min_i32_e32 v3, 31, v7
	v_lshl_or_b32 v0, v3, 2, v0
	v_and_or_b32 v3, v12, 3, v0
                                        ; implicit-def: $vgpr0
; %bb.8975:                             ;   in Loop: Header=BB4_8930 Depth=3
	s_andn2_saveexec_b64 s[28:29], s[28:29]
; %bb.8976:                             ;   in Loop: Header=BB4_8930 Depth=3
	v_mov_b32_e32 v3, v0
; %bb.8977:                             ;   in Loop: Header=BB4_8930 Depth=3
	s_or_b64 exec, exec, s[28:29]
.LBB4_8978:                             ;   in Loop: Header=BB4_8930 Depth=3
	s_or_b64 exec, exec, s[72:73]
.LBB4_8979:                             ;   in Loop: Header=BB4_8930 Depth=3
	s_andn2_saveexec_b64 s[28:29], s[34:35]
	s_or_b64 exec, exec, s[28:29]
                                        ; implicit-def: $vgpr13
.LBB4_8980:                             ;   in Loop: Header=BB4_8930 Depth=3
	s_andn2_saveexec_b64 s[28:29], s[30:31]
	s_cbranch_execz .LBB4_8929
; %bb.8981:                             ;   in Loop: Header=BB4_8930 Depth=3
	v_or_b32_sdwa v0, v13, s39 dst_sel:DWORD dst_unused:UNUSED_PAD src0_sel:BYTE_3 src1_sel:DWORD
	v_cmp_eq_u64_e32 vcc, 0, v[42:43]
	v_cndmask_b32_e32 v3, v0, v3, vcc
	s_branch .LBB4_8929
.LBB4_8982:                             ;   in Loop: Header=BB4_3264 Depth=2
	s_or_b64 exec, exec, s[66:67]
	s_or_b64 exec, exec, s[64:65]
	s_and_saveexec_b64 s[28:29], s[10:11]
	s_cbranch_execz .LBB4_4896
; %bb.9574:                             ;   in Loop: Header=BB4_3264 Depth=2
	s_getpc_b64 s[98:99]
.Lpost_getpc13:
	s_add_u32 s98, s98, (.LBB4_3338-.Lpost_getpc13)&4294967295
	s_addc_u32 s99, s99, (.LBB4_3338-.Lpost_getpc13)>>32
	s_setpc_b64 s[98:99]
.LBB4_8983:                             ;   in Loop: Header=BB4_47 Depth=1
	s_or_b64 exec, exec, s[60:61]
.LBB4_8984:                             ;   in Loop: Header=BB4_47 Depth=1
	s_or_b64 exec, exec, s[58:59]
	v_cmp_gt_i32_e32 vcc, 2, v0
	s_and_saveexec_b64 s[30:31], vcc
	s_cbranch_execz .LBB4_9058
; %bb.8985:                             ;   in Loop: Header=BB4_47 Depth=1
	v_cmp_eq_u32_e64 s[28:29], 0, v0
	s_mov_b64 s[34:35], 0
	s_branch .LBB4_8987
.LBB4_8986:                             ;   in Loop: Header=BB4_8987 Depth=2
	s_or_b64 exec, exec, s[28:29]
	v_accvgpr_read_b32 v0, a54
	v_add_u32_e32 v35, v0, v35
	s_mov_b64 s[28:29], 0
	s_andn2_b64 exec, exec, s[34:35]
	s_cbranch_execz .LBB4_9057
.LBB4_8987:                             ;   Parent Loop BB4_47 Depth=1
                                        ; =>  This Loop Header: Depth=2
                                        ;       Child Loop BB4_8993 Depth 3
                                        ;       Child Loop BB4_9023 Depth 3
	;; [unrolled: 1-line block ×3, first 2 shown]
	v_and_b32_e32 v0, 12, v34
	s_mov_b64 s[60:61], -1
	v_cmp_ne_u32_e32 vcc, 0, v0
	s_and_saveexec_b64 s[58:59], vcc
	s_cbranch_execz .LBB4_8999
; %bb.8988:                             ;   in Loop: Header=BB4_8987 Depth=2
	v_and_b32_e32 v4, 8, v34
	v_add_co_u32_e32 v2, vcc, v48, v4
	v_addc_co_u32_e32 v3, vcc, 0, v49, vcc
	v_accvgpr_read_b32 v8, a10
	v_accvgpr_read_b32 v9, a11
	v_add_co_u32_e32 v8, vcc, 2, v8
	v_addc_co_u32_e32 v9, vcc, 0, v9, vcc
	v_cmp_lt_u64_e32 vcc, v[2:3], v[8:9]
	v_mov_b32_e32 v0, 1
	s_and_saveexec_b64 s[60:61], vcc
	s_cbranch_execz .LBB4_8998
; %bb.8989:                             ;   in Loop: Header=BB4_8987 Depth=2
	s_mov_b64 s[62:63], 0
	v_mov_b32_e32 v0, 0
                                        ; implicit-def: $sgpr64_sgpr65
	s_branch .LBB4_8993
.LBB4_8990:                             ;   in Loop: Header=BB4_8993 Depth=3
	s_or_b64 exec, exec, s[72:73]
	v_mov_b32_e32 v2, 0
	s_orn2_b64 s[70:71], s[70:71], exec
.LBB4_8991:                             ;   in Loop: Header=BB4_8993 Depth=3
	s_or_b64 exec, exec, s[68:69]
	s_andn2_b64 vcc, s[64:65], exec
	s_and_b64 s[64:65], s[70:71], exec
	s_or_b64 s[64:65], vcc, s[64:65]
	v_mov_b32_e32 v0, v2
.LBB4_8992:                             ;   in Loop: Header=BB4_8993 Depth=3
	s_or_b64 exec, exec, s[66:67]
	s_waitcnt vmcnt(0) lgkmcnt(0)
	v_add_co_u32_e32 v2, vcc, v48, v4
	v_addc_co_u32_e32 v3, vcc, 0, v49, vcc
	v_cmp_ge_u64_e32 vcc, v[2:3], v[8:9]
	s_xor_b64 s[66:67], s[64:65], -1
	s_or_b64 vcc, s[66:67], vcc
	s_and_b64 vcc, exec, vcc
	s_or_b64 s[62:63], vcc, s[62:63]
	s_andn2_b64 exec, exec, s[62:63]
	s_cbranch_execz .LBB4_8997
.LBB4_8993:                             ;   Parent Loop BB4_47 Depth=1
                                        ;     Parent Loop BB4_8987 Depth=2
                                        ; =>    This Inner Loop Header: Depth=3
	v_accvgpr_read_b32 v2, a16
	v_accvgpr_read_b32 v3, a17
	s_sleep 1
	flat_load_dwordx2 v[48:49], v[2:3] glc
	v_and_b32_e32 v2, 64, v34
	v_cmp_eq_u32_e32 vcc, 0, v2
	s_andn2_b64 s[64:65], s[64:65], exec
	s_and_saveexec_b64 s[66:67], vcc
	s_cbranch_execz .LBB4_8992
; %bb.8994:                             ;   in Loop: Header=BB4_8993 Depth=3
	v_add_u32_e32 v2, 1, v0
	v_cmp_lt_i32_e32 vcc, s91, v0
	s_mov_b64 s[70:71], -1
	s_and_saveexec_b64 s[68:69], vcc
	s_cbranch_execz .LBB4_8991
; %bb.8995:                             ;   in Loop: Header=BB4_8993 Depth=3
	s_trap 2
	ds_read_b64 v[2:3], v0
	s_waitcnt vmcnt(0) lgkmcnt(0)
	flat_load_dword v0, v[2:3] glc
	s_waitcnt vmcnt(0) lgkmcnt(0)
	buffer_invl2
	buffer_wbinvl1_vol
	v_cmp_ne_u32_e32 vcc, 0, v0
	s_and_saveexec_b64 s[72:73], vcc
	s_cbranch_execz .LBB4_8990
; %bb.8996:                             ;   in Loop: Header=BB4_8993 Depth=3
	v_or_b32_e32 v34, 64, v34
	s_xor_b64 s[70:71], exec, -1
	ds_write_b32 v0, v0
	s_trap 2
	s_branch .LBB4_8990
.LBB4_8997:                             ;   in Loop: Header=BB4_8987 Depth=2
	s_or_b64 exec, exec, s[62:63]
	v_and_b32_e32 v0, 12, v34
.LBB4_8998:                             ;   in Loop: Header=BB4_8987 Depth=2
	s_or_b64 exec, exec, s[60:61]
	v_cmp_eq_u32_e32 vcc, 0, v0
	s_orn2_b64 s[60:61], vcc, exec
	;;#ASMSTART
	s_wakeup
	;;#ASMEND
.LBB4_8999:                             ;   in Loop: Header=BB4_8987 Depth=2
	s_or_b64 exec, exec, s[58:59]
	s_xor_b64 s[28:29], s[28:29], -1
	v_accvgpr_read_b32 v0, a53
	v_mov_b32_e32 v2, v35
	s_and_b64 s[28:29], exec, s[28:29]
	v_sub_u32_e32 v0, v0, v2
	v_accvgpr_read_b32 v2, a54
	s_or_b64 s[34:35], s[28:29], s[34:35]
	v_min_i32_e32 v2, v2, v0
	s_xor_b64 s[28:29], s[60:61], -1
	v_accvgpr_write_b32 a54, v2
	s_and_saveexec_b64 s[58:59], s[28:29]
	s_cbranch_execz .LBB4_9015
; %bb.9000:                             ;   in Loop: Header=BB4_8987 Depth=2
	v_and_b32_e32 v0, 0x108, v34
	v_accvgpr_read_b32 v2, a10
	v_cmp_ne_u32_e32 vcc, s92, v0
	v_and_b32_e32 v4, 7, v2
	v_accvgpr_read_b32 v3, a11
	s_and_saveexec_b64 s[28:29], vcc
	s_xor_b64 s[28:29], exec, s[28:29]
	s_andn2_saveexec_b64 s[28:29], s[28:29]
	s_cbranch_execz .LBB4_9002
; %bb.9001:                             ;   in Loop: Header=BB4_8987 Depth=2
	v_accvgpr_read_b32 v2, a12
	v_accvgpr_read_b32 v3, a13
	;; [unrolled: 1-line block ×3, first 2 shown]
	v_mad_u64_u32 v[2:3], vcc, v4, 24, v[2:3]
	v_ashrrev_i32_e32 v9, 31, v8
	flat_store_dwordx2 v[2:3], v[8:9] offset:8
.LBB4_9002:                             ;   in Loop: Header=BB4_8987 Depth=2
	s_or_b64 exec, exec, s[28:29]
	v_and_b32_e32 v0, 0x100, v34
	v_cmp_ne_u32_e32 vcc, 0, v0
	s_mov_b64 s[28:29], -1
                                        ; implicit-def: $vgpr8_vgpr9
	s_and_saveexec_b64 s[60:61], vcc
	s_cbranch_execz .LBB4_9006
; %bb.9003:                             ;   in Loop: Header=BB4_8987 Depth=2
	v_accvgpr_read_b32 v2, a12
	v_accvgpr_read_b32 v3, a13
	v_mad_u64_u32 v[10:11], s[28:29], v4, 24, v[2:3]
	v_mov_b32_e32 v0, v11
	v_mad_u64_u32 v[2:3], s[28:29], v43, 24, v[0:1]
	v_mov_b32_e32 v11, v2
	flat_load_dword v0, v[10:11]
                                        ; implicit-def: $vgpr8_vgpr9
	s_waitcnt vmcnt(0) lgkmcnt(0)
	v_cmp_ne_u32_e32 vcc, 1, v0
	v_cmp_eq_u32_e64 s[28:29], 1, v0
	s_and_saveexec_b64 s[62:63], s[28:29]
	s_cbranch_execz .LBB4_9005
; %bb.9004:                             ;   in Loop: Header=BB4_8987 Depth=2
	flat_load_dword v8, v[10:11] offset:4 glc
	s_waitcnt vmcnt(0) lgkmcnt(0)
	v_ashrrev_i32_e32 v9, 31, v8
.LBB4_9005:                             ;   in Loop: Header=BB4_8987 Depth=2
	s_or_b64 exec, exec, s[62:63]
	s_orn2_b64 s[28:29], vcc, exec
.LBB4_9006:                             ;   in Loop: Header=BB4_8987 Depth=2
	s_or_b64 exec, exec, s[60:61]
	s_and_saveexec_b64 vcc, s[28:29]
; %bb.9007:                             ;   in Loop: Header=BB4_8987 Depth=2
	v_accvgpr_read_b32 v8, a18
	v_accvgpr_read_b32 v3, a19
	v_mul_lo_u32 v0, v43, v8
	v_mul_lo_u32 v2, v4, v3
	v_mad_u64_u32 v[8:9], s[28:29], v4, v8, 0
	v_add3_u32 v9, v9, v2, v0
; %bb.9008:                             ;   in Loop: Header=BB4_8987 Depth=2
	s_or_b64 exec, exec, vcc
	v_accvgpr_read_b32 v2, a20
	v_accvgpr_read_b32 v3, a21
	v_add_co_u32_e32 v2, vcc, v2, v8
	v_addc_co_u32_e32 v3, vcc, v3, v9, vcc
	s_trap 2
	ds_write_b64 v0, v[2:3]
	v_and_b32_e32 v0, 0x2000, v34
	v_cmp_ne_u32_e32 vcc, 0, v0
	s_and_saveexec_b64 s[28:29], vcc
	s_cbranch_execz .LBB4_9010
; %bb.9009:                             ;   in Loop: Header=BB4_8987 Depth=2
	ds_read_b64 v[2:3], v0 offset:584
	s_waitcnt lgkmcnt(0)
	v_add_co_u32_e32 v2, vcc, 1, v2
	v_addc_co_u32_e32 v3, vcc, 0, v3, vcc
	ds_write_b64 v0, v[2:3] offset:584
.LBB4_9010:                             ;   in Loop: Header=BB4_8987 Depth=2
	s_or_b64 exec, exec, s[28:29]
	v_accvgpr_read_b32 v2, a10
	v_accvgpr_read_b32 v3, a11
	v_add_co_u32_e32 v2, vcc, 2, v2
	v_addc_co_u32_e32 v3, vcc, 0, v3, vcc
	v_accvgpr_write_b32 a11, v3
	v_accvgpr_write_b32 a10, v2
	s_or_b64 exec, exec, s[58:59]
	s_and_saveexec_b64 s[28:29], s[10:11]
	s_cbranch_execnz .LBB4_9016
.LBB4_9011:                             ;   in Loop: Header=BB4_8987 Depth=2
	s_or_b64 exec, exec, s[28:29]
                                        ; implicit-def: $vgpr0
	s_and_saveexec_b64 s[28:29], s[24:25]
	s_xor_b64 s[28:29], exec, s[28:29]
	s_cbranch_execz .LBB4_9034
.LBB4_9012:                             ;   in Loop: Header=BB4_8987 Depth=2
	s_trap 2
	ds_read_b32 v2, v0
	v_accvgpr_read_b32 v0, a54
	v_cmp_lt_i32_e32 vcc, 0, v0
	v_and_b32_e32 v3, 16, v34
	v_and_b32_e32 v0, 16, v34
	s_waitcnt lgkmcnt(0)
	v_readfirstlane_b32 s26, v2
	s_cmp_eq_u32 s26, 0
	s_cselect_b64 s[58:59], -1, 0
	s_and_b64 s[58:59], vcc, s[58:59]
	v_cmp_ne_u32_e32 vcc, 0, v3
	s_and_b64 s[58:59], vcc, s[58:59]
	s_and_saveexec_b64 vcc, s[58:59]
	s_cbranch_execz .LBB4_9014
; %bb.9013:                             ;   in Loop: Header=BB4_8987 Depth=2
	v_mov_b32_e32 v0, 1
	s_waitcnt vmcnt(0)
	buffer_wbinvl1_vol
.LBB4_9014:                             ;   in Loop: Header=BB4_8987 Depth=2
	s_or_b64 exec, exec, vcc
	s_andn2_saveexec_b64 s[28:29], s[28:29]
	s_cbranch_execz .LBB4_9053
	s_branch .LBB4_9035
.LBB4_9015:                             ;   in Loop: Header=BB4_8987 Depth=2
	s_or_b64 exec, exec, s[58:59]
	s_and_saveexec_b64 s[28:29], s[10:11]
	s_cbranch_execz .LBB4_9011
.LBB4_9016:                             ;   in Loop: Header=BB4_8987 Depth=2
	s_and_saveexec_b64 vcc, s[44:45]
	s_xor_b64 s[58:59], exec, vcc
	s_cbranch_execz .LBB4_9031
; %bb.9017:                             ;   in Loop: Header=BB4_8987 Depth=2
	s_and_saveexec_b64 s[60:61], s[16:17]
	s_cbranch_execz .LBB4_9030
; %bb.9018:                             ;   in Loop: Header=BB4_8987 Depth=2
	s_mov_b64 s[64:65], exec
	v_mbcnt_lo_u32_b32 v0, s64, 0
	v_mbcnt_hi_u32_b32 v0, s65, v0
	v_cmp_eq_u32_e32 vcc, 0, v0
	s_waitcnt vmcnt(0) lgkmcnt(0)
	buffer_wbinvl1_vol
	s_and_saveexec_b64 s[62:63], vcc
	s_cbranch_execz .LBB4_9020
; %bb.9019:                             ;   in Loop: Header=BB4_8987 Depth=2
	s_bcnt1_i32_b64 s26, s[64:65]
	v_mov_b32_e32 v42, s26
	ds_add_u64 v0, v[42:43]
	s_trap 2
.LBB4_9020:                             ;   in Loop: Header=BB4_8987 Depth=2
	s_or_b64 exec, exec, s[62:63]
	s_trap 2
	ds_read_b64 v[2:3], v0
	v_accvgpr_read_b32 v4, a14
	v_accvgpr_read_b32 v5, a15
	v_add_co_u32_e32 v4, vcc, v4, v46
	v_addc_co_u32_e32 v5, vcc, 0, v5, vcc
	v_accvgpr_write_b32 a15, v5
	v_accvgpr_write_b32 a14, v4
	s_waitcnt lgkmcnt(0)
	v_cmp_lt_u64_e32 vcc, v[2:3], v[4:5]
	s_and_saveexec_b64 s[62:63], vcc
	s_cbranch_execz .LBB4_9029
; %bb.9021:                             ;   in Loop: Header=BB4_8987 Depth=2
	s_mov_b32 s47, 0
	s_mov_b64 s[64:65], 0
                                        ; implicit-def: $sgpr66_sgpr67
                                        ; implicit-def: $sgpr68_sgpr69
	s_branch .LBB4_9023
.LBB4_9022:                             ;   in Loop: Header=BB4_9023 Depth=3
	s_or_b64 exec, exec, s[72:73]
	s_and_b64 s[26:27], exec, vcc
	s_or_b64 s[64:65], s[26:27], s[64:65]
	s_andn2_b64 s[26:27], s[66:67], exec
	s_and_b64 vcc, s[68:69], exec
	s_or_b64 s[66:67], s[26:27], vcc
	s_andn2_b64 exec, exec, s[64:65]
	s_cbranch_execz .LBB4_9027
.LBB4_9023:                             ;   Parent Loop BB4_47 Depth=1
                                        ;     Parent Loop BB4_8987 Depth=2
                                        ; =>    This Inner Loop Header: Depth=3
	s_add_i32 s47, s47, 1
	s_cmpk_lg_i32 s47, 0x2710
	s_cselect_b64 s[70:71], -1, 0
	s_and_b64 vcc, exec, s[70:71]
                                        ; implicit-def: $sgpr72_sgpr73
	s_cbranch_vccnz .LBB4_9025
; %bb.9024:                             ;   in Loop: Header=BB4_9023 Depth=3
	s_trap 2
	ds_read_b64 v[2:3], v0
	s_andn2_b64 s[70:71], s[70:71], exec
	s_mov_b32 s47, 0
	s_mov_b64 s[72:73], -1
	s_waitcnt lgkmcnt(0)
	flat_load_dword v0, v[2:3] glc
	s_waitcnt vmcnt(0) lgkmcnt(0)
	buffer_invl2
	buffer_wbinvl1_vol
	v_cmp_eq_u32_e32 vcc, 0, v0
	s_and_b64 vcc, vcc, exec
	s_or_b64 s[70:71], s[70:71], vcc
.LBB4_9025:                             ;   in Loop: Header=BB4_9023 Depth=3
	s_andn2_b64 s[68:69], s[68:69], exec
	s_and_b64 s[72:73], s[72:73], exec
	s_mov_b64 vcc, -1
	s_or_b64 s[68:69], s[68:69], s[72:73]
	s_and_saveexec_b64 s[72:73], s[70:71]
	s_cbranch_execz .LBB4_9022
; %bb.9026:                             ;   in Loop: Header=BB4_9023 Depth=3
	s_sleep 1
	s_trap 2
	ds_read_b64 v[2:3], v0
	v_accvgpr_read_b32 v4, a14
	v_accvgpr_read_b32 v5, a15
	s_andn2_b64 s[68:69], s[68:69], exec
	s_waitcnt lgkmcnt(0)
	v_cmp_ge_u64_e32 vcc, v[2:3], v[4:5]
	s_orn2_b64 vcc, vcc, exec
	s_branch .LBB4_9022
.LBB4_9027:                             ;   in Loop: Header=BB4_8987 Depth=2
	s_or_b64 exec, exec, s[64:65]
	s_and_saveexec_b64 s[26:27], s[66:67]
	s_xor_b64 s[26:27], exec, s[26:27]
	s_cbranch_execz .LBB4_9029
; %bb.9028:                             ;   in Loop: Header=BB4_8987 Depth=2
	v_mov_b32_e32 v0, 1
	ds_write_b32 v0, v0
	s_trap 2
.LBB4_9029:                             ;   in Loop: Header=BB4_8987 Depth=2
	s_or_b64 exec, exec, s[62:63]
	;;#ASMSTART
	s_wakeup
	;;#ASMEND
.LBB4_9030:                             ;   in Loop: Header=BB4_8987 Depth=2
	s_or_b64 exec, exec, s[60:61]
.LBB4_9031:                             ;   in Loop: Header=BB4_8987 Depth=2
	s_andn2_saveexec_b64 vcc, s[58:59]
	s_cbranch_execz .LBB4_9033
; %bb.9032:                             ;   in Loop: Header=BB4_8987 Depth=2
	s_waitcnt vmcnt(0) lgkmcnt(0)
	buffer_wbinvl1_vol
	s_barrier
.LBB4_9033:                             ;   in Loop: Header=BB4_8987 Depth=2
	s_or_b64 exec, exec, vcc
	s_or_b64 exec, exec, s[28:29]
                                        ; implicit-def: $vgpr0
	s_and_saveexec_b64 s[28:29], s[24:25]
	s_xor_b64 s[28:29], exec, s[28:29]
	s_cbranch_execnz .LBB4_9012
.LBB4_9034:                             ;   in Loop: Header=BB4_8987 Depth=2
	s_andn2_saveexec_b64 s[28:29], s[28:29]
	s_cbranch_execz .LBB4_9053
.LBB4_9035:                             ;   in Loop: Header=BB4_8987 Depth=2
	s_and_saveexec_b64 vcc, s[44:45]
	s_xor_b64 s[58:59], exec, vcc
	s_cbranch_execz .LBB4_9050
; %bb.9036:                             ;   in Loop: Header=BB4_8987 Depth=2
	s_and_saveexec_b64 s[60:61], s[16:17]
	s_cbranch_execz .LBB4_9049
; %bb.9037:                             ;   in Loop: Header=BB4_8987 Depth=2
	s_mov_b64 s[64:65], exec
	v_mbcnt_lo_u32_b32 v0, s64, 0
	v_mbcnt_hi_u32_b32 v0, s65, v0
	v_cmp_eq_u32_e32 vcc, 0, v0
	;;#ASMSTART
	s_waitcnt lgkmcnt(0) vmcnt(0)
	;;#ASMEND
	s_and_saveexec_b64 s[62:63], vcc
	s_cbranch_execz .LBB4_9039
; %bb.9038:                             ;   in Loop: Header=BB4_8987 Depth=2
	s_bcnt1_i32_b64 s26, s[64:65]
	v_mov_b32_e32 v42, s26
	ds_add_u64 v0, v[42:43]
	s_trap 2
.LBB4_9039:                             ;   in Loop: Header=BB4_8987 Depth=2
	s_or_b64 exec, exec, s[62:63]
	s_trap 2
	ds_read_b64 v[2:3], v0
	v_accvgpr_read_b32 v4, a14
	v_accvgpr_read_b32 v5, a15
	v_add_co_u32_e32 v4, vcc, v4, v46
	v_addc_co_u32_e32 v5, vcc, 0, v5, vcc
	v_accvgpr_write_b32 a15, v5
	v_accvgpr_write_b32 a14, v4
	s_waitcnt lgkmcnt(0)
	v_cmp_lt_u64_e32 vcc, v[2:3], v[4:5]
	s_and_saveexec_b64 s[62:63], vcc
	s_cbranch_execz .LBB4_9048
; %bb.9040:                             ;   in Loop: Header=BB4_8987 Depth=2
	s_mov_b32 s47, 0
	s_mov_b64 s[64:65], 0
                                        ; implicit-def: $sgpr66_sgpr67
                                        ; implicit-def: $sgpr68_sgpr69
	s_branch .LBB4_9042
.LBB4_9041:                             ;   in Loop: Header=BB4_9042 Depth=3
	s_or_b64 exec, exec, s[72:73]
	s_and_b64 s[26:27], exec, vcc
	s_or_b64 s[64:65], s[26:27], s[64:65]
	s_andn2_b64 s[26:27], s[66:67], exec
	s_and_b64 vcc, s[68:69], exec
	s_or_b64 s[66:67], s[26:27], vcc
	s_andn2_b64 exec, exec, s[64:65]
	s_cbranch_execz .LBB4_9046
.LBB4_9042:                             ;   Parent Loop BB4_47 Depth=1
                                        ;     Parent Loop BB4_8987 Depth=2
                                        ; =>    This Inner Loop Header: Depth=3
	s_add_i32 s47, s47, 1
	s_cmpk_lg_i32 s47, 0x2710
	s_cselect_b64 s[70:71], -1, 0
	s_and_b64 vcc, exec, s[70:71]
                                        ; implicit-def: $sgpr72_sgpr73
	s_cbranch_vccnz .LBB4_9044
; %bb.9043:                             ;   in Loop: Header=BB4_9042 Depth=3
	s_trap 2
	ds_read_b64 v[2:3], v0
	s_andn2_b64 s[70:71], s[70:71], exec
	s_mov_b32 s47, 0
	s_mov_b64 s[72:73], -1
	s_waitcnt vmcnt(0) lgkmcnt(0)
	flat_load_dword v0, v[2:3] glc
	s_waitcnt vmcnt(0) lgkmcnt(0)
	buffer_invl2
	buffer_wbinvl1_vol
	v_cmp_eq_u32_e32 vcc, 0, v0
	s_and_b64 vcc, vcc, exec
	s_or_b64 s[70:71], s[70:71], vcc
.LBB4_9044:                             ;   in Loop: Header=BB4_9042 Depth=3
	s_andn2_b64 s[68:69], s[68:69], exec
	s_and_b64 s[72:73], s[72:73], exec
	s_mov_b64 vcc, -1
	s_or_b64 s[68:69], s[68:69], s[72:73]
	s_and_saveexec_b64 s[72:73], s[70:71]
	s_cbranch_execz .LBB4_9041
; %bb.9045:                             ;   in Loop: Header=BB4_9042 Depth=3
	s_sleep 1
	s_trap 2
	ds_read_b64 v[2:3], v0
	v_accvgpr_read_b32 v4, a14
	v_accvgpr_read_b32 v5, a15
	s_andn2_b64 s[68:69], s[68:69], exec
	s_waitcnt lgkmcnt(0)
	v_cmp_ge_u64_e32 vcc, v[2:3], v[4:5]
	s_orn2_b64 vcc, vcc, exec
	s_branch .LBB4_9041
.LBB4_9046:                             ;   in Loop: Header=BB4_8987 Depth=2
	s_or_b64 exec, exec, s[64:65]
	s_and_saveexec_b64 s[26:27], s[66:67]
	s_xor_b64 s[26:27], exec, s[26:27]
	s_cbranch_execz .LBB4_9048
; %bb.9047:                             ;   in Loop: Header=BB4_8987 Depth=2
	v_mov_b32_e32 v0, 1
	ds_write_b32 v0, v0
	s_trap 2
.LBB4_9048:                             ;   in Loop: Header=BB4_8987 Depth=2
	s_or_b64 exec, exec, s[62:63]
	;;#ASMSTART
	s_wakeup
	;;#ASMEND
.LBB4_9049:                             ;   in Loop: Header=BB4_8987 Depth=2
	s_or_b64 exec, exec, s[60:61]
.LBB4_9050:                             ;   in Loop: Header=BB4_8987 Depth=2
	s_andn2_saveexec_b64 vcc, s[58:59]
	s_cbranch_execz .LBB4_9052
; %bb.9051:                             ;   in Loop: Header=BB4_8987 Depth=2
	;;#ASMSTART
	s_waitcnt lgkmcnt(0) vmcnt(0)
	;;#ASMEND
	s_barrier
.LBB4_9052:                             ;   in Loop: Header=BB4_8987 Depth=2
	s_or_b64 exec, exec, vcc
	v_and_b32_e32 v0, 16, v34
.LBB4_9053:                             ;   in Loop: Header=BB4_8987 Depth=2
	s_or_b64 exec, exec, s[28:29]
	v_cmp_ne_u32_e32 vcc, 0, v0
	s_xor_b64 s[28:29], s[12:13], -1
	s_and_b64 vcc, vcc, s[28:29]
	s_and_saveexec_b64 s[28:29], vcc
	s_cbranch_execz .LBB4_9055
; %bb.9054:                             ;   in Loop: Header=BB4_8987 Depth=2
	v_accvgpr_read_b32 v2, a22
	v_accvgpr_read_b32 v3, a23
	v_mov_b32_e32 v0, 1
	flat_store_dword v[2:3], v0
.LBB4_9055:                             ;   in Loop: Header=BB4_8987 Depth=2
	s_or_b64 exec, exec, s[28:29]
	v_and_b32_e32 v0, 48, v34
	v_cmp_ne_u32_e32 vcc, 0, v0
	s_and_saveexec_b64 s[28:29], vcc
	s_cbranch_execz .LBB4_8986
; %bb.9056:                             ;   in Loop: Header=BB4_8987 Depth=2
	v_accvgpr_read_b32 v2, a10
	v_accvgpr_read_b32 v3, a11
	v_add_co_u32_e32 v2, vcc, 2, v2
	v_addc_co_u32_e32 v3, vcc, 0, v3, vcc
	v_accvgpr_write_b32 a11, v3
	v_accvgpr_read_b32 v4, a16
	v_accvgpr_write_b32 a10, v2
	v_accvgpr_read_b32 v5, a17
	flat_store_dwordx2 v[4:5], v[2:3]
	s_branch .LBB4_8986
.LBB4_9057:                             ;   in Loop: Header=BB4_47 Depth=1
	s_or_b64 exec, exec, s[34:35]
.LBB4_9058:                             ;   in Loop: Header=BB4_47 Depth=1
	s_or_b64 exec, exec, s[30:31]
	v_readlane_b32 s26, v61, 13
	v_readlane_b32 s27, v61, 14
	s_and_b64 vcc, exec, s[26:27]
	s_cbranch_vccnz .LBB4_9315
; %bb.9059:                             ;   in Loop: Header=BB4_47 Depth=1
	s_mov_b32 s47, 1
.LBB4_9060:                             ;   Parent Loop BB4_47 Depth=1
                                        ; =>  This Loop Header: Depth=2
                                        ;       Child Loop BB4_9063 Depth 3
                                        ;         Child Loop BB4_9071 Depth 4
                                        ;         Child Loop BB4_9097 Depth 4
	;; [unrolled: 1-line block ×9, first 2 shown]
                                        ;           Child Loop BB4_9157 Depth 5
                                        ;         Child Loop BB4_9166 Depth 4
                                        ;         Child Loop BB4_9171 Depth 4
                                        ;           Child Loop BB4_9172 Depth 5
                                        ;         Child Loop BB4_9144 Depth 4
                                        ;         Child Loop BB4_9223 Depth 4
                                        ;       Child Loop BB4_9241 Depth 3
                                        ;         Child Loop BB4_9247 Depth 4
                                        ;         Child Loop BB4_9277 Depth 4
	;; [unrolled: 1-line block ×3, first 2 shown]
	s_sub_i32 s26, s84, s47
	s_cmp_le_i32 s78, s26
	s_cselect_b32 s27, s78, 0
	s_sub_i32 s26, s26, s27
	v_accvgpr_read_b32 v8, a48
	s_ashr_i32 s27, s26, 31
	v_accvgpr_read_b32 v9, a49
	v_mul_lo_u32 v0, v8, s27
	v_mul_lo_u32 v4, v9, s26
	v_mad_u64_u32 v[2:3], s[26:27], v8, s26, 0
	v_add3_u32 v3, v3, v0, v4
	v_accvgpr_read_b32 v4, a50
	v_accvgpr_read_b32 v5, a51
	v_sub_co_u32_e32 v4, vcc, v4, v2
	v_subb_co_u32_e32 v5, vcc, v5, v3, vcc
	v_cmp_lt_i64_e32 vcc, v[8:9], v[4:5]
	v_cndmask_b32_e32 v5, v4, v8, vcc
	v_max_i32_e32 v0, 0, v5
	v_add_u32_e32 v4, 31, v0
	v_lshrrev_b32_e32 v4, 1, v4
	v_and_b32_e32 v4, 0x3ffffff0, v4
	v_cmp_lt_i32_e32 vcc, 0, v5
	v_max_i32_e32 v4, s87, v4
	s_and_b64 s[26:27], s[50:51], vcc
	v_mov_b32_e32 v5, 0
	v_mov_b32_e32 v7, 0
	s_and_saveexec_b64 s[58:59], s[26:27]
	s_cbranch_execz .LBB4_9238
; %bb.9061:                             ;   in Loop: Header=BB4_9060 Depth=2
	v_accvgpr_read_b32 v5, a43
	v_add_co_u32_e32 v16, vcc, v2, v5
	v_accvgpr_read_b32 v2, a52
	v_addc_co_u32_e32 v17, vcc, v3, v2, vcc
	s_mov_b32 s74, 1
	s_mov_b64 s[62:63], -1
	s_mov_b64 s[60:61], 0
	v_mov_b32_e32 v7, 0
	s_branch .LBB4_9063
.LBB4_9062:                             ;   in Loop: Header=BB4_9063 Depth=3
	s_or_b64 exec, exec, s[26:27]
	v_add_u32_e32 v7, v4, v7
	v_cmp_ge_i32_e32 vcc, v7, v0
	s_xor_b64 s[26:27], s[62:63], -1
	s_or_b64 s[26:27], s[26:27], vcc
	s_and_b64 s[26:27], exec, s[26:27]
	s_or_b64 s[60:61], s[26:27], s[60:61]
	s_mov_b64 s[62:63], 0
	v_mov_b32_e32 v5, s74
	s_mov_b32 s74, 2
	s_andn2_b64 exec, exec, s[60:61]
	s_cbranch_execz .LBB4_9311
.LBB4_9063:                             ;   Parent Loop BB4_47 Depth=1
                                        ;     Parent Loop BB4_9060 Depth=2
                                        ; =>    This Loop Header: Depth=3
                                        ;         Child Loop BB4_9071 Depth 4
                                        ;         Child Loop BB4_9097 Depth 4
                                        ;         Child Loop BB4_9116 Depth 4
                                        ;         Child Loop BB4_9188 Depth 4
                                        ;         Child Loop BB4_9193 Depth 4
                                        ;         Child Loop BB4_9201 Depth 4
                                        ;         Child Loop BB4_9206 Depth 4
                                        ;         Child Loop BB4_9151 Depth 4
                                        ;         Child Loop BB4_9156 Depth 4
                                        ;           Child Loop BB4_9157 Depth 5
                                        ;         Child Loop BB4_9166 Depth 4
                                        ;         Child Loop BB4_9171 Depth 4
                                        ;           Child Loop BB4_9172 Depth 5
                                        ;         Child Loop BB4_9144 Depth 4
                                        ;         Child Loop BB4_9223 Depth 4
	s_and_saveexec_b64 s[26:27], s[4:5]
	s_cbranch_execz .LBB4_9065
; %bb.9064:                             ;   in Loop: Header=BB4_9063 Depth=3
	s_trap 2
	ds_read_b128 v[8:11], v0
	v_ashrrev_i32_e32 v5, 31, v7
	s_waitcnt lgkmcnt(0)
	v_add_co_u32_e32 v2, vcc, v8, v16
	v_addc_co_u32_e32 v3, vcc, v9, v17, vcc
	v_add_co_u32_e32 v2, vcc, v2, v7
	v_addc_co_u32_e32 v3, vcc, v3, v5, vcc
	ds_write_b64 v0, v[2:3]
	v_add_co_u32_e32 v2, vcc, v10, v16
	v_addc_co_u32_e32 v3, vcc, v11, v17, vcc
	v_add_co_u32_e32 v2, vcc, v2, v7
	v_addc_co_u32_e32 v3, vcc, v3, v5, vcc
	v_cmp_ne_u64_e32 vcc, 0, v[10:11]
	v_cndmask_b32_e32 v3, 0, v3, vcc
	v_cndmask_b32_e32 v2, 0, v2, vcc
	ds_write_b64 v0, v[2:3]
.LBB4_9065:                             ;   in Loop: Header=BB4_9063 Depth=3
	s_or_b64 exec, exec, s[26:27]
	v_and_b32_e32 v2, 12, v34
	v_cmp_ne_u32_e32 vcc, 0, v2
	s_mov_b64 s[28:29], -1
	s_and_saveexec_b64 s[26:27], vcc
	s_cbranch_execz .LBB4_9077
; %bb.9066:                             ;   in Loop: Header=BB4_9063 Depth=3
	v_and_b32_e32 v2, 8, v34
	v_add_co_u32_e32 v10, vcc, v48, v2
	v_addc_co_u32_e32 v11, vcc, 0, v49, vcc
	v_accvgpr_read_b32 v8, a10
	v_accvgpr_read_b32 v9, a11
	v_add_co_u32_e32 v8, vcc, 2, v8
	v_addc_co_u32_e32 v9, vcc, 0, v9, vcc
	v_cmp_lt_u64_e32 vcc, v[10:11], v[8:9]
	v_mov_b32_e32 v3, 1
	s_and_saveexec_b64 s[28:29], vcc
	s_cbranch_execz .LBB4_9076
; %bb.9067:                             ;   in Loop: Header=BB4_9063 Depth=3
	s_mov_b64 s[30:31], 0
	v_mov_b32_e32 v3, 0
                                        ; implicit-def: $sgpr34_sgpr35
	s_branch .LBB4_9071
.LBB4_9068:                             ;   in Loop: Header=BB4_9071 Depth=4
	s_or_b64 exec, exec, s[70:71]
	v_mov_b32_e32 v5, 0
	s_orn2_b64 s[68:69], s[68:69], exec
.LBB4_9069:                             ;   in Loop: Header=BB4_9071 Depth=4
	s_or_b64 exec, exec, s[66:67]
	s_andn2_b64 vcc, s[34:35], exec
	s_and_b64 s[34:35], s[68:69], exec
	s_or_b64 s[34:35], vcc, s[34:35]
	v_mov_b32_e32 v3, v5
.LBB4_9070:                             ;   in Loop: Header=BB4_9071 Depth=4
	s_or_b64 exec, exec, s[64:65]
	s_waitcnt vmcnt(0) lgkmcnt(0)
	v_add_co_u32_e32 v10, vcc, v48, v2
	v_addc_co_u32_e32 v11, vcc, 0, v49, vcc
	v_cmp_ge_u64_e32 vcc, v[10:11], v[8:9]
	s_xor_b64 s[64:65], s[34:35], -1
	s_or_b64 vcc, s[64:65], vcc
	s_and_b64 vcc, exec, vcc
	s_or_b64 s[30:31], vcc, s[30:31]
	s_andn2_b64 exec, exec, s[30:31]
	s_cbranch_execz .LBB4_9075
.LBB4_9071:                             ;   Parent Loop BB4_47 Depth=1
                                        ;     Parent Loop BB4_9060 Depth=2
                                        ;       Parent Loop BB4_9063 Depth=3
                                        ; =>      This Inner Loop Header: Depth=4
	v_accvgpr_read_b32 v10, a16
	v_accvgpr_read_b32 v11, a17
	s_sleep 1
	flat_load_dwordx2 v[48:49], v[10:11] glc
	v_and_b32_e32 v5, 64, v34
	v_cmp_eq_u32_e32 vcc, 0, v5
	s_andn2_b64 s[34:35], s[34:35], exec
	s_and_saveexec_b64 s[64:65], vcc
	s_cbranch_execz .LBB4_9070
; %bb.9072:                             ;   in Loop: Header=BB4_9071 Depth=4
	v_add_u32_e32 v5, 1, v3
	v_cmp_lt_i32_e32 vcc, s91, v3
	s_mov_b64 s[68:69], -1
	s_and_saveexec_b64 s[66:67], vcc
	s_cbranch_execz .LBB4_9069
; %bb.9073:                             ;   in Loop: Header=BB4_9071 Depth=4
	s_trap 2
	ds_read_b64 v[10:11], v0
	s_waitcnt vmcnt(0) lgkmcnt(0)
	flat_load_dword v3, v[10:11] glc
	s_waitcnt vmcnt(0) lgkmcnt(0)
	buffer_invl2
	buffer_wbinvl1_vol
	v_cmp_ne_u32_e32 vcc, 0, v3
	s_and_saveexec_b64 s[70:71], vcc
	s_cbranch_execz .LBB4_9068
; %bb.9074:                             ;   in Loop: Header=BB4_9071 Depth=4
	v_or_b32_e32 v34, 64, v34
	s_xor_b64 s[68:69], exec, -1
	ds_write_b32 v0, v3
	s_trap 2
	s_branch .LBB4_9068
.LBB4_9075:                             ;   in Loop: Header=BB4_9063 Depth=3
	s_or_b64 exec, exec, s[30:31]
	v_and_b32_e32 v3, 12, v34
.LBB4_9076:                             ;   in Loop: Header=BB4_9063 Depth=3
	s_or_b64 exec, exec, s[28:29]
	v_cmp_eq_u32_e32 vcc, 0, v3
	s_orn2_b64 s[28:29], vcc, exec
	;;#ASMSTART
	s_wakeup
	;;#ASMEND
.LBB4_9077:                             ;   in Loop: Header=BB4_9063 Depth=3
	s_or_b64 exec, exec, s[26:27]
	v_sub_u32_e32 v2, v0, v7
	s_xor_b64 s[26:27], s[28:29], -1
	v_min_i32_e32 v4, v4, v2
	s_and_saveexec_b64 s[28:29], s[26:27]
	s_cbranch_execz .LBB4_9089
; %bb.9078:                             ;   in Loop: Header=BB4_9063 Depth=3
	v_and_b32_e32 v2, 0x108, v34
	v_cmp_ne_u32_e32 vcc, s92, v2
	v_accvgpr_read_b32 v2, a10
	v_and_b32_e32 v2, 7, v2
	v_accvgpr_read_b32 v3, a11
	s_and_saveexec_b64 s[26:27], vcc
	s_xor_b64 s[26:27], exec, s[26:27]
	s_andn2_saveexec_b64 s[26:27], s[26:27]
	s_cbranch_execz .LBB4_9080
; %bb.9079:                             ;   in Loop: Header=BB4_9063 Depth=3
	v_accvgpr_read_b32 v8, a12
	v_accvgpr_read_b32 v9, a13
	v_mad_u64_u32 v[8:9], vcc, v2, 24, v[8:9]
	v_ashrrev_i32_e32 v5, 31, v4
	flat_store_dwordx2 v[8:9], v[4:5] offset:8
.LBB4_9080:                             ;   in Loop: Header=BB4_9063 Depth=3
	s_or_b64 exec, exec, s[26:27]
	v_and_b32_e32 v3, 0x100, v34
	v_cmp_ne_u32_e32 vcc, 0, v3
	s_mov_b64 s[26:27], -1
                                        ; implicit-def: $vgpr8_vgpr9
	s_and_saveexec_b64 s[30:31], vcc
	s_cbranch_execz .LBB4_9084
; %bb.9081:                             ;   in Loop: Header=BB4_9063 Depth=3
	v_accvgpr_read_b32 v8, a12
	v_accvgpr_read_b32 v9, a13
	v_mad_u64_u32 v[10:11], s[26:27], v2, 24, v[8:9]
	v_mov_b32_e32 v8, v11
	v_mad_u64_u32 v[8:9], s[26:27], v43, 24, v[8:9]
	v_mov_b32_e32 v11, v8
	flat_load_dword v3, v[10:11]
                                        ; implicit-def: $vgpr8_vgpr9
	s_waitcnt vmcnt(0) lgkmcnt(0)
	v_cmp_ne_u32_e32 vcc, 1, v3
	v_cmp_eq_u32_e64 s[26:27], 1, v3
	s_and_saveexec_b64 s[34:35], s[26:27]
	s_cbranch_execz .LBB4_9083
; %bb.9082:                             ;   in Loop: Header=BB4_9063 Depth=3
	flat_load_dword v8, v[10:11] offset:4 glc
	s_waitcnt vmcnt(0) lgkmcnt(0)
	v_ashrrev_i32_e32 v9, 31, v8
.LBB4_9083:                             ;   in Loop: Header=BB4_9063 Depth=3
	s_or_b64 exec, exec, s[34:35]
	s_orn2_b64 s[26:27], vcc, exec
.LBB4_9084:                             ;   in Loop: Header=BB4_9063 Depth=3
	s_or_b64 exec, exec, s[30:31]
	s_and_saveexec_b64 vcc, s[26:27]
; %bb.9085:                             ;   in Loop: Header=BB4_9063 Depth=3
	v_accvgpr_read_b32 v8, a18
	v_accvgpr_read_b32 v5, a19
	v_mul_lo_u32 v3, v43, v8
	v_mul_lo_u32 v5, v2, v5
	v_mad_u64_u32 v[8:9], s[26:27], v2, v8, 0
	v_add3_u32 v9, v9, v5, v3
; %bb.9086:                             ;   in Loop: Header=BB4_9063 Depth=3
	s_or_b64 exec, exec, vcc
	v_accvgpr_read_b32 v2, a20
	v_accvgpr_read_b32 v3, a21
	v_add_co_u32_e32 v2, vcc, v2, v8
	v_addc_co_u32_e32 v3, vcc, v3, v9, vcc
	s_trap 2
	ds_write_b64 v0, v[2:3]
	v_and_b32_e32 v2, 0x2000, v34
	v_cmp_ne_u32_e32 vcc, 0, v2
	s_and_saveexec_b64 s[26:27], vcc
	s_cbranch_execz .LBB4_9088
; %bb.9087:                             ;   in Loop: Header=BB4_9063 Depth=3
	ds_read_b64 v[2:3], v0 offset:584
	s_waitcnt lgkmcnt(0)
	v_add_co_u32_e32 v2, vcc, 1, v2
	v_addc_co_u32_e32 v3, vcc, 0, v3, vcc
	ds_write_b64 v0, v[2:3] offset:584
.LBB4_9088:                             ;   in Loop: Header=BB4_9063 Depth=3
	s_or_b64 exec, exec, s[26:27]
	v_accvgpr_read_b32 v2, a10
	v_accvgpr_read_b32 v3, a11
	v_add_co_u32_e32 v2, vcc, 2, v2
	v_addc_co_u32_e32 v3, vcc, 0, v3, vcc
	v_accvgpr_write_b32 a11, v3
	v_accvgpr_write_b32 a10, v2
.LBB4_9089:                             ;   in Loop: Header=BB4_9063 Depth=3
	s_or_b64 exec, exec, s[28:29]
	s_and_saveexec_b64 s[26:27], s[10:11]
	s_cbranch_execz .LBB4_9108
; %bb.9090:                             ;   in Loop: Header=BB4_9063 Depth=3
	s_and_saveexec_b64 s[28:29], s[44:45]
	s_xor_b64 s[28:29], exec, s[28:29]
	s_cbranch_execz .LBB4_9105
; %bb.9091:                             ;   in Loop: Header=BB4_9063 Depth=3
	s_and_saveexec_b64 s[30:31], s[16:17]
	s_cbranch_execz .LBB4_9104
; %bb.9092:                             ;   in Loop: Header=BB4_9063 Depth=3
	s_mov_b64 s[64:65], exec
	v_mbcnt_lo_u32_b32 v2, s64, 0
	v_mbcnt_hi_u32_b32 v2, s65, v2
	v_cmp_eq_u32_e32 vcc, 0, v2
	s_waitcnt vmcnt(0) lgkmcnt(0)
	buffer_wbinvl1_vol
	s_and_saveexec_b64 s[34:35], vcc
	s_cbranch_execz .LBB4_9094
; %bb.9093:                             ;   in Loop: Header=BB4_9063 Depth=3
	s_bcnt1_i32_b64 vcc_lo, s[64:65]
	v_mov_b32_e32 v42, vcc_lo
	ds_add_u64 v0, v[42:43]
	s_trap 2
.LBB4_9094:                             ;   in Loop: Header=BB4_9063 Depth=3
	s_or_b64 exec, exec, s[34:35]
	s_trap 2
	ds_read_b64 v[2:3], v0
	v_accvgpr_read_b32 v8, a14
	v_accvgpr_read_b32 v9, a15
	v_add_co_u32_e32 v8, vcc, v8, v46
	v_addc_co_u32_e32 v9, vcc, 0, v9, vcc
	v_accvgpr_write_b32 a15, v9
	v_accvgpr_write_b32 a14, v8
	s_waitcnt lgkmcnt(0)
	v_cmp_lt_u64_e32 vcc, v[2:3], v[8:9]
	s_and_saveexec_b64 s[34:35], vcc
	s_cbranch_execz .LBB4_9103
; %bb.9095:                             ;   in Loop: Header=BB4_9063 Depth=3
	s_mov_b32 s75, 0
	s_mov_b64 s[64:65], 0
                                        ; implicit-def: $sgpr66_sgpr67
                                        ; implicit-def: $sgpr68_sgpr69
	s_branch .LBB4_9097
.LBB4_9096:                             ;   in Loop: Header=BB4_9097 Depth=4
	s_or_b64 exec, exec, s[72:73]
	s_and_b64 vcc, exec, vcc
	s_or_b64 s[64:65], vcc, s[64:65]
	s_andn2_b64 vcc, s[66:67], exec
	s_and_b64 s[66:67], s[68:69], exec
	s_or_b64 s[66:67], vcc, s[66:67]
	s_andn2_b64 exec, exec, s[64:65]
	s_cbranch_execz .LBB4_9101
.LBB4_9097:                             ;   Parent Loop BB4_47 Depth=1
                                        ;     Parent Loop BB4_9060 Depth=2
                                        ;       Parent Loop BB4_9063 Depth=3
                                        ; =>      This Inner Loop Header: Depth=4
	s_add_i32 s75, s75, 1
	s_cmpk_lg_i32 s75, 0x2710
	s_cselect_b64 s[70:71], -1, 0
	s_and_b64 vcc, exec, s[70:71]
                                        ; implicit-def: $sgpr72_sgpr73
	s_cbranch_vccnz .LBB4_9099
; %bb.9098:                             ;   in Loop: Header=BB4_9097 Depth=4
	s_trap 2
	ds_read_b64 v[2:3], v0
	s_andn2_b64 s[70:71], s[70:71], exec
	s_mov_b32 s75, 0
	s_mov_b64 s[72:73], -1
	s_waitcnt lgkmcnt(0)
	flat_load_dword v2, v[2:3] glc
	s_waitcnt vmcnt(0) lgkmcnt(0)
	buffer_invl2
	buffer_wbinvl1_vol
	v_cmp_eq_u32_e32 vcc, 0, v2
	s_and_b64 vcc, vcc, exec
	s_or_b64 s[70:71], s[70:71], vcc
.LBB4_9099:                             ;   in Loop: Header=BB4_9097 Depth=4
	s_andn2_b64 s[68:69], s[68:69], exec
	s_and_b64 s[72:73], s[72:73], exec
	s_mov_b64 vcc, -1
	s_or_b64 s[68:69], s[68:69], s[72:73]
	s_and_saveexec_b64 s[72:73], s[70:71]
	s_cbranch_execz .LBB4_9096
; %bb.9100:                             ;   in Loop: Header=BB4_9097 Depth=4
	s_sleep 1
	s_trap 2
	ds_read_b64 v[2:3], v0
	v_accvgpr_read_b32 v8, a14
	v_accvgpr_read_b32 v9, a15
	s_andn2_b64 s[68:69], s[68:69], exec
	s_waitcnt lgkmcnt(0)
	v_cmp_ge_u64_e32 vcc, v[2:3], v[8:9]
	s_orn2_b64 vcc, vcc, exec
	s_branch .LBB4_9096
.LBB4_9101:                             ;   in Loop: Header=BB4_9063 Depth=3
	s_or_b64 exec, exec, s[64:65]
	s_and_saveexec_b64 vcc, s[66:67]
	s_xor_b64 vcc, exec, vcc
	s_cbranch_execz .LBB4_9103
; %bb.9102:                             ;   in Loop: Header=BB4_9063 Depth=3
	v_mov_b32_e32 v2, 1
	ds_write_b32 v0, v2
	s_trap 2
.LBB4_9103:                             ;   in Loop: Header=BB4_9063 Depth=3
	s_or_b64 exec, exec, s[34:35]
	;;#ASMSTART
	s_wakeup
	;;#ASMEND
.LBB4_9104:                             ;   in Loop: Header=BB4_9063 Depth=3
	s_or_b64 exec, exec, s[30:31]
.LBB4_9105:                             ;   in Loop: Header=BB4_9063 Depth=3
	s_andn2_saveexec_b64 s[28:29], s[28:29]
	s_cbranch_execz .LBB4_9107
; %bb.9106:                             ;   in Loop: Header=BB4_9063 Depth=3
	s_waitcnt vmcnt(0) lgkmcnt(0)
	buffer_wbinvl1_vol
	s_barrier
.LBB4_9107:                             ;   in Loop: Header=BB4_9063 Depth=3
	s_or_b64 exec, exec, s[28:29]
.LBB4_9108:                             ;   in Loop: Header=BB4_9063 Depth=3
	s_or_b64 exec, exec, s[26:27]
	s_trap 2
	ds_read_b32 v2, v0
	v_and_b32_e32 v3, 0x4000, v34
	v_cmp_ne_u32_e32 vcc, 0, v3
	s_xor_b64 s[26:27], s[6:7], -1
	s_and_b64 s[28:29], s[26:27], vcc
	s_and_saveexec_b64 s[26:27], s[28:29]
	s_cbranch_execz .LBB4_9127
; %bb.9109:                             ;   in Loop: Header=BB4_9063 Depth=3
	s_and_saveexec_b64 s[28:29], s[44:45]
	s_xor_b64 s[28:29], exec, s[28:29]
	s_cbranch_execz .LBB4_9124
; %bb.9110:                             ;   in Loop: Header=BB4_9063 Depth=3
	s_and_saveexec_b64 s[30:31], s[16:17]
	s_cbranch_execz .LBB4_9123
; %bb.9111:                             ;   in Loop: Header=BB4_9063 Depth=3
	s_mov_b64 s[64:65], exec
	v_mbcnt_lo_u32_b32 v3, s64, 0
	v_mbcnt_hi_u32_b32 v3, s65, v3
	v_cmp_eq_u32_e32 vcc, 0, v3
	s_waitcnt vmcnt(0) lgkmcnt(0)
	buffer_wbinvl1_vol
	s_and_saveexec_b64 s[34:35], vcc
	s_cbranch_execz .LBB4_9113
; %bb.9112:                             ;   in Loop: Header=BB4_9063 Depth=3
	s_bcnt1_i32_b64 vcc_lo, s[64:65]
	v_mov_b32_e32 v42, vcc_lo
	ds_add_u64 v0, v[42:43]
	s_trap 2
.LBB4_9113:                             ;   in Loop: Header=BB4_9063 Depth=3
	s_or_b64 exec, exec, s[34:35]
	s_trap 2
	ds_read_b64 v[8:9], v0
	v_accvgpr_read_b32 v10, a14
	v_accvgpr_read_b32 v11, a15
	v_add_co_u32_e32 v10, vcc, v10, v46
	v_addc_co_u32_e32 v11, vcc, 0, v11, vcc
	v_accvgpr_write_b32 a15, v11
	v_accvgpr_write_b32 a14, v10
	s_waitcnt lgkmcnt(0)
	v_cmp_lt_u64_e32 vcc, v[8:9], v[10:11]
	s_and_saveexec_b64 s[34:35], vcc
	s_cbranch_execz .LBB4_9122
; %bb.9114:                             ;   in Loop: Header=BB4_9063 Depth=3
	s_mov_b32 s75, 0
	s_mov_b64 s[64:65], 0
                                        ; implicit-def: $sgpr66_sgpr67
                                        ; implicit-def: $sgpr68_sgpr69
	s_branch .LBB4_9116
.LBB4_9115:                             ;   in Loop: Header=BB4_9116 Depth=4
	s_or_b64 exec, exec, s[72:73]
	s_and_b64 vcc, exec, vcc
	s_or_b64 s[64:65], vcc, s[64:65]
	s_andn2_b64 vcc, s[66:67], exec
	s_and_b64 s[66:67], s[68:69], exec
	s_or_b64 s[66:67], vcc, s[66:67]
	s_andn2_b64 exec, exec, s[64:65]
	s_cbranch_execz .LBB4_9120
.LBB4_9116:                             ;   Parent Loop BB4_47 Depth=1
                                        ;     Parent Loop BB4_9060 Depth=2
                                        ;       Parent Loop BB4_9063 Depth=3
                                        ; =>      This Inner Loop Header: Depth=4
	s_add_i32 s75, s75, 1
	s_cmpk_lg_i32 s75, 0x2710
	s_cselect_b64 s[70:71], -1, 0
	s_and_b64 vcc, exec, s[70:71]
                                        ; implicit-def: $sgpr72_sgpr73
	s_cbranch_vccnz .LBB4_9118
; %bb.9117:                             ;   in Loop: Header=BB4_9116 Depth=4
	s_trap 2
	ds_read_b64 v[8:9], v0
	s_andn2_b64 s[70:71], s[70:71], exec
	s_mov_b32 s75, 0
	s_mov_b64 s[72:73], -1
	s_waitcnt lgkmcnt(0)
	flat_load_dword v3, v[8:9] glc
	s_waitcnt vmcnt(0) lgkmcnt(0)
	buffer_invl2
	buffer_wbinvl1_vol
	v_cmp_eq_u32_e32 vcc, 0, v3
	s_and_b64 vcc, vcc, exec
	s_or_b64 s[70:71], s[70:71], vcc
.LBB4_9118:                             ;   in Loop: Header=BB4_9116 Depth=4
	s_andn2_b64 s[68:69], s[68:69], exec
	s_and_b64 s[72:73], s[72:73], exec
	s_mov_b64 vcc, -1
	s_or_b64 s[68:69], s[68:69], s[72:73]
	s_and_saveexec_b64 s[72:73], s[70:71]
	s_cbranch_execz .LBB4_9115
; %bb.9119:                             ;   in Loop: Header=BB4_9116 Depth=4
	s_sleep 1
	s_trap 2
	ds_read_b64 v[8:9], v0
	v_accvgpr_read_b32 v10, a14
	v_accvgpr_read_b32 v11, a15
	s_andn2_b64 s[68:69], s[68:69], exec
	s_waitcnt lgkmcnt(0)
	v_cmp_ge_u64_e32 vcc, v[8:9], v[10:11]
	s_orn2_b64 vcc, vcc, exec
	s_branch .LBB4_9115
.LBB4_9120:                             ;   in Loop: Header=BB4_9063 Depth=3
	s_or_b64 exec, exec, s[64:65]
	s_and_saveexec_b64 vcc, s[66:67]
	s_xor_b64 vcc, exec, vcc
	s_cbranch_execz .LBB4_9122
; %bb.9121:                             ;   in Loop: Header=BB4_9063 Depth=3
	v_mov_b32_e32 v3, 1
	ds_write_b32 v0, v3
	s_trap 2
.LBB4_9122:                             ;   in Loop: Header=BB4_9063 Depth=3
	s_or_b64 exec, exec, s[34:35]
	;;#ASMSTART
	s_wakeup
	;;#ASMEND
.LBB4_9123:                             ;   in Loop: Header=BB4_9063 Depth=3
	s_or_b64 exec, exec, s[30:31]
.LBB4_9124:                             ;   in Loop: Header=BB4_9063 Depth=3
	s_andn2_saveexec_b64 s[28:29], s[28:29]
	s_cbranch_execz .LBB4_9126
; %bb.9125:                             ;   in Loop: Header=BB4_9063 Depth=3
	s_waitcnt vmcnt(0) lgkmcnt(0)
	buffer_wbinvl1_vol
	s_barrier
.LBB4_9126:                             ;   in Loop: Header=BB4_9063 Depth=3
	s_or_b64 exec, exec, s[28:29]
.LBB4_9127:                             ;   in Loop: Header=BB4_9063 Depth=3
	s_or_b64 exec, exec, s[26:27]
	s_trap 2
	ds_read_b64 v[8:9], v0
	v_mov_b32_e32 v18, 0
	s_waitcnt lgkmcnt(0)
	v_readfirstlane_b32 s26, v8
	v_readfirstlane_b32 s27, v9
	s_cmp_eq_u64 s[26:27], 0
	s_cselect_b64 s[26:27], -1, 0
	s_or_b64 s[26:27], s[26:27], s[26:27]
	s_and_b64 vcc, exec, s[26:27]
	s_cbranch_vccnz .LBB4_9136
; %bb.9128:                             ;   in Loop: Header=BB4_9063 Depth=3
	s_trap 2
	ds_read_b64 v[8:9], v0
	v_cmp_eq_u32_e64 s[26:27], 0, v2
	v_cndmask_b32_e64 v18, 0, v4, s[26:27]
	s_waitcnt lgkmcnt(0)
	v_cmp_ne_u64_e32 vcc, 0, v[8:9]
	s_cbranch_vccz .LBB4_9148
; %bb.9129:                             ;   in Loop: Header=BB4_9063 Depth=3
	s_mov_b64 s[28:29], -1
	s_and_saveexec_b64 s[26:27], s[20:21]
	s_cbranch_execz .LBB4_9131
; %bb.9130:                             ;   in Loop: Header=BB4_9063 Depth=3
	ds_read_b32 v2, v0 offset:720
	s_waitcnt lgkmcnt(0)
	v_and_b32_e32 v2, 15, v2
	v_cmp_eq_u32_e32 vcc, 0, v2
	s_orn2_b64 s[28:29], vcc, exec
.LBB4_9131:                             ;   in Loop: Header=BB4_9063 Depth=3
	s_or_b64 exec, exec, s[26:27]
	s_and_saveexec_b64 s[26:27], s[22:23]
	s_cbranch_execz .LBB4_9133
; %bb.9132:                             ;   in Loop: Header=BB4_9063 Depth=3
	ds_read_b32 v2, v0 offset:784
	s_waitcnt lgkmcnt(0)
	v_and_b32_e32 v2, 15, v2
	v_cmp_eq_u32_e32 vcc, 0, v2
	s_and_b64 vcc, s[28:29], vcc
	s_andn2_b64 s[28:29], s[28:29], exec
	s_and_b64 vcc, vcc, exec
	s_or_b64 s[28:29], s[28:29], vcc
.LBB4_9133:                             ;   in Loop: Header=BB4_9063 Depth=3
	s_or_b64 exec, exec, s[26:27]
	s_xor_b64 s[28:29], s[28:29], -1
	v_cndmask_b32_e64 v2, 0, 1, s[28:29]
	;;#ASMSTART
	;;#ASMEND
	s_mov_b64 s[26:27], -1
	v_cmp_ne_u32_e32 vcc, 0, v2
	v_mov_b32_e32 v5, 0
	v_mov_b32_e32 v14, v18
	v_accvgpr_read_b32 v15, a1
	v_accvgpr_read_b32 v2, a31
	s_cbranch_vccz .LBB4_9149
; %bb.9134:                             ;   in Loop: Header=BB4_9063 Depth=3
	s_and_saveexec_b64 s[30:31], s[26:27]
	s_cbranch_execnz .LBB4_9164
.LBB4_9135:                             ;   in Loop: Header=BB4_9063 Depth=3
	s_or_b64 exec, exec, s[30:31]
.LBB4_9136:                             ;   in Loop: Header=BB4_9063 Depth=3
	s_and_saveexec_b64 s[26:27], s[10:11]
	s_cbranch_execz .LBB4_9182
.LBB4_9137:                             ;   in Loop: Header=BB4_9063 Depth=3
	s_and_saveexec_b64 s[28:29], s[44:45]
	s_xor_b64 s[28:29], exec, s[28:29]
	s_cbranch_execz .LBB4_9212
; %bb.9138:                             ;   in Loop: Header=BB4_9063 Depth=3
	s_and_saveexec_b64 s[30:31], s[16:17]
	s_cbranch_execz .LBB4_9211
; %bb.9139:                             ;   in Loop: Header=BB4_9063 Depth=3
	s_mov_b64 s[64:65], exec
	v_mbcnt_lo_u32_b32 v2, s64, 0
	v_mbcnt_hi_u32_b32 v2, s65, v2
	v_cmp_eq_u32_e32 vcc, 0, v2
	s_waitcnt vmcnt(0) lgkmcnt(0)
	buffer_wbinvl1_vol
	s_and_saveexec_b64 s[34:35], vcc
	s_cbranch_execz .LBB4_9141
; %bb.9140:                             ;   in Loop: Header=BB4_9063 Depth=3
	s_bcnt1_i32_b64 vcc_lo, s[64:65]
	v_mov_b32_e32 v42, vcc_lo
	ds_add_u64 v0, v[42:43]
	s_trap 2
.LBB4_9141:                             ;   in Loop: Header=BB4_9063 Depth=3
	s_or_b64 exec, exec, s[34:35]
	s_trap 2
	ds_read_b64 v[2:3], v0
	v_accvgpr_read_b32 v8, a14
	v_accvgpr_read_b32 v9, a15
	v_add_co_u32_e32 v8, vcc, v8, v46
	v_addc_co_u32_e32 v9, vcc, 0, v9, vcc
	v_accvgpr_write_b32 a15, v9
	v_accvgpr_write_b32 a14, v8
	s_waitcnt lgkmcnt(0)
	v_cmp_lt_u64_e32 vcc, v[2:3], v[8:9]
	s_and_saveexec_b64 s[34:35], vcc
	s_cbranch_execz .LBB4_9210
; %bb.9142:                             ;   in Loop: Header=BB4_9063 Depth=3
	s_mov_b32 s75, 0
	s_mov_b64 s[64:65], 0
                                        ; implicit-def: $sgpr66_sgpr67
                                        ; implicit-def: $sgpr68_sgpr69
	s_branch .LBB4_9144
.LBB4_9143:                             ;   in Loop: Header=BB4_9144 Depth=4
	s_or_b64 exec, exec, s[72:73]
	s_and_b64 vcc, exec, vcc
	s_or_b64 s[64:65], vcc, s[64:65]
	s_andn2_b64 vcc, s[66:67], exec
	s_and_b64 s[66:67], s[68:69], exec
	s_or_b64 s[66:67], vcc, s[66:67]
	s_andn2_b64 exec, exec, s[64:65]
	s_cbranch_execz .LBB4_9208
.LBB4_9144:                             ;   Parent Loop BB4_47 Depth=1
                                        ;     Parent Loop BB4_9060 Depth=2
                                        ;       Parent Loop BB4_9063 Depth=3
                                        ; =>      This Inner Loop Header: Depth=4
	s_add_i32 s75, s75, 1
	s_cmpk_lg_i32 s75, 0x2710
	s_cselect_b64 s[70:71], -1, 0
	s_and_b64 vcc, exec, s[70:71]
                                        ; implicit-def: $sgpr72_sgpr73
	s_cbranch_vccnz .LBB4_9146
; %bb.9145:                             ;   in Loop: Header=BB4_9144 Depth=4
	s_trap 2
	ds_read_b64 v[2:3], v0
	s_andn2_b64 s[70:71], s[70:71], exec
	s_mov_b32 s75, 0
	s_mov_b64 s[72:73], -1
	s_waitcnt lgkmcnt(0)
	flat_load_dword v2, v[2:3] glc
	s_waitcnt vmcnt(0) lgkmcnt(0)
	buffer_invl2
	buffer_wbinvl1_vol
	v_cmp_eq_u32_e32 vcc, 0, v2
	s_and_b64 vcc, vcc, exec
	s_or_b64 s[70:71], s[70:71], vcc
.LBB4_9146:                             ;   in Loop: Header=BB4_9144 Depth=4
	s_andn2_b64 s[68:69], s[68:69], exec
	s_and_b64 s[72:73], s[72:73], exec
	s_mov_b64 vcc, -1
	s_or_b64 s[68:69], s[68:69], s[72:73]
	s_and_saveexec_b64 s[72:73], s[70:71]
	s_cbranch_execz .LBB4_9143
; %bb.9147:                             ;   in Loop: Header=BB4_9144 Depth=4
	s_sleep 1
	s_trap 2
	ds_read_b64 v[2:3], v0
	v_accvgpr_read_b32 v8, a14
	v_accvgpr_read_b32 v9, a15
	s_andn2_b64 s[68:69], s[68:69], exec
	s_waitcnt lgkmcnt(0)
	v_cmp_ge_u64_e32 vcc, v[2:3], v[8:9]
	s_orn2_b64 vcc, vcc, exec
	s_branch .LBB4_9143
.LBB4_9148:                             ;   in Loop: Header=BB4_9063 Depth=3
	s_cbranch_execnz .LBB4_9175
	s_branch .LBB4_9136
.LBB4_9149:                             ;   in Loop: Header=BB4_9063 Depth=3
	v_ashrrev_i32_e32 v2, 31, v18
	v_lshrrev_b32_e32 v2, 21, v2
	v_add_u32_e32 v2, v18, v2
	v_ashrrev_i32_e32 v5, 11, v2
	v_accvgpr_read_b32 v2, a31
	v_sub_u32_e32 v12, v5, v2
	v_cmp_lt_i32_e32 vcc, 0, v12
	s_and_saveexec_b64 s[26:27], vcc
	s_cbranch_execz .LBB4_9153
; %bb.9150:                             ;   in Loop: Header=BB4_9063 Depth=3
	s_trap 2
	ds_read_b64 v[2:3], v0
	ds_read_b128 v[8:11], v0
	v_accvgpr_read_b32 v14, a44
	v_accvgpr_read_b32 v15, a45
	s_mov_b64 s[28:29], 0
	s_waitcnt lgkmcnt(0)
	v_add_co_u32_e32 v2, vcc, v2, v14
	v_addc_co_u32_e32 v3, vcc, v3, v15, vcc
	v_add_co_u32_e32 v8, vcc, v8, v14
	v_addc_co_u32_e32 v9, vcc, v9, v15, vcc
	;; [unrolled: 2-line block ×3, first 2 shown]
.LBB4_9151:                             ;   Parent Loop BB4_47 Depth=1
                                        ;     Parent Loop BB4_9060 Depth=2
                                        ;       Parent Loop BB4_9063 Depth=3
                                        ; =>      This Inner Loop Header: Depth=4
	global_load_dwordx4 v[20:23], v[2:3], off glc slc
	global_load_dwordx4 v[24:27], v[2:3], off offset:1024 glc slc
	v_add_co_u32_e32 v2, vcc, v2, v58
	v_addc_co_u32_e32 v3, vcc, v3, v55, vcc
	v_sub_u32_e32 v12, v12, v46
	v_cmp_gt_i32_e32 vcc, 1, v12
	s_or_b64 s[28:29], vcc, s[28:29]
	s_waitcnt vmcnt(0)
	global_store_dwordx4 v[8:9], v[20:23], off glc slc
	global_store_dwordx4 v[8:9], v[24:27], off offset:1024 glc slc
	global_store_dwordx4 v[10:11], v[20:23], off glc slc
	global_store_dwordx4 v[10:11], v[24:27], off offset:1024 glc slc
	v_add_co_u32_e32 v8, vcc, v8, v58
	v_addc_co_u32_e32 v9, vcc, v9, v55, vcc
	v_add_co_u32_e32 v10, vcc, v10, v58
	v_addc_co_u32_e32 v11, vcc, v11, v55, vcc
	s_andn2_b64 exec, exec, s[28:29]
	s_cbranch_execnz .LBB4_9151
; %bb.9152:                             ;   in Loop: Header=BB4_9063 Depth=3
	s_or_b64 exec, exec, s[28:29]
.LBB4_9153:                             ;   in Loop: Header=BB4_9063 Depth=3
	s_or_b64 exec, exec, s[26:27]
	v_lshlrev_b32_e32 v19, 11, v5
	v_cmp_ne_u32_e32 vcc, v18, v19
	s_mov_b64 s[26:27], 0
	v_mov_b32_e32 v5, 0
                                        ; implicit-def: $vgpr14
                                        ; implicit-def: $vgpr15
                                        ; implicit-def: $vgpr2
	s_and_saveexec_b64 s[64:65], vcc
	s_cbranch_execz .LBB4_9163
; %bb.9154:                             ;   in Loop: Header=BB4_9063 Depth=3
	v_lshlrev_b32_e32 v2, 6, v12
	v_accvgpr_read_b32 v5, a40
	v_sub_u32_e32 v2, v5, v2
	v_sub_u32_e32 v3, v18, v19
	v_ashrrev_i32_e32 v5, 31, v2
	v_lshrrev_b32_e32 v5, 26, v5
	v_ashrrev_i32_e32 v9, 31, v3
	v_add_u32_e32 v5, v2, v5
	v_lshrrev_b32_e32 v9, 22, v9
	v_ashrrev_i32_e32 v8, 6, v5
	v_and_b32_e32 v5, 0xffffffc0, v5
	v_add_u32_e32 v9, v3, v9
	v_sub_u32_e32 v20, v2, v5
	v_and_b32_e32 v21, 0xfffffc00, v9
	v_lshlrev_b32_e32 v2, 4, v20
	v_sub_u32_e32 v23, v3, v21
	v_lshl_add_u32 v2, v8, 10, v2
	v_ashrrev_i32_e32 v10, 10, v9
	v_cmp_lt_i32_e64 s[26:27], 15, v23
	v_sub_u32_e32 v5, v3, v2
	v_addc_co_u32_e64 v3, vcc, 0, v10, s[26:27]
	v_sub_u32_e32 v22, v3, v8
	v_cmp_lt_i32_e32 vcc, 15, v5
	s_and_saveexec_b64 s[66:67], vcc
	s_cbranch_execz .LBB4_9160
; %bb.9155:                             ;   in Loop: Header=BB4_9063 Depth=3
	s_trap 2
	ds_read_b64 v[12:13], v0
	ds_read_b128 v[8:11], v0
	v_add_u32_e32 v24, v2, v19
	v_ashrrev_i32_e32 v25, 31, v24
	s_mov_b64 s[68:69], 0
	s_waitcnt lgkmcnt(0)
	v_add_co_u32_e32 v14, vcc, v12, v24
	v_addc_co_u32_e32 v15, vcc, v13, v25, vcc
	v_add_co_u32_e32 v2, vcc, v8, v24
	v_addc_co_u32_e32 v3, vcc, v9, v25, vcc
	;; [unrolled: 2-line block ×3, first 2 shown]
.LBB4_9156:                             ;   Parent Loop BB4_47 Depth=1
                                        ;     Parent Loop BB4_9060 Depth=2
                                        ;       Parent Loop BB4_9063 Depth=3
                                        ; =>      This Loop Header: Depth=4
                                        ;           Child Loop BB4_9157 Depth 5
	global_load_dwordx4 v[10:13], v[14:15], off glc slc
	s_mov_b64 s[30:31], -1
	s_mov_b64 s[34:35], 0
	s_waitcnt vmcnt(0)
.LBB4_9157:                             ;   Parent Loop BB4_47 Depth=1
                                        ;     Parent Loop BB4_9060 Depth=2
                                        ;       Parent Loop BB4_9063 Depth=3
                                        ;         Parent Loop BB4_9156 Depth=4
                                        ; =>        This Inner Loop Header: Depth=5
	s_cmp_eq_u32 s34, 0
	v_cndmask_b32_e64 v24, 0, 1, s[30:31]
	s_cselect_b64 s[30:31], -1, 0
	s_cmp_eq_u32 s34, 1
	s_cselect_b64 s[34:35], -1, 0
	v_cmp_ne_u32_e64 s[28:29], 1, v24
	v_cndmask_b32_e64 v25, v3, v9, s[34:35]
	v_cndmask_b32_e64 v24, v2, v8, s[34:35]
	global_store_dwordx4 v[24:25], v[10:13], off glc slc
	v_add_co_u32_e32 v24, vcc, 0x400, v24
	v_addc_co_u32_e32 v25, vcc, 0, v25, vcc
	v_cndmask_b32_e64 v9, v9, v25, s[34:35]
	v_cndmask_b32_e64 v8, v8, v24, s[34:35]
	;; [unrolled: 1-line block ×4, first 2 shown]
	s_mov_b64 s[34:35], 1
	s_mov_b64 s[30:31], 0
	s_and_b64 vcc, exec, s[28:29]
	s_cbranch_vccz .LBB4_9157
; %bb.9158:                             ;   in Loop: Header=BB4_9156 Depth=4
	v_accvgpr_read_b32 v10, a32
	v_add_co_u32_e32 v2, vcc, v2, v10
	v_accvgpr_read_b32 v11, a35
	v_addc_co_u32_e32 v3, vcc, v3, v11, vcc
	v_add_co_u32_e32 v8, vcc, v8, v10
	v_addc_co_u32_e32 v9, vcc, v9, v11, vcc
	v_accvgpr_read_b32 v10, a41
	v_add_co_u32_e32 v14, vcc, v10, v14
	v_accvgpr_read_b32 v10, a42
	v_addc_co_u32_e32 v15, vcc, v10, v15, vcc
	v_accvgpr_read_b32 v10, a28
	v_sub_u32_e32 v5, v5, v10
	v_cmp_gt_i32_e32 vcc, 16, v5
	s_or_b64 s[68:69], vcc, s[68:69]
	v_sub_u32_e32 v22, v22, v46
	s_andn2_b64 exec, exec, s[68:69]
	s_cbranch_execnz .LBB4_9156
; %bb.9159:                             ;   in Loop: Header=BB4_9063 Depth=3
	s_or_b64 exec, exec, s[68:69]
.LBB4_9160:                             ;   in Loop: Header=BB4_9063 Depth=3
	s_or_b64 exec, exec, s[66:67]
	v_and_b32_e32 v3, 15, v18
	v_cndmask_b32_e64 v14, v23, v3, s[26:27]
	v_cmp_ne_u32_e32 vcc, 0, v14
	s_mov_b64 s[28:29], 0
	v_mov_b32_e32 v5, 0
                                        ; implicit-def: $vgpr15
                                        ; implicit-def: $vgpr2
	s_and_saveexec_b64 s[30:31], vcc
	s_cbranch_execz .LBB4_9162
; %bb.9161:                             ;   in Loop: Header=BB4_9063 Depth=3
	v_sub_u32_e32 v2, v23, v3
	v_cndmask_b32_e64 v2, 0, v2, s[26:27]
	v_cmp_lt_i32_e32 vcc, 0, v22
	v_add3_u32 v5, v21, v19, v2
	v_cndmask_b32_e32 v2, 0, v46, vcc
	v_sub_u32_e32 v2, v2, v22
	v_lshl_add_u32 v15, v2, 6, v20
	v_ashrrev_i32_e32 v2, 31, v15
	v_lshrrev_b32_e32 v2, 26, v2
	v_add_u32_e32 v2, v15, v2
	s_mov_b64 s[28:29], exec
	v_ashrrev_i32_e32 v2, 6, v2
.LBB4_9162:                             ;   in Loop: Header=BB4_9063 Depth=3
	s_or_b64 exec, exec, s[30:31]
	s_and_b64 s[26:27], s[28:29], exec
.LBB4_9163:                             ;   in Loop: Header=BB4_9063 Depth=3
	s_or_b64 exec, exec, s[64:65]
	s_and_saveexec_b64 s[30:31], s[26:27]
	s_cbranch_execz .LBB4_9135
.LBB4_9164:                             ;   in Loop: Header=BB4_9063 Depth=3
	v_ashrrev_i32_e32 v3, 31, v14
	v_lshrrev_b32_e32 v3, 22, v3
	v_add_u32_e32 v3, v14, v3
	v_ashrrev_i32_e32 v21, 10, v3
	v_sub_u32_e32 v19, v21, v2
	v_ashrrev_i32_e32 v3, 31, v15
	v_cmp_lt_i32_e32 vcc, 0, v19
	v_lshrrev_b32_e32 v20, 26, v3
	s_and_saveexec_b64 s[28:29], vcc
	s_cbranch_execz .LBB4_9168
; %bb.9165:                             ;   in Loop: Header=BB4_9063 Depth=3
	s_trap 2
	ds_read_b64 v[12:13], v0
	ds_read_b128 v[8:11], v0
	v_add_u32_e32 v3, v15, v20
	v_and_b32_e32 v3, 0xffffffc0, v3
	v_sub_u32_e32 v3, v15, v3
	v_lshlrev_b32_e32 v2, 10, v2
	v_add3_u32 v22, v5, v3, v2
	v_ashrrev_i32_e32 v23, 31, v22
	s_waitcnt lgkmcnt(0)
	v_add_co_u32_e32 v2, vcc, v8, v22
	v_addc_co_u32_e32 v3, vcc, v9, v23, vcc
	v_add_co_u32_e32 v8, vcc, v10, v22
	v_addc_co_u32_e32 v9, vcc, v11, v23, vcc
	;; [unrolled: 2-line block ×4, first 2 shown]
	s_mov_b64 s[34:35], 0
	v_accvgpr_read_b32 v51, a41
	v_accvgpr_read_b32 v52, a42
.LBB4_9166:                             ;   Parent Loop BB4_47 Depth=1
                                        ;     Parent Loop BB4_9060 Depth=2
                                        ;       Parent Loop BB4_9063 Depth=3
                                        ; =>      This Inner Loop Header: Depth=4
	v_add_co_u32_e32 v12, vcc, 0xfffffc40, v10
	v_add_co_u32_e64 v24, s[26:27], s94, v10
	v_addc_co_u32_e32 v13, vcc, -1, v11, vcc
	v_addc_co_u32_e64 v25, s[26:27], -1, v11, s[26:27]
	v_add_co_u32_e32 v28, vcc, 0xfffffc80, v10
	v_add_co_u32_e64 v26, s[26:27], s80, v10
	v_addc_co_u32_e32 v29, vcc, -1, v11, vcc
	v_addc_co_u32_e64 v27, s[26:27], -1, v11, s[26:27]
	flat_load_ubyte v22, v[10:11] glc slc
	flat_load_ubyte v23, v[24:25] glc slc
	s_nop 0
	flat_load_ubyte v24, v[26:27] glc slc
	s_nop 0
	flat_load_ubyte v12, v[12:13] glc slc
	v_add_co_u32_e32 v26, vcc, 0xfffffcc0, v10
	v_addc_co_u32_e32 v27, vcc, -1, v11, vcc
	flat_load_ubyte v13, v[28:29] glc slc
	v_add_co_u32_e32 v28, vcc, 0xfffffd00, v10
	v_addc_co_u32_e32 v29, vcc, -1, v11, vcc
	;; [unrolled: 3-line block ×10, first 2 shown]
	flat_load_ubyte v50, v[26:27] glc slc
	v_add_co_u32_e32 v26, vcc, s46, v10
	flat_load_ubyte v28, v[28:29] glc slc
	v_addc_co_u32_e32 v27, vcc, -1, v11, vcc
	flat_load_ubyte v26, v[26:27] glc slc
	v_sub_u32_e32 v19, v19, v46
	v_cmp_gt_i32_e32 vcc, 1, v19
	s_or_b64 s[34:35], vcc, s[34:35]
	v_add_co_u32_e32 v10, vcc, v10, v51
	v_addc_co_u32_e32 v11, vcc, v11, v52, vcc
	s_waitcnt vmcnt(0) lgkmcnt(0)
	flat_store_byte v[2:3], v22 offset:960 glc slc
	flat_store_byte v[2:3], v23 offset:832 glc slc
	;; [unrolled: 1-line block ×3, first 2 shown]
	flat_store_byte v[2:3], v12 glc slc
	flat_store_byte v[2:3], v13 offset:64 glc slc
	flat_store_byte v[2:3], v25 offset:128 glc slc
	flat_store_byte v[2:3], v30 offset:192 glc slc
	flat_store_byte v[2:3], v32 offset:256 glc slc
	flat_store_byte v[2:3], v33 offset:320 glc slc
	flat_store_byte v[2:3], v36 offset:384 glc slc
	flat_store_byte v[2:3], v37 offset:448 glc slc
	flat_store_byte v[2:3], v38 offset:512 glc slc
	flat_store_byte v[2:3], v39 offset:576 glc slc
	flat_store_byte v[2:3], v50 offset:640 glc slc
	flat_store_byte v[2:3], v28 offset:704 glc slc
	flat_store_byte v[2:3], v26 offset:768 glc slc
	flat_store_byte v[8:9], v12 glc slc
	flat_store_byte v[8:9], v13 offset:64 glc slc
	flat_store_byte v[8:9], v25 offset:128 glc slc
	flat_store_byte v[8:9], v30 offset:192 glc slc
	flat_store_byte v[8:9], v32 offset:256 glc slc
	flat_store_byte v[8:9], v33 offset:320 glc slc
	flat_store_byte v[8:9], v36 offset:384 glc slc
	flat_store_byte v[8:9], v37 offset:448 glc slc
	flat_store_byte v[8:9], v38 offset:512 glc slc
	flat_store_byte v[8:9], v39 offset:576 glc slc
	flat_store_byte v[8:9], v50 offset:640 glc slc
	flat_store_byte v[8:9], v28 offset:704 glc slc
	flat_store_byte v[8:9], v26 offset:768 glc slc
	flat_store_byte v[8:9], v23 offset:832 glc slc
	flat_store_byte v[8:9], v24 offset:896 glc slc
	flat_store_byte v[8:9], v22 offset:960 glc slc
	v_add_co_u32_e32 v2, vcc, v2, v51
	v_addc_co_u32_e32 v3, vcc, v3, v52, vcc
	v_add_co_u32_e32 v8, vcc, v8, v51
	v_addc_co_u32_e32 v9, vcc, v9, v52, vcc
	s_andn2_b64 exec, exec, s[34:35]
	s_cbranch_execnz .LBB4_9166
; %bb.9167:                             ;   in Loop: Header=BB4_9063 Depth=3
	s_or_b64 exec, exec, s[34:35]
	v_accvgpr_read_b32 v29, a9
	v_accvgpr_read_b32 v28, a8
.LBB4_9168:                             ;   in Loop: Header=BB4_9063 Depth=3
	s_or_b64 exec, exec, s[28:29]
	v_lshlrev_b32_e32 v2, 10, v21
	v_cmp_ne_u32_e32 vcc, v14, v2
	s_and_saveexec_b64 s[34:35], vcc
	s_cbranch_execz .LBB4_9174
; %bb.9169:                             ;   in Loop: Header=BB4_9063 Depth=3
	v_add_u32_e32 v3, v15, v20
	v_and_b32_e32 v3, 0xffffffc0, v3
	v_sub_u32_e32 v3, v15, v3
	v_lshlrev_b32_e32 v8, 6, v19
	v_sub_u32_e32 v3, v3, v8
	v_add_u32_e32 v2, v2, v3
	v_sub_u32_e32 v12, v14, v2
	v_cmp_lt_i32_e32 vcc, 0, v12
	s_and_b64 exec, exec, vcc
	s_cbranch_execz .LBB4_9174
; %bb.9170:                             ;   in Loop: Header=BB4_9063 Depth=3
	s_trap 2
	ds_read_b64 v[8:9], v0
	ds_read_b128 v[20:23], v0
	v_add_u32_e32 v5, v2, v5
	v_ashrrev_i32_e32 v13, 31, v5
	s_mov_b64 s[64:65], 0
	s_waitcnt lgkmcnt(0)
	v_add_co_u32_e32 v10, vcc, v8, v5
	v_addc_co_u32_e32 v11, vcc, v9, v13, vcc
	v_add_co_u32_e32 v2, vcc, v20, v5
	v_addc_co_u32_e32 v3, vcc, v21, v13, vcc
	;; [unrolled: 2-line block ×3, first 2 shown]
.LBB4_9171:                             ;   Parent Loop BB4_47 Depth=1
                                        ;     Parent Loop BB4_9060 Depth=2
                                        ;       Parent Loop BB4_9063 Depth=3
                                        ; =>      This Loop Header: Depth=4
                                        ;           Child Loop BB4_9172 Depth 5
	flat_load_ubyte v5, v[10:11] glc slc
	s_mov_b64 s[66:67], -1
	s_mov_b64 s[68:69], 0
	s_waitcnt vmcnt(0)
.LBB4_9172:                             ;   Parent Loop BB4_47 Depth=1
                                        ;     Parent Loop BB4_9060 Depth=2
                                        ;       Parent Loop BB4_9063 Depth=3
                                        ;         Parent Loop BB4_9171 Depth=4
                                        ; =>        This Inner Loop Header: Depth=5
	s_cmp_eq_u32 s68, 1
	s_cselect_b64 vcc, -1, 0
	v_cndmask_b32_e32 v14, v2, v8, vcc
	v_cndmask_b32_e32 v15, v3, v9, vcc
	v_add_co_u32_e64 v13, s[26:27], 64, v14
	s_cmp_eq_u32 s68, 0
	s_waitcnt lgkmcnt(0)
	flat_store_byte v[14:15], v5 glc slc
	v_addc_co_u32_e64 v14, s[26:27], 0, v15, s[26:27]
	s_cselect_b64 s[26:27], -1, 0
	s_and_b64 s[28:29], exec, s[66:67]
	s_mov_b64 s[68:69], 1
	s_mov_b64 s[66:67], 0
	v_cndmask_b32_e32 v9, v9, v14, vcc
	v_cndmask_b32_e32 v8, v8, v13, vcc
	v_cndmask_b32_e64 v3, v3, v14, s[26:27]
	v_cndmask_b32_e64 v2, v2, v13, s[26:27]
	s_mov_b64 vcc, s[28:29]
	s_cbranch_vccnz .LBB4_9172
; %bb.9173:                             ;   in Loop: Header=BB4_9171 Depth=4
	v_accvgpr_read_b32 v14, a30
	v_add_co_u32_e32 v2, vcc, v2, v14
	v_accvgpr_read_b32 v5, a29
	v_addc_co_u32_e32 v3, vcc, v3, v5, vcc
	v_add_co_u32_e32 v8, vcc, v8, v14
	v_addc_co_u32_e32 v9, vcc, v9, v5, vcc
	v_sub_u32_e32 v12, v12, v41
	v_cmp_gt_i32_e32 vcc, 1, v12
	v_accvgpr_read_b32 v5, a36
	s_or_b64 s[64:65], vcc, s[64:65]
	v_add_co_u32_e32 v10, vcc, v5, v10
	v_accvgpr_read_b32 v5, a37
	v_addc_co_u32_e32 v11, vcc, v5, v11, vcc
	s_andn2_b64 exec, exec, s[64:65]
	s_cbranch_execnz .LBB4_9171
.LBB4_9174:                             ;   in Loop: Header=BB4_9063 Depth=3
	s_or_b64 exec, exec, s[34:35]
	s_or_b64 exec, exec, s[30:31]
	s_branch .LBB4_9136
.LBB4_9175:                             ;   in Loop: Header=BB4_9063 Depth=3
	s_mov_b64 s[26:27], -1
	s_and_saveexec_b64 s[28:29], s[20:21]
	s_cbranch_execz .LBB4_9177
; %bb.9176:                             ;   in Loop: Header=BB4_9063 Depth=3
	ds_read_b32 v2, v0 offset:720
	s_waitcnt lgkmcnt(0)
	v_and_b32_e32 v2, 15, v2
	v_cmp_eq_u32_e32 vcc, 0, v2
	s_orn2_b64 s[26:27], vcc, exec
.LBB4_9177:                             ;   in Loop: Header=BB4_9063 Depth=3
	s_or_b64 exec, exec, s[28:29]
	s_and_saveexec_b64 s[28:29], s[18:19]
	s_cbranch_execz .LBB4_9179
; %bb.9178:                             ;   in Loop: Header=BB4_9063 Depth=3
	ds_read_b32 v2, v0 offset:784
	s_waitcnt lgkmcnt(0)
	v_and_b32_e32 v2, 15, v2
	v_cmp_eq_u32_e32 vcc, 0, v2
	s_and_b64 vcc, s[26:27], vcc
	s_andn2_b64 s[26:27], s[26:27], exec
	s_and_b64 vcc, vcc, exec
	s_or_b64 s[26:27], s[26:27], vcc
.LBB4_9179:                             ;   in Loop: Header=BB4_9063 Depth=3
	s_or_b64 exec, exec, s[28:29]
	s_xor_b64 s[26:27], s[26:27], -1
	v_cndmask_b32_e64 v2, 0, 1, s[26:27]
	s_mov_b64 s[30:31], -1
	;;#ASMSTART
	;;#ASMEND
	v_cmp_ne_u32_e32 vcc, 0, v2
	v_mov_b32_e32 v9, 0
	v_mov_b32_e32 v12, v18
	v_accvgpr_read_b32 v13, a1
	v_accvgpr_read_b32 v5, a31
	s_cbranch_vccz .LBB4_9186
; %bb.9180:                             ;   in Loop: Header=BB4_9063 Depth=3
	s_and_saveexec_b64 s[26:27], s[30:31]
	s_cbranch_execnz .LBB4_9199
.LBB4_9181:                             ;   in Loop: Header=BB4_9063 Depth=3
	s_or_b64 exec, exec, s[26:27]
	s_and_saveexec_b64 s[26:27], s[10:11]
	s_cbranch_execnz .LBB4_9137
.LBB4_9182:                             ;   in Loop: Header=BB4_9063 Depth=3
	s_or_b64 exec, exec, s[26:27]
                                        ; implicit-def: $vgpr2
	s_and_saveexec_b64 s[26:27], s[24:25]
	s_xor_b64 s[28:29], exec, s[26:27]
	s_cbranch_execz .LBB4_9215
.LBB4_9183:                             ;   in Loop: Header=BB4_9063 Depth=3
	v_and_b32_e32 v3, 16, v34
	v_cmp_lt_i32_e32 vcc, 0, v18
	v_cmp_ne_u32_e64 s[26:27], 0, v3
	v_and_b32_e32 v2, 16, v34
	s_and_b64 vcc, s[26:27], vcc
	s_and_saveexec_b64 s[26:27], vcc
	s_cbranch_execz .LBB4_9185
; %bb.9184:                             ;   in Loop: Header=BB4_9063 Depth=3
	v_mov_b32_e32 v2, 1
	s_waitcnt vmcnt(0) lgkmcnt(0)
	buffer_wbinvl1_vol
.LBB4_9185:                             ;   in Loop: Header=BB4_9063 Depth=3
	s_or_b64 exec, exec, s[26:27]
	s_andn2_saveexec_b64 s[26:27], s[28:29]
	s_cbranch_execz .LBB4_9234
	s_branch .LBB4_9216
.LBB4_9186:                             ;   in Loop: Header=BB4_9063 Depth=3
	v_ashrrev_i32_e32 v2, 31, v18
	v_lshrrev_b32_e32 v2, 21, v2
	v_add_u32_e32 v2, v18, v2
	v_ashrrev_i32_e32 v5, 11, v2
	v_accvgpr_read_b32 v2, a31
	v_sub_u32_e32 v11, v5, v2
	v_cmp_lt_i32_e32 vcc, 0, v11
	s_and_saveexec_b64 s[26:27], vcc
	s_cbranch_execz .LBB4_9190
; %bb.9187:                             ;   in Loop: Header=BB4_9063 Depth=3
	s_trap 2
	ds_read_b64 v[2:3], v0
	v_accvgpr_read_b32 v8, a44
	s_mov_b64 s[28:29], 0
	v_accvgpr_read_b32 v9, a45
.LBB4_9188:                             ;   Parent Loop BB4_47 Depth=1
                                        ;     Parent Loop BB4_9060 Depth=2
                                        ;       Parent Loop BB4_9063 Depth=3
                                        ; =>      This Inner Loop Header: Depth=4
	s_waitcnt lgkmcnt(0)
	v_add_co_u32_e32 v24, vcc, v2, v8
	v_addc_co_u32_e32 v25, vcc, v3, v9, vcc
	global_load_dwordx4 v[12:15], v[24:25], off glc slc
	global_load_dwordx4 v[20:23], v[24:25], off offset:1024 glc slc
	v_add_co_u32_e32 v8, vcc, v8, v58
	v_sub_u32_e32 v11, v11, v46
	v_addc_co_u32_e32 v9, vcc, v9, v55, vcc
	v_cmp_gt_i32_e32 vcc, 1, v11
	s_or_b64 s[28:29], vcc, s[28:29]
	s_waitcnt vmcnt(0)
	global_store_dwordx4 v[24:25], v[12:15], off glc slc
	global_store_dwordx4 v[24:25], v[20:23], off offset:1024 glc slc
	s_andn2_b64 exec, exec, s[28:29]
	s_cbranch_execnz .LBB4_9188
; %bb.9189:                             ;   in Loop: Header=BB4_9063 Depth=3
	s_or_b64 exec, exec, s[28:29]
.LBB4_9190:                             ;   in Loop: Header=BB4_9063 Depth=3
	s_or_b64 exec, exec, s[26:27]
	v_lshlrev_b32_e32 v10, 11, v5
	v_cmp_ne_u32_e32 vcc, v18, v10
	s_mov_b64 s[30:31], 0
	v_mov_b32_e32 v9, 0
                                        ; implicit-def: $vgpr12
                                        ; implicit-def: $vgpr13
                                        ; implicit-def: $vgpr5
	s_and_saveexec_b64 s[28:29], vcc
	s_cbranch_execz .LBB4_9198
; %bb.9191:                             ;   in Loop: Header=BB4_9063 Depth=3
	v_lshlrev_b32_e32 v3, 6, v11
	v_accvgpr_read_b32 v5, a40
	v_sub_u32_e32 v3, v5, v3
	v_ashrrev_i32_e32 v5, 31, v3
	v_lshrrev_b32_e32 v5, 26, v5
	v_add_u32_e32 v5, v3, v5
	v_ashrrev_i32_e32 v8, 6, v5
	v_and_b32_e32 v5, 0xffffffc0, v5
	v_sub_u32_e32 v11, v3, v5
	v_sub_u32_e32 v2, v18, v10
	v_lshlrev_b32_e32 v3, 4, v11
	v_lshl_add_u32 v5, v8, 10, v3
	v_ashrrev_i32_e32 v3, 31, v2
	v_lshrrev_b32_e32 v3, 22, v3
	v_add_u32_e32 v3, v2, v3
	v_and_b32_e32 v14, 0xfffffc00, v3
	v_sub_u32_e32 v19, v2, v14
	v_ashrrev_i32_e32 v12, 10, v3
	v_cmp_lt_i32_e32 vcc, 15, v19
	v_sub_u32_e32 v9, v2, v5
	v_addc_co_u32_e64 v2, s[26:27], 0, v12, vcc
	v_sub_u32_e32 v15, v2, v8
	v_cmp_lt_i32_e64 s[26:27], 15, v9
	s_and_saveexec_b64 s[30:31], s[26:27]
	s_cbranch_execz .LBB4_9195
; %bb.9192:                             ;   in Loop: Header=BB4_9063 Depth=3
	s_trap 2
	ds_read_b64 v[2:3], v0
	v_add_u32_e32 v8, v5, v10
	v_ashrrev_i32_e32 v5, 31, v8
	s_mov_b64 s[34:35], 0
	v_accvgpr_read_b32 v24, a28
	v_accvgpr_read_b32 v25, a41
	;; [unrolled: 1-line block ×3, first 2 shown]
.LBB4_9193:                             ;   Parent Loop BB4_47 Depth=1
                                        ;     Parent Loop BB4_9060 Depth=2
                                        ;       Parent Loop BB4_9063 Depth=3
                                        ; =>      This Inner Loop Header: Depth=4
	s_waitcnt lgkmcnt(0)
	v_add_co_u32_e64 v12, s[26:27], v2, v8
	v_addc_co_u32_e64 v13, s[26:27], v3, v5, s[26:27]
	global_load_dwordx4 v[20:23], v[12:13], off glc slc
	v_add_co_u32_e64 v8, s[26:27], v8, v25
	v_sub_u32_e32 v9, v9, v24
	v_addc_co_u32_e64 v5, s[26:27], v5, v26, s[26:27]
	v_cmp_gt_i32_e64 s[26:27], 16, v9
	v_sub_u32_e32 v15, v15, v46
	s_or_b64 s[34:35], s[26:27], s[34:35]
	s_waitcnt vmcnt(0)
	global_store_dwordx4 v[12:13], v[20:23], off glc slc
	s_andn2_b64 exec, exec, s[34:35]
	s_cbranch_execnz .LBB4_9193
; %bb.9194:                             ;   in Loop: Header=BB4_9063 Depth=3
	s_or_b64 exec, exec, s[34:35]
.LBB4_9195:                             ;   in Loop: Header=BB4_9063 Depth=3
	s_or_b64 exec, exec, s[30:31]
	v_and_b32_e32 v2, 15, v18
	v_cndmask_b32_e32 v12, v19, v2, vcc
	v_cmp_ne_u32_e64 s[26:27], 0, v12
	s_mov_b64 s[30:31], 0
	v_mov_b32_e32 v9, 0
                                        ; implicit-def: $vgpr13
                                        ; implicit-def: $vgpr5
	s_and_saveexec_b64 s[34:35], s[26:27]
	s_cbranch_execz .LBB4_9197
; %bb.9196:                             ;   in Loop: Header=BB4_9063 Depth=3
	v_sub_u32_e32 v2, v19, v2
	v_cndmask_b32_e32 v2, 0, v2, vcc
	v_cmp_lt_i32_e32 vcc, 0, v15
	v_add3_u32 v9, v14, v10, v2
	v_cndmask_b32_e32 v2, 0, v46, vcc
	v_sub_u32_e32 v2, v2, v15
	v_lshl_add_u32 v13, v2, 6, v11
	v_ashrrev_i32_e32 v2, 31, v13
	v_lshrrev_b32_e32 v2, 26, v2
	v_add_u32_e32 v2, v13, v2
	s_mov_b64 s[30:31], exec
	v_ashrrev_i32_e32 v5, 6, v2
.LBB4_9197:                             ;   in Loop: Header=BB4_9063 Depth=3
	s_or_b64 exec, exec, s[34:35]
	s_and_b64 s[30:31], s[30:31], exec
.LBB4_9198:                             ;   in Loop: Header=BB4_9063 Depth=3
	s_or_b64 exec, exec, s[28:29]
	s_and_saveexec_b64 s[26:27], s[30:31]
	s_cbranch_execz .LBB4_9181
.LBB4_9199:                             ;   in Loop: Header=BB4_9063 Depth=3
	v_ashrrev_i32_e32 v2, 31, v12
	v_lshrrev_b32_e32 v2, 22, v2
	v_add_u32_e32 v2, v12, v2
	v_ashrrev_i32_e32 v15, 10, v2
	v_sub_u32_e32 v14, v15, v5
	v_cmp_lt_i32_e32 vcc, 0, v14
	s_and_saveexec_b64 s[28:29], vcc
	s_cbranch_execz .LBB4_9203
; %bb.9200:                             ;   in Loop: Header=BB4_9063 Depth=3
	v_ashrrev_i32_e32 v8, 31, v13
	s_trap 2
	ds_read_b64 v[2:3], v0
	v_lshrrev_b32_e32 v8, 26, v8
	v_add_u32_e32 v8, v13, v8
	v_and_b32_e32 v8, 0xffffffc0, v8
	v_sub_u32_e32 v8, v13, v8
	v_lshlrev_b32_e32 v5, 10, v5
	v_add3_u32 v8, v9, v8, v5
	v_ashrrev_i32_e32 v5, 31, v8
	s_mov_b64 s[30:31], 0
	s_waitcnt lgkmcnt(0)
	v_pk_mov_b32 v[10:11], v[2:3], v[2:3] op_sel:[0,1]
	v_accvgpr_read_b32 v50, a41
	v_accvgpr_read_b32 v51, a42
.LBB4_9201:                             ;   Parent Loop BB4_47 Depth=1
                                        ;     Parent Loop BB4_9060 Depth=2
                                        ;       Parent Loop BB4_9063 Depth=3
                                        ; =>      This Inner Loop Header: Depth=4
	v_add_co_u32_e32 v20, vcc, v8, v10
	v_addc_co_u32_e32 v21, vcc, v5, v11, vcc
	flat_load_ubyte v19, v[20:21] glc slc
	flat_load_ubyte v22, v[20:21] offset:64 glc slc
	flat_load_ubyte v23, v[20:21] offset:128 glc slc
	;; [unrolled: 1-line block ×15, first 2 shown]
	v_add_co_u32_e32 v20, vcc, v8, v2
	v_addc_co_u32_e32 v21, vcc, v5, v3, vcc
	v_add_co_u32_e32 v10, vcc, v10, v50
	v_addc_co_u32_e32 v11, vcc, v11, v51, vcc
	v_add_co_u32_e32 v2, vcc, v2, v50
	v_sub_u32_e32 v14, v14, v46
	v_addc_co_u32_e32 v3, vcc, v3, v51, vcc
	v_cmp_gt_i32_e32 vcc, 1, v14
	s_or_b64 s[30:31], vcc, s[30:31]
	s_waitcnt vmcnt(0) lgkmcnt(0)
	flat_store_byte v[20:21], v19 glc slc
	flat_store_byte v[20:21], v22 offset:64 glc slc
	flat_store_byte v[20:21], v23 offset:128 glc slc
	;; [unrolled: 1-line block ×15, first 2 shown]
	s_andn2_b64 exec, exec, s[30:31]
	s_cbranch_execnz .LBB4_9201
; %bb.9202:                             ;   in Loop: Header=BB4_9063 Depth=3
	s_or_b64 exec, exec, s[30:31]
	v_accvgpr_read_b32 v29, a9
	v_accvgpr_read_b32 v28, a8
.LBB4_9203:                             ;   in Loop: Header=BB4_9063 Depth=3
	s_or_b64 exec, exec, s[28:29]
	v_lshlrev_b32_e32 v2, 10, v15
	v_cmp_ne_u32_e32 vcc, v12, v2
	s_mov_b64 s[28:29], exec
	s_and_b64 vcc, s[28:29], vcc
	v_accvgpr_read_b32 v11, a36
	v_accvgpr_read_b32 v15, a37
	s_mov_b64 exec, vcc
	s_cbranch_execz .LBB4_9207
; %bb.9204:                             ;   in Loop: Header=BB4_9063 Depth=3
	v_ashrrev_i32_e32 v3, 31, v13
	v_lshrrev_b32_e32 v3, 26, v3
	v_add_u32_e32 v3, v13, v3
	v_and_b32_e32 v3, 0xffffffc0, v3
	v_sub_u32_e32 v3, v13, v3
	v_lshlrev_b32_e32 v5, 6, v14
	v_sub_u32_e32 v3, v3, v5
	v_add_u32_e32 v5, v2, v3
	v_sub_u32_e32 v10, v12, v5
	v_cmp_lt_i32_e32 vcc, 0, v10
	s_and_b64 exec, exec, vcc
	s_cbranch_execz .LBB4_9207
; %bb.9205:                             ;   in Loop: Header=BB4_9063 Depth=3
	s_trap 2
	ds_read_b64 v[2:3], v0
	v_add_u32_e32 v8, v5, v9
	v_ashrrev_i32_e32 v5, 31, v8
	s_mov_b64 s[30:31], 0
.LBB4_9206:                             ;   Parent Loop BB4_47 Depth=1
                                        ;     Parent Loop BB4_9060 Depth=2
                                        ;       Parent Loop BB4_9063 Depth=3
                                        ; =>      This Inner Loop Header: Depth=4
	s_waitcnt lgkmcnt(0)
	v_add_co_u32_e32 v12, vcc, v2, v8
	v_addc_co_u32_e32 v13, vcc, v3, v5, vcc
	flat_load_ubyte v9, v[12:13] glc slc
	v_add_co_u32_e32 v8, vcc, v8, v11
	v_sub_u32_e32 v10, v10, v41
	v_addc_co_u32_e32 v5, vcc, v5, v15, vcc
	v_cmp_gt_i32_e32 vcc, 1, v10
	s_or_b64 s[30:31], vcc, s[30:31]
	s_waitcnt vmcnt(0) lgkmcnt(0)
	flat_store_byte v[12:13], v9 glc slc
	s_andn2_b64 exec, exec, s[30:31]
	s_cbranch_execnz .LBB4_9206
.LBB4_9207:                             ;   in Loop: Header=BB4_9063 Depth=3
	s_or_b64 exec, exec, s[28:29]
	s_or_b64 exec, exec, s[26:27]
	s_and_saveexec_b64 s[26:27], s[10:11]
	s_cbranch_execnz .LBB4_9137
	s_branch .LBB4_9182
.LBB4_9208:                             ;   in Loop: Header=BB4_9063 Depth=3
	s_or_b64 exec, exec, s[64:65]
	s_and_saveexec_b64 vcc, s[66:67]
	s_xor_b64 vcc, exec, vcc
	s_cbranch_execz .LBB4_9210
; %bb.9209:                             ;   in Loop: Header=BB4_9063 Depth=3
	v_mov_b32_e32 v2, 1
	ds_write_b32 v0, v2
	s_trap 2
.LBB4_9210:                             ;   in Loop: Header=BB4_9063 Depth=3
	s_or_b64 exec, exec, s[34:35]
	;;#ASMSTART
	s_wakeup
	;;#ASMEND
.LBB4_9211:                             ;   in Loop: Header=BB4_9063 Depth=3
	s_or_b64 exec, exec, s[30:31]
.LBB4_9212:                             ;   in Loop: Header=BB4_9063 Depth=3
	s_andn2_saveexec_b64 s[28:29], s[28:29]
	s_cbranch_execz .LBB4_9214
; %bb.9213:                             ;   in Loop: Header=BB4_9063 Depth=3
	s_waitcnt vmcnt(0) lgkmcnt(0)
	buffer_wbinvl1_vol
	s_barrier
.LBB4_9214:                             ;   in Loop: Header=BB4_9063 Depth=3
	s_or_b64 exec, exec, s[28:29]
	s_or_b64 exec, exec, s[26:27]
                                        ; implicit-def: $vgpr2
	s_and_saveexec_b64 s[26:27], s[24:25]
	s_xor_b64 s[28:29], exec, s[26:27]
	s_cbranch_execnz .LBB4_9183
.LBB4_9215:                             ;   in Loop: Header=BB4_9063 Depth=3
	s_andn2_saveexec_b64 s[26:27], s[28:29]
	s_cbranch_execz .LBB4_9234
.LBB4_9216:                             ;   in Loop: Header=BB4_9063 Depth=3
	s_and_saveexec_b64 s[28:29], s[44:45]
	s_xor_b64 s[28:29], exec, s[28:29]
	s_cbranch_execz .LBB4_9231
; %bb.9217:                             ;   in Loop: Header=BB4_9063 Depth=3
	s_and_saveexec_b64 s[30:31], s[16:17]
	s_cbranch_execz .LBB4_9230
; %bb.9218:                             ;   in Loop: Header=BB4_9063 Depth=3
	s_mov_b64 s[64:65], exec
	v_mbcnt_lo_u32_b32 v2, s64, 0
	v_mbcnt_hi_u32_b32 v2, s65, v2
	v_cmp_eq_u32_e32 vcc, 0, v2
	;;#ASMSTART
	s_waitcnt lgkmcnt(0) vmcnt(0)
	;;#ASMEND
	s_and_saveexec_b64 s[34:35], vcc
	s_cbranch_execz .LBB4_9220
; %bb.9219:                             ;   in Loop: Header=BB4_9063 Depth=3
	s_bcnt1_i32_b64 vcc_lo, s[64:65]
	v_mov_b32_e32 v42, vcc_lo
	ds_add_u64 v0, v[42:43]
	s_trap 2
.LBB4_9220:                             ;   in Loop: Header=BB4_9063 Depth=3
	s_or_b64 exec, exec, s[34:35]
	s_trap 2
	ds_read_b64 v[2:3], v0
	v_accvgpr_read_b32 v8, a14
	v_accvgpr_read_b32 v9, a15
	v_add_co_u32_e32 v8, vcc, v8, v46
	v_addc_co_u32_e32 v9, vcc, 0, v9, vcc
	v_accvgpr_write_b32 a15, v9
	v_accvgpr_write_b32 a14, v8
	s_waitcnt lgkmcnt(0)
	v_cmp_lt_u64_e32 vcc, v[2:3], v[8:9]
	s_and_saveexec_b64 s[34:35], vcc
	s_cbranch_execz .LBB4_9229
; %bb.9221:                             ;   in Loop: Header=BB4_9063 Depth=3
	s_mov_b32 s75, 0
	s_mov_b64 s[64:65], 0
                                        ; implicit-def: $sgpr66_sgpr67
                                        ; implicit-def: $sgpr68_sgpr69
	s_branch .LBB4_9223
.LBB4_9222:                             ;   in Loop: Header=BB4_9223 Depth=4
	s_or_b64 exec, exec, s[72:73]
	s_and_b64 vcc, exec, vcc
	s_or_b64 s[64:65], vcc, s[64:65]
	s_andn2_b64 vcc, s[66:67], exec
	s_and_b64 s[66:67], s[68:69], exec
	s_or_b64 s[66:67], vcc, s[66:67]
	s_andn2_b64 exec, exec, s[64:65]
	s_cbranch_execz .LBB4_9227
.LBB4_9223:                             ;   Parent Loop BB4_47 Depth=1
                                        ;     Parent Loop BB4_9060 Depth=2
                                        ;       Parent Loop BB4_9063 Depth=3
                                        ; =>      This Inner Loop Header: Depth=4
	s_add_i32 s75, s75, 1
	s_cmpk_lg_i32 s75, 0x2710
	s_cselect_b64 s[70:71], -1, 0
	s_and_b64 vcc, exec, s[70:71]
                                        ; implicit-def: $sgpr72_sgpr73
	s_cbranch_vccnz .LBB4_9225
; %bb.9224:                             ;   in Loop: Header=BB4_9223 Depth=4
	s_trap 2
	ds_read_b64 v[2:3], v0
	s_andn2_b64 s[70:71], s[70:71], exec
	s_mov_b32 s75, 0
	s_mov_b64 s[72:73], -1
	s_waitcnt vmcnt(0) lgkmcnt(0)
	flat_load_dword v2, v[2:3] glc
	s_waitcnt vmcnt(0) lgkmcnt(0)
	buffer_invl2
	buffer_wbinvl1_vol
	v_cmp_eq_u32_e32 vcc, 0, v2
	s_and_b64 vcc, vcc, exec
	s_or_b64 s[70:71], s[70:71], vcc
.LBB4_9225:                             ;   in Loop: Header=BB4_9223 Depth=4
	s_andn2_b64 s[68:69], s[68:69], exec
	s_and_b64 s[72:73], s[72:73], exec
	s_mov_b64 vcc, -1
	s_or_b64 s[68:69], s[68:69], s[72:73]
	s_and_saveexec_b64 s[72:73], s[70:71]
	s_cbranch_execz .LBB4_9222
; %bb.9226:                             ;   in Loop: Header=BB4_9223 Depth=4
	s_sleep 1
	s_trap 2
	ds_read_b64 v[2:3], v0
	v_accvgpr_read_b32 v8, a14
	v_accvgpr_read_b32 v9, a15
	s_andn2_b64 s[68:69], s[68:69], exec
	s_waitcnt lgkmcnt(0)
	v_cmp_ge_u64_e32 vcc, v[2:3], v[8:9]
	s_orn2_b64 vcc, vcc, exec
	s_branch .LBB4_9222
.LBB4_9227:                             ;   in Loop: Header=BB4_9063 Depth=3
	s_or_b64 exec, exec, s[64:65]
	s_and_saveexec_b64 vcc, s[66:67]
	s_xor_b64 vcc, exec, vcc
	s_cbranch_execz .LBB4_9229
; %bb.9228:                             ;   in Loop: Header=BB4_9063 Depth=3
	v_mov_b32_e32 v2, 1
	ds_write_b32 v0, v2
	s_trap 2
.LBB4_9229:                             ;   in Loop: Header=BB4_9063 Depth=3
	s_or_b64 exec, exec, s[34:35]
	;;#ASMSTART
	s_wakeup
	;;#ASMEND
.LBB4_9230:                             ;   in Loop: Header=BB4_9063 Depth=3
	s_or_b64 exec, exec, s[30:31]
.LBB4_9231:                             ;   in Loop: Header=BB4_9063 Depth=3
	s_andn2_saveexec_b64 s[28:29], s[28:29]
	s_cbranch_execz .LBB4_9233
; %bb.9232:                             ;   in Loop: Header=BB4_9063 Depth=3
	;;#ASMSTART
	s_waitcnt lgkmcnt(0) vmcnt(0)
	;;#ASMEND
	s_barrier
.LBB4_9233:                             ;   in Loop: Header=BB4_9063 Depth=3
	s_or_b64 exec, exec, s[28:29]
	v_and_b32_e32 v2, 16, v34
.LBB4_9234:                             ;   in Loop: Header=BB4_9063 Depth=3
	s_or_b64 exec, exec, s[26:27]
	v_cmp_ne_u32_e32 vcc, 0, v2
	s_xor_b64 s[26:27], s[12:13], -1
	s_and_b64 s[28:29], vcc, s[26:27]
	s_and_saveexec_b64 s[26:27], s[28:29]
	s_cbranch_execz .LBB4_9236
; %bb.9235:                             ;   in Loop: Header=BB4_9063 Depth=3
	v_accvgpr_read_b32 v2, a22
	v_accvgpr_read_b32 v3, a23
	v_mov_b32_e32 v5, 1
	flat_store_dword v[2:3], v5
.LBB4_9236:                             ;   in Loop: Header=BB4_9063 Depth=3
	s_or_b64 exec, exec, s[26:27]
	v_and_b32_e32 v2, 48, v34
	v_cmp_ne_u32_e32 vcc, 0, v2
	s_and_saveexec_b64 s[26:27], vcc
	s_cbranch_execz .LBB4_9062
; %bb.9237:                             ;   in Loop: Header=BB4_9063 Depth=3
	v_accvgpr_read_b32 v2, a10
	v_accvgpr_read_b32 v3, a11
	v_add_co_u32_e32 v2, vcc, 2, v2
	v_addc_co_u32_e32 v3, vcc, 0, v3, vcc
	v_accvgpr_write_b32 a11, v3
	v_accvgpr_read_b32 v8, a16
	v_accvgpr_write_b32 a10, v2
	v_accvgpr_read_b32 v9, a17
	flat_store_dwordx2 v[8:9], v[2:3]
	s_branch .LBB4_9062
.LBB4_9238:                             ;   in Loop: Header=BB4_9060 Depth=2
	s_or_b64 exec, exec, s[58:59]
	v_cmp_gt_i32_e32 vcc, 2, v5
	s_and_saveexec_b64 s[28:29], vcc
	s_cbranch_execz .LBB4_9312
.LBB4_9239:                             ;   in Loop: Header=BB4_9060 Depth=2
	v_cmp_eq_u32_e64 s[26:27], 0, v5
	s_mov_b64 s[30:31], 0
	s_branch .LBB4_9241
.LBB4_9240:                             ;   in Loop: Header=BB4_9241 Depth=3
	s_or_b64 exec, exec, s[26:27]
	v_add_u32_e32 v7, v4, v7
	s_mov_b64 s[26:27], 0
	s_andn2_b64 exec, exec, s[30:31]
	s_cbranch_execz .LBB4_9313
.LBB4_9241:                             ;   Parent Loop BB4_47 Depth=1
                                        ;     Parent Loop BB4_9060 Depth=2
                                        ; =>    This Loop Header: Depth=3
                                        ;         Child Loop BB4_9247 Depth 4
                                        ;         Child Loop BB4_9277 Depth 4
	;; [unrolled: 1-line block ×3, first 2 shown]
	v_and_b32_e32 v2, 12, v34
	s_mov_b64 s[58:59], -1
	v_cmp_ne_u32_e32 vcc, 0, v2
	s_and_saveexec_b64 s[34:35], vcc
	s_cbranch_execz .LBB4_9253
; %bb.9242:                             ;   in Loop: Header=BB4_9241 Depth=3
	v_and_b32_e32 v2, 8, v34
	v_add_co_u32_e32 v10, vcc, v48, v2
	v_addc_co_u32_e32 v11, vcc, 0, v49, vcc
	v_accvgpr_read_b32 v8, a10
	v_accvgpr_read_b32 v9, a11
	v_add_co_u32_e32 v8, vcc, 2, v8
	v_addc_co_u32_e32 v9, vcc, 0, v9, vcc
	v_cmp_lt_u64_e32 vcc, v[10:11], v[8:9]
	v_mov_b32_e32 v3, 1
	s_and_saveexec_b64 s[58:59], vcc
	s_cbranch_execz .LBB4_9252
; %bb.9243:                             ;   in Loop: Header=BB4_9241 Depth=3
	s_mov_b64 s[60:61], 0
	v_mov_b32_e32 v3, 0
                                        ; implicit-def: $sgpr62_sgpr63
	s_branch .LBB4_9247
.LBB4_9244:                             ;   in Loop: Header=BB4_9247 Depth=4
	s_or_b64 exec, exec, s[70:71]
	v_mov_b32_e32 v5, 0
	s_orn2_b64 s[68:69], s[68:69], exec
.LBB4_9245:                             ;   in Loop: Header=BB4_9247 Depth=4
	s_or_b64 exec, exec, s[66:67]
	s_andn2_b64 vcc, s[62:63], exec
	s_and_b64 s[62:63], s[68:69], exec
	s_or_b64 s[62:63], vcc, s[62:63]
	v_mov_b32_e32 v3, v5
.LBB4_9246:                             ;   in Loop: Header=BB4_9247 Depth=4
	s_or_b64 exec, exec, s[64:65]
	s_waitcnt vmcnt(0) lgkmcnt(0)
	v_add_co_u32_e32 v10, vcc, v48, v2
	v_addc_co_u32_e32 v11, vcc, 0, v49, vcc
	v_cmp_ge_u64_e32 vcc, v[10:11], v[8:9]
	s_xor_b64 s[64:65], s[62:63], -1
	s_or_b64 vcc, s[64:65], vcc
	s_and_b64 vcc, exec, vcc
	s_or_b64 s[60:61], vcc, s[60:61]
	s_andn2_b64 exec, exec, s[60:61]
	s_cbranch_execz .LBB4_9251
.LBB4_9247:                             ;   Parent Loop BB4_47 Depth=1
                                        ;     Parent Loop BB4_9060 Depth=2
                                        ;       Parent Loop BB4_9241 Depth=3
                                        ; =>      This Inner Loop Header: Depth=4
	v_accvgpr_read_b32 v10, a16
	v_accvgpr_read_b32 v11, a17
	s_sleep 1
	flat_load_dwordx2 v[48:49], v[10:11] glc
	v_and_b32_e32 v5, 64, v34
	v_cmp_eq_u32_e32 vcc, 0, v5
	s_andn2_b64 s[62:63], s[62:63], exec
	s_and_saveexec_b64 s[64:65], vcc
	s_cbranch_execz .LBB4_9246
; %bb.9248:                             ;   in Loop: Header=BB4_9247 Depth=4
	v_add_u32_e32 v5, 1, v3
	v_cmp_lt_i32_e32 vcc, s91, v3
	s_mov_b64 s[68:69], -1
	s_and_saveexec_b64 s[66:67], vcc
	s_cbranch_execz .LBB4_9245
; %bb.9249:                             ;   in Loop: Header=BB4_9247 Depth=4
	s_trap 2
	ds_read_b64 v[10:11], v0
	s_waitcnt vmcnt(0) lgkmcnt(0)
	flat_load_dword v3, v[10:11] glc
	s_waitcnt vmcnt(0) lgkmcnt(0)
	buffer_invl2
	buffer_wbinvl1_vol
	v_cmp_ne_u32_e32 vcc, 0, v3
	s_and_saveexec_b64 s[70:71], vcc
	s_cbranch_execz .LBB4_9244
; %bb.9250:                             ;   in Loop: Header=BB4_9247 Depth=4
	v_or_b32_e32 v34, 64, v34
	s_xor_b64 s[68:69], exec, -1
	ds_write_b32 v0, v3
	s_trap 2
	s_branch .LBB4_9244
.LBB4_9251:                             ;   in Loop: Header=BB4_9241 Depth=3
	s_or_b64 exec, exec, s[60:61]
	v_and_b32_e32 v3, 12, v34
.LBB4_9252:                             ;   in Loop: Header=BB4_9241 Depth=3
	s_or_b64 exec, exec, s[58:59]
	v_cmp_eq_u32_e32 vcc, 0, v3
	s_orn2_b64 s[58:59], vcc, exec
	;;#ASMSTART
	s_wakeup
	;;#ASMEND
.LBB4_9253:                             ;   in Loop: Header=BB4_9241 Depth=3
	s_or_b64 exec, exec, s[34:35]
	s_xor_b64 s[26:27], s[26:27], -1
	s_and_b64 s[26:27], exec, s[26:27]
	s_or_b64 s[30:31], s[26:27], s[30:31]
	v_sub_u32_e32 v2, v0, v7
	s_xor_b64 s[26:27], s[58:59], -1
	v_min_i32_e32 v4, v4, v2
	s_and_saveexec_b64 s[34:35], s[26:27]
	s_cbranch_execz .LBB4_9269
; %bb.9254:                             ;   in Loop: Header=BB4_9241 Depth=3
	v_and_b32_e32 v2, 0x108, v34
	v_cmp_ne_u32_e32 vcc, s92, v2
	v_accvgpr_read_b32 v2, a10
	v_and_b32_e32 v2, 7, v2
	v_accvgpr_read_b32 v3, a11
	s_and_saveexec_b64 s[26:27], vcc
	s_xor_b64 s[26:27], exec, s[26:27]
	s_andn2_saveexec_b64 s[26:27], s[26:27]
	s_cbranch_execz .LBB4_9256
; %bb.9255:                             ;   in Loop: Header=BB4_9241 Depth=3
	v_accvgpr_read_b32 v8, a12
	v_accvgpr_read_b32 v9, a13
	v_mad_u64_u32 v[8:9], vcc, v2, 24, v[8:9]
	v_ashrrev_i32_e32 v5, 31, v4
	flat_store_dwordx2 v[8:9], v[4:5] offset:8
.LBB4_9256:                             ;   in Loop: Header=BB4_9241 Depth=3
	s_or_b64 exec, exec, s[26:27]
	v_and_b32_e32 v3, 0x100, v34
	v_cmp_ne_u32_e32 vcc, 0, v3
	s_mov_b64 s[26:27], -1
                                        ; implicit-def: $vgpr8_vgpr9
	s_and_saveexec_b64 s[58:59], vcc
	s_cbranch_execz .LBB4_9260
; %bb.9257:                             ;   in Loop: Header=BB4_9241 Depth=3
	v_accvgpr_read_b32 v8, a12
	v_accvgpr_read_b32 v9, a13
	v_mad_u64_u32 v[10:11], s[26:27], v2, 24, v[8:9]
	v_mov_b32_e32 v8, v11
	v_mad_u64_u32 v[8:9], s[26:27], v43, 24, v[8:9]
	v_mov_b32_e32 v11, v8
	flat_load_dword v3, v[10:11]
                                        ; implicit-def: $vgpr8_vgpr9
	s_waitcnt vmcnt(0) lgkmcnt(0)
	v_cmp_ne_u32_e32 vcc, 1, v3
	v_cmp_eq_u32_e64 s[26:27], 1, v3
	s_and_saveexec_b64 s[60:61], s[26:27]
	s_cbranch_execz .LBB4_9259
; %bb.9258:                             ;   in Loop: Header=BB4_9241 Depth=3
	flat_load_dword v8, v[10:11] offset:4 glc
	s_waitcnt vmcnt(0) lgkmcnt(0)
	v_ashrrev_i32_e32 v9, 31, v8
.LBB4_9259:                             ;   in Loop: Header=BB4_9241 Depth=3
	s_or_b64 exec, exec, s[60:61]
	s_orn2_b64 s[26:27], vcc, exec
.LBB4_9260:                             ;   in Loop: Header=BB4_9241 Depth=3
	s_or_b64 exec, exec, s[58:59]
	s_and_saveexec_b64 vcc, s[26:27]
; %bb.9261:                             ;   in Loop: Header=BB4_9241 Depth=3
	v_accvgpr_read_b32 v8, a18
	v_accvgpr_read_b32 v5, a19
	v_mul_lo_u32 v3, v43, v8
	v_mul_lo_u32 v5, v2, v5
	v_mad_u64_u32 v[8:9], s[26:27], v2, v8, 0
	v_add3_u32 v9, v9, v5, v3
; %bb.9262:                             ;   in Loop: Header=BB4_9241 Depth=3
	s_or_b64 exec, exec, vcc
	v_accvgpr_read_b32 v2, a20
	v_accvgpr_read_b32 v3, a21
	v_add_co_u32_e32 v2, vcc, v2, v8
	v_addc_co_u32_e32 v3, vcc, v3, v9, vcc
	s_trap 2
	ds_write_b64 v0, v[2:3]
	v_and_b32_e32 v2, 0x2000, v34
	v_cmp_ne_u32_e32 vcc, 0, v2
	s_and_saveexec_b64 s[26:27], vcc
	s_cbranch_execz .LBB4_9264
; %bb.9263:                             ;   in Loop: Header=BB4_9241 Depth=3
	ds_read_b64 v[2:3], v0 offset:584
	s_waitcnt lgkmcnt(0)
	v_add_co_u32_e32 v2, vcc, 1, v2
	v_addc_co_u32_e32 v3, vcc, 0, v3, vcc
	ds_write_b64 v0, v[2:3] offset:584
.LBB4_9264:                             ;   in Loop: Header=BB4_9241 Depth=3
	s_or_b64 exec, exec, s[26:27]
	v_accvgpr_read_b32 v2, a10
	v_accvgpr_read_b32 v3, a11
	v_add_co_u32_e32 v2, vcc, 2, v2
	v_addc_co_u32_e32 v3, vcc, 0, v3, vcc
	v_accvgpr_write_b32 a11, v3
	v_accvgpr_write_b32 a10, v2
	s_or_b64 exec, exec, s[34:35]
	s_and_saveexec_b64 s[26:27], s[10:11]
	s_cbranch_execnz .LBB4_9270
.LBB4_9265:                             ;   in Loop: Header=BB4_9241 Depth=3
	s_or_b64 exec, exec, s[26:27]
                                        ; implicit-def: $vgpr2
	s_and_saveexec_b64 s[26:27], s[24:25]
	s_xor_b64 s[26:27], exec, s[26:27]
	s_cbranch_execz .LBB4_9288
.LBB4_9266:                             ;   in Loop: Header=BB4_9241 Depth=3
	s_trap 2
	ds_read_b32 v3, v0
	v_cmp_lt_i32_e32 vcc, 0, v4
	v_and_b32_e32 v5, 16, v34
	v_and_b32_e32 v2, 16, v34
	s_waitcnt lgkmcnt(0)
	v_readfirstlane_b32 s34, v3
	s_cmp_eq_u32 s34, 0
	s_cselect_b64 s[34:35], -1, 0
	s_and_b64 s[34:35], vcc, s[34:35]
	v_cmp_ne_u32_e32 vcc, 0, v5
	s_and_b64 s[34:35], vcc, s[34:35]
	s_and_saveexec_b64 vcc, s[34:35]
	s_cbranch_execz .LBB4_9268
; %bb.9267:                             ;   in Loop: Header=BB4_9241 Depth=3
	v_mov_b32_e32 v2, 1
	s_waitcnt vmcnt(0)
	buffer_wbinvl1_vol
.LBB4_9268:                             ;   in Loop: Header=BB4_9241 Depth=3
	s_or_b64 exec, exec, vcc
	s_andn2_saveexec_b64 s[26:27], s[26:27]
	s_cbranch_execz .LBB4_9307
	s_branch .LBB4_9289
.LBB4_9269:                             ;   in Loop: Header=BB4_9241 Depth=3
	s_or_b64 exec, exec, s[34:35]
	s_and_saveexec_b64 s[26:27], s[10:11]
	s_cbranch_execz .LBB4_9265
.LBB4_9270:                             ;   in Loop: Header=BB4_9241 Depth=3
	s_and_saveexec_b64 vcc, s[44:45]
	s_xor_b64 s[34:35], exec, vcc
	s_cbranch_execz .LBB4_9285
; %bb.9271:                             ;   in Loop: Header=BB4_9241 Depth=3
	s_and_saveexec_b64 s[58:59], s[16:17]
	s_cbranch_execz .LBB4_9284
; %bb.9272:                             ;   in Loop: Header=BB4_9241 Depth=3
	s_mov_b64 s[62:63], exec
	v_mbcnt_lo_u32_b32 v2, s62, 0
	v_mbcnt_hi_u32_b32 v2, s63, v2
	v_cmp_eq_u32_e32 vcc, 0, v2
	s_waitcnt vmcnt(0) lgkmcnt(0)
	buffer_wbinvl1_vol
	s_and_saveexec_b64 s[60:61], vcc
	s_cbranch_execz .LBB4_9274
; %bb.9273:                             ;   in Loop: Header=BB4_9241 Depth=3
	s_bcnt1_i32_b64 vcc_lo, s[62:63]
	v_mov_b32_e32 v42, vcc_lo
	ds_add_u64 v0, v[42:43]
	s_trap 2
.LBB4_9274:                             ;   in Loop: Header=BB4_9241 Depth=3
	s_or_b64 exec, exec, s[60:61]
	s_trap 2
	ds_read_b64 v[2:3], v0
	v_accvgpr_read_b32 v8, a14
	v_accvgpr_read_b32 v9, a15
	v_add_co_u32_e32 v8, vcc, v8, v46
	v_addc_co_u32_e32 v9, vcc, 0, v9, vcc
	v_accvgpr_write_b32 a15, v9
	v_accvgpr_write_b32 a14, v8
	s_waitcnt lgkmcnt(0)
	v_cmp_lt_u64_e32 vcc, v[2:3], v[8:9]
	s_and_saveexec_b64 s[60:61], vcc
	s_cbranch_execz .LBB4_9283
; %bb.9275:                             ;   in Loop: Header=BB4_9241 Depth=3
	s_mov_b32 s72, 0
	s_mov_b64 s[62:63], 0
                                        ; implicit-def: $sgpr64_sgpr65
                                        ; implicit-def: $sgpr66_sgpr67
	s_branch .LBB4_9277
.LBB4_9276:                             ;   in Loop: Header=BB4_9277 Depth=4
	s_or_b64 exec, exec, s[70:71]
	s_and_b64 vcc, exec, vcc
	s_or_b64 s[62:63], vcc, s[62:63]
	s_andn2_b64 vcc, s[64:65], exec
	s_and_b64 s[64:65], s[66:67], exec
	s_or_b64 s[64:65], vcc, s[64:65]
	s_andn2_b64 exec, exec, s[62:63]
	s_cbranch_execz .LBB4_9281
.LBB4_9277:                             ;   Parent Loop BB4_47 Depth=1
                                        ;     Parent Loop BB4_9060 Depth=2
                                        ;       Parent Loop BB4_9241 Depth=3
                                        ; =>      This Inner Loop Header: Depth=4
	s_add_i32 s72, s72, 1
	s_cmpk_lg_i32 s72, 0x2710
	s_cselect_b64 s[68:69], -1, 0
	s_and_b64 vcc, exec, s[68:69]
                                        ; implicit-def: $sgpr70_sgpr71
	s_cbranch_vccnz .LBB4_9279
; %bb.9278:                             ;   in Loop: Header=BB4_9277 Depth=4
	s_trap 2
	ds_read_b64 v[2:3], v0
	s_andn2_b64 s[68:69], s[68:69], exec
	s_mov_b32 s72, 0
	s_mov_b64 s[70:71], -1
	s_waitcnt lgkmcnt(0)
	flat_load_dword v2, v[2:3] glc
	s_waitcnt vmcnt(0) lgkmcnt(0)
	buffer_invl2
	buffer_wbinvl1_vol
	v_cmp_eq_u32_e32 vcc, 0, v2
	s_and_b64 vcc, vcc, exec
	s_or_b64 s[68:69], s[68:69], vcc
.LBB4_9279:                             ;   in Loop: Header=BB4_9277 Depth=4
	s_andn2_b64 s[66:67], s[66:67], exec
	s_and_b64 s[70:71], s[70:71], exec
	s_mov_b64 vcc, -1
	s_or_b64 s[66:67], s[66:67], s[70:71]
	s_and_saveexec_b64 s[70:71], s[68:69]
	s_cbranch_execz .LBB4_9276
; %bb.9280:                             ;   in Loop: Header=BB4_9277 Depth=4
	s_sleep 1
	s_trap 2
	ds_read_b64 v[2:3], v0
	v_accvgpr_read_b32 v8, a14
	v_accvgpr_read_b32 v9, a15
	s_andn2_b64 s[66:67], s[66:67], exec
	s_waitcnt lgkmcnt(0)
	v_cmp_ge_u64_e32 vcc, v[2:3], v[8:9]
	s_orn2_b64 vcc, vcc, exec
	s_branch .LBB4_9276
.LBB4_9281:                             ;   in Loop: Header=BB4_9241 Depth=3
	s_or_b64 exec, exec, s[62:63]
	s_and_saveexec_b64 vcc, s[64:65]
	s_xor_b64 vcc, exec, vcc
	s_cbranch_execz .LBB4_9283
; %bb.9282:                             ;   in Loop: Header=BB4_9241 Depth=3
	v_mov_b32_e32 v2, 1
	ds_write_b32 v0, v2
	s_trap 2
.LBB4_9283:                             ;   in Loop: Header=BB4_9241 Depth=3
	s_or_b64 exec, exec, s[60:61]
	;;#ASMSTART
	s_wakeup
	;;#ASMEND
.LBB4_9284:                             ;   in Loop: Header=BB4_9241 Depth=3
	s_or_b64 exec, exec, s[58:59]
.LBB4_9285:                             ;   in Loop: Header=BB4_9241 Depth=3
	s_andn2_saveexec_b64 vcc, s[34:35]
	s_cbranch_execz .LBB4_9287
; %bb.9286:                             ;   in Loop: Header=BB4_9241 Depth=3
	s_waitcnt vmcnt(0) lgkmcnt(0)
	buffer_wbinvl1_vol
	s_barrier
.LBB4_9287:                             ;   in Loop: Header=BB4_9241 Depth=3
	s_or_b64 exec, exec, vcc
	s_or_b64 exec, exec, s[26:27]
                                        ; implicit-def: $vgpr2
	s_and_saveexec_b64 s[26:27], s[24:25]
	s_xor_b64 s[26:27], exec, s[26:27]
	s_cbranch_execnz .LBB4_9266
.LBB4_9288:                             ;   in Loop: Header=BB4_9241 Depth=3
	s_andn2_saveexec_b64 s[26:27], s[26:27]
	s_cbranch_execz .LBB4_9307
.LBB4_9289:                             ;   in Loop: Header=BB4_9241 Depth=3
	s_and_saveexec_b64 vcc, s[44:45]
	s_xor_b64 s[34:35], exec, vcc
	s_cbranch_execz .LBB4_9304
; %bb.9290:                             ;   in Loop: Header=BB4_9241 Depth=3
	s_and_saveexec_b64 s[58:59], s[16:17]
	s_cbranch_execz .LBB4_9303
; %bb.9291:                             ;   in Loop: Header=BB4_9241 Depth=3
	s_mov_b64 s[62:63], exec
	v_mbcnt_lo_u32_b32 v2, s62, 0
	v_mbcnt_hi_u32_b32 v2, s63, v2
	v_cmp_eq_u32_e32 vcc, 0, v2
	;;#ASMSTART
	s_waitcnt lgkmcnt(0) vmcnt(0)
	;;#ASMEND
	s_and_saveexec_b64 s[60:61], vcc
	s_cbranch_execz .LBB4_9293
; %bb.9292:                             ;   in Loop: Header=BB4_9241 Depth=3
	s_bcnt1_i32_b64 vcc_lo, s[62:63]
	v_mov_b32_e32 v42, vcc_lo
	ds_add_u64 v0, v[42:43]
	s_trap 2
.LBB4_9293:                             ;   in Loop: Header=BB4_9241 Depth=3
	s_or_b64 exec, exec, s[60:61]
	s_trap 2
	ds_read_b64 v[2:3], v0
	v_accvgpr_read_b32 v8, a14
	v_accvgpr_read_b32 v9, a15
	v_add_co_u32_e32 v8, vcc, v8, v46
	v_addc_co_u32_e32 v9, vcc, 0, v9, vcc
	v_accvgpr_write_b32 a15, v9
	v_accvgpr_write_b32 a14, v8
	s_waitcnt lgkmcnt(0)
	v_cmp_lt_u64_e32 vcc, v[2:3], v[8:9]
	s_and_saveexec_b64 s[60:61], vcc
	s_cbranch_execz .LBB4_9302
; %bb.9294:                             ;   in Loop: Header=BB4_9241 Depth=3
	s_mov_b32 s72, 0
	s_mov_b64 s[62:63], 0
                                        ; implicit-def: $sgpr64_sgpr65
                                        ; implicit-def: $sgpr66_sgpr67
	s_branch .LBB4_9296
.LBB4_9295:                             ;   in Loop: Header=BB4_9296 Depth=4
	s_or_b64 exec, exec, s[70:71]
	s_and_b64 vcc, exec, vcc
	s_or_b64 s[62:63], vcc, s[62:63]
	s_andn2_b64 vcc, s[64:65], exec
	s_and_b64 s[64:65], s[66:67], exec
	s_or_b64 s[64:65], vcc, s[64:65]
	s_andn2_b64 exec, exec, s[62:63]
	s_cbranch_execz .LBB4_9300
.LBB4_9296:                             ;   Parent Loop BB4_47 Depth=1
                                        ;     Parent Loop BB4_9060 Depth=2
                                        ;       Parent Loop BB4_9241 Depth=3
                                        ; =>      This Inner Loop Header: Depth=4
	s_add_i32 s72, s72, 1
	s_cmpk_lg_i32 s72, 0x2710
	s_cselect_b64 s[68:69], -1, 0
	s_and_b64 vcc, exec, s[68:69]
                                        ; implicit-def: $sgpr70_sgpr71
	s_cbranch_vccnz .LBB4_9298
; %bb.9297:                             ;   in Loop: Header=BB4_9296 Depth=4
	s_trap 2
	ds_read_b64 v[2:3], v0
	s_andn2_b64 s[68:69], s[68:69], exec
	s_mov_b32 s72, 0
	s_mov_b64 s[70:71], -1
	s_waitcnt vmcnt(0) lgkmcnt(0)
	flat_load_dword v2, v[2:3] glc
	s_waitcnt vmcnt(0) lgkmcnt(0)
	buffer_invl2
	buffer_wbinvl1_vol
	v_cmp_eq_u32_e32 vcc, 0, v2
	s_and_b64 vcc, vcc, exec
	s_or_b64 s[68:69], s[68:69], vcc
.LBB4_9298:                             ;   in Loop: Header=BB4_9296 Depth=4
	s_andn2_b64 s[66:67], s[66:67], exec
	s_and_b64 s[70:71], s[70:71], exec
	s_mov_b64 vcc, -1
	s_or_b64 s[66:67], s[66:67], s[70:71]
	s_and_saveexec_b64 s[70:71], s[68:69]
	s_cbranch_execz .LBB4_9295
; %bb.9299:                             ;   in Loop: Header=BB4_9296 Depth=4
	s_sleep 1
	s_trap 2
	ds_read_b64 v[2:3], v0
	v_accvgpr_read_b32 v8, a14
	v_accvgpr_read_b32 v9, a15
	s_andn2_b64 s[66:67], s[66:67], exec
	s_waitcnt lgkmcnt(0)
	v_cmp_ge_u64_e32 vcc, v[2:3], v[8:9]
	s_orn2_b64 vcc, vcc, exec
	s_branch .LBB4_9295
.LBB4_9300:                             ;   in Loop: Header=BB4_9241 Depth=3
	s_or_b64 exec, exec, s[62:63]
	s_and_saveexec_b64 vcc, s[64:65]
	s_xor_b64 vcc, exec, vcc
	s_cbranch_execz .LBB4_9302
; %bb.9301:                             ;   in Loop: Header=BB4_9241 Depth=3
	v_mov_b32_e32 v2, 1
	ds_write_b32 v0, v2
	s_trap 2
.LBB4_9302:                             ;   in Loop: Header=BB4_9241 Depth=3
	s_or_b64 exec, exec, s[60:61]
	;;#ASMSTART
	s_wakeup
	;;#ASMEND
.LBB4_9303:                             ;   in Loop: Header=BB4_9241 Depth=3
	s_or_b64 exec, exec, s[58:59]
.LBB4_9304:                             ;   in Loop: Header=BB4_9241 Depth=3
	s_andn2_saveexec_b64 vcc, s[34:35]
	s_cbranch_execz .LBB4_9306
; %bb.9305:                             ;   in Loop: Header=BB4_9241 Depth=3
	;;#ASMSTART
	s_waitcnt lgkmcnt(0) vmcnt(0)
	;;#ASMEND
	s_barrier
.LBB4_9306:                             ;   in Loop: Header=BB4_9241 Depth=3
	s_or_b64 exec, exec, vcc
	v_and_b32_e32 v2, 16, v34
.LBB4_9307:                             ;   in Loop: Header=BB4_9241 Depth=3
	s_or_b64 exec, exec, s[26:27]
	v_cmp_ne_u32_e32 vcc, 0, v2
	s_xor_b64 s[26:27], s[12:13], -1
	s_and_b64 vcc, vcc, s[26:27]
	s_and_saveexec_b64 s[26:27], vcc
	s_cbranch_execz .LBB4_9309
; %bb.9308:                             ;   in Loop: Header=BB4_9241 Depth=3
	v_accvgpr_read_b32 v2, a22
	v_accvgpr_read_b32 v3, a23
	v_mov_b32_e32 v5, 1
	flat_store_dword v[2:3], v5
.LBB4_9309:                             ;   in Loop: Header=BB4_9241 Depth=3
	s_or_b64 exec, exec, s[26:27]
	v_and_b32_e32 v2, 48, v34
	v_cmp_ne_u32_e32 vcc, 0, v2
	s_and_saveexec_b64 s[26:27], vcc
	s_cbranch_execz .LBB4_9240
; %bb.9310:                             ;   in Loop: Header=BB4_9241 Depth=3
	v_accvgpr_read_b32 v2, a10
	v_accvgpr_read_b32 v3, a11
	v_add_co_u32_e32 v2, vcc, 2, v2
	v_addc_co_u32_e32 v3, vcc, 0, v3, vcc
	v_accvgpr_write_b32 a11, v3
	v_accvgpr_read_b32 v8, a16
	v_accvgpr_write_b32 a10, v2
	v_accvgpr_read_b32 v9, a17
	flat_store_dwordx2 v[8:9], v[2:3]
	s_branch .LBB4_9240
.LBB4_9311:                             ;   in Loop: Header=BB4_9060 Depth=2
	s_or_b64 exec, exec, s[60:61]
	s_or_b64 exec, exec, s[58:59]
	v_cmp_gt_i32_e32 vcc, 2, v5
	s_and_saveexec_b64 s[28:29], vcc
	s_cbranch_execnz .LBB4_9239
.LBB4_9312:                             ;   in Loop: Header=BB4_9060 Depth=2
	s_or_b64 exec, exec, s[28:29]
	s_add_i32 s26, s47, 1
	s_cmp_eq_u32 s47, s88
	s_cbranch_scc0 .LBB4_9314
	s_branch .LBB4_9315
.LBB4_9313:                             ;   in Loop: Header=BB4_9060 Depth=2
	s_or_b64 exec, exec, s[30:31]
	s_or_b64 exec, exec, s[28:29]
	s_add_i32 s26, s47, 1
	s_cmp_eq_u32 s47, s88
	s_cbranch_scc1 .LBB4_9315
.LBB4_9314:                             ;   in Loop: Header=BB4_9060 Depth=2
	s_mov_b32 s47, s26
	s_branch .LBB4_9060
.LBB4_9315:                             ;   in Loop: Header=BB4_47 Depth=1
	v_accvgpr_read_b32 v8, a48
	v_accvgpr_read_b32 v9, a49
	v_readlane_b32 s26, v61, 12
	v_mul_lo_u32 v0, v9, s89
	v_mul_lo_u32 v4, v8, s26
	v_mad_u64_u32 v[2:3], s[26:27], v8, s89, 0
	v_add3_u32 v3, v3, v4, v0
	v_accvgpr_read_b32 v4, a50
	v_accvgpr_read_b32 v5, a51
	v_sub_co_u32_e32 v4, vcc, v4, v2
	v_subb_co_u32_e32 v5, vcc, v5, v3, vcc
	v_cmp_lt_i64_e32 vcc, v[8:9], v[4:5]
	v_cndmask_b32_e32 v4, v4, v8, vcc
	v_max_i32_e32 v0, 0, v4
	v_add_u32_e32 v5, 31, v0
	v_lshrrev_b32_e32 v5, 1, v5
	v_and_b32_e32 v5, 0x3ffffff0, v5
	v_cmp_lt_i32_e32 vcc, 0, v4
	v_max_i32_e32 v7, s87, v5
	s_and_b64 s[26:27], s[50:51], vcc
	v_mov_b32_e32 v4, 0
	v_mov_b32_e32 v10, 0
	s_and_saveexec_b64 s[28:29], s[26:27]
	s_cbranch_execz .LBB4_9455
; %bb.9316:                             ;   in Loop: Header=BB4_47 Depth=1
	v_accvgpr_read_b32 v4, a43
	v_add_co_u32_e32 v11, vcc, v2, v4
	v_accvgpr_read_b32 v2, a52
	v_addc_co_u32_e32 v12, vcc, v3, v2, vcc
	s_mov_b32 s47, 1
	s_mov_b64 s[34:35], -1
	s_mov_b64 s[30:31], 0
	v_mov_b32_e32 v10, 0
	s_branch .LBB4_9318
.LBB4_9317:                             ;   in Loop: Header=BB4_9318 Depth=2
	s_or_b64 exec, exec, s[26:27]
	v_add_u32_e32 v10, v7, v10
	v_cmp_ge_i32_e32 vcc, v10, v0
	s_xor_b64 s[26:27], s[34:35], -1
	s_or_b64 s[26:27], s[26:27], vcc
	s_and_b64 s[26:27], exec, s[26:27]
	s_or_b64 s[30:31], s[26:27], s[30:31]
	s_mov_b64 s[34:35], 0
	v_mov_b32_e32 v4, s47
	s_mov_b32 s47, 2
	s_andn2_b64 exec, exec, s[30:31]
	s_cbranch_execz .LBB4_9454
.LBB4_9318:                             ;   Parent Loop BB4_47 Depth=1
                                        ; =>  This Loop Header: Depth=2
                                        ;       Child Loop BB4_9326 Depth 3
                                        ;       Child Loop BB4_9350 Depth 3
	;; [unrolled: 1-line block ×9, first 2 shown]
	s_and_saveexec_b64 s[26:27], s[4:5]
	s_cbranch_execz .LBB4_9320
; %bb.9319:                             ;   in Loop: Header=BB4_9318 Depth=2
	s_trap 2
	ds_read_b128 v[2:5], v0
	v_ashrrev_i32_e32 v8, 31, v10
	s_waitcnt lgkmcnt(0)
	v_add_co_u32_e32 v2, vcc, v2, v11
	v_addc_co_u32_e32 v3, vcc, v3, v12, vcc
	v_add_co_u32_e32 v2, vcc, v2, v10
	v_addc_co_u32_e32 v3, vcc, v3, v8, vcc
	ds_write_b64 v0, v[2:3]
	v_add_co_u32_e32 v2, vcc, v4, v11
	v_addc_co_u32_e32 v3, vcc, v5, v12, vcc
	v_add_co_u32_e32 v2, vcc, v2, v10
	v_addc_co_u32_e32 v3, vcc, v3, v8, vcc
	v_cmp_ne_u64_e32 vcc, 0, v[4:5]
	v_cndmask_b32_e32 v3, 0, v3, vcc
	v_cndmask_b32_e32 v2, 0, v2, vcc
	ds_write_b64 v0, v[2:3]
.LBB4_9320:                             ;   in Loop: Header=BB4_9318 Depth=2
	s_or_b64 exec, exec, s[26:27]
	v_and_b32_e32 v2, 4, v34
	v_cmp_ne_u32_e32 vcc, 0, v2
	s_mov_b64 s[58:59], -1
	s_and_saveexec_b64 s[26:27], vcc
	s_cbranch_execz .LBB4_9330
; %bb.9321:                             ;   in Loop: Header=BB4_9318 Depth=2
	v_accvgpr_read_b32 v2, a10
	v_accvgpr_read_b32 v3, a11
	v_add_co_u32_e32 v2, vcc, 2, v2
	v_addc_co_u32_e32 v3, vcc, 0, v3, vcc
	v_cmp_lt_u64_e32 vcc, v[48:49], v[2:3]
	v_mov_b32_e32 v4, 1
	s_and_saveexec_b64 s[58:59], vcc
	s_cbranch_execz .LBB4_9341
; %bb.9322:                             ;   in Loop: Header=BB4_9318 Depth=2
	s_mov_b64 s[60:61], 0
	v_mov_b32_e32 v4, 0
                                        ; implicit-def: $sgpr62_sgpr63
	s_branch .LBB4_9326
.LBB4_9323:                             ;   in Loop: Header=BB4_9326 Depth=3
	s_or_b64 exec, exec, s[70:71]
	v_mov_b32_e32 v5, 0
	s_orn2_b64 s[68:69], s[68:69], exec
.LBB4_9324:                             ;   in Loop: Header=BB4_9326 Depth=3
	s_or_b64 exec, exec, s[66:67]
	s_andn2_b64 vcc, s[62:63], exec
	s_and_b64 s[62:63], s[68:69], exec
	s_or_b64 s[62:63], vcc, s[62:63]
	v_mov_b32_e32 v4, v5
.LBB4_9325:                             ;   in Loop: Header=BB4_9326 Depth=3
	s_or_b64 exec, exec, s[64:65]
	s_waitcnt vmcnt(0) lgkmcnt(0)
	v_cmp_ge_u64_e32 vcc, v[48:49], v[2:3]
	s_xor_b64 s[64:65], s[62:63], -1
	s_or_b64 vcc, s[64:65], vcc
	s_and_b64 vcc, exec, vcc
	s_or_b64 s[60:61], vcc, s[60:61]
	s_andn2_b64 exec, exec, s[60:61]
	s_cbranch_execz .LBB4_9340
.LBB4_9326:                             ;   Parent Loop BB4_47 Depth=1
                                        ;     Parent Loop BB4_9318 Depth=2
                                        ; =>    This Inner Loop Header: Depth=3
	v_accvgpr_read_b32 v8, a16
	v_accvgpr_read_b32 v9, a17
	s_sleep 1
	flat_load_dwordx2 v[48:49], v[8:9] glc
	v_and_b32_e32 v5, 64, v34
	v_cmp_eq_u32_e32 vcc, 0, v5
	s_andn2_b64 s[62:63], s[62:63], exec
	s_and_saveexec_b64 s[64:65], vcc
	s_cbranch_execz .LBB4_9325
; %bb.9327:                             ;   in Loop: Header=BB4_9326 Depth=3
	v_add_u32_e32 v5, 1, v4
	v_cmp_lt_i32_e32 vcc, s91, v4
	s_mov_b64 s[68:69], -1
	s_and_saveexec_b64 s[66:67], vcc
	s_cbranch_execz .LBB4_9324
; %bb.9328:                             ;   in Loop: Header=BB4_9326 Depth=3
	s_trap 2
	ds_read_b64 v[4:5], v0
	s_waitcnt vmcnt(0) lgkmcnt(0)
	flat_load_dword v4, v[4:5] glc
	s_waitcnt vmcnt(0) lgkmcnt(0)
	buffer_invl2
	buffer_wbinvl1_vol
	v_cmp_ne_u32_e32 vcc, 0, v4
	s_and_saveexec_b64 s[70:71], vcc
	s_cbranch_execz .LBB4_9323
; %bb.9329:                             ;   in Loop: Header=BB4_9326 Depth=3
	v_or_b32_e32 v34, 64, v34
	s_xor_b64 s[68:69], exec, -1
	ds_write_b32 v0, v4
	s_trap 2
	s_branch .LBB4_9323
.LBB4_9330:                             ;   in Loop: Header=BB4_9318 Depth=2
	s_or_b64 exec, exec, s[26:27]
	s_xor_b64 s[26:27], s[58:59], -1
	s_and_saveexec_b64 s[58:59], s[26:27]
	s_cbranch_execz .LBB4_9342
.LBB4_9331:                             ;   in Loop: Header=BB4_9318 Depth=2
	v_and_b32_e32 v2, 0x100, v34
	v_cmp_ne_u32_e32 vcc, 0, v2
	v_accvgpr_read_b32 v2, a10
	v_accvgpr_read_b32 v3, a11
	v_and_b32_e32 v8, 7, v2
	s_mov_b64 s[26:27], -1
                                        ; implicit-def: $vgpr2_vgpr3
	s_and_saveexec_b64 s[60:61], vcc
	s_cbranch_execz .LBB4_9335
; %bb.9332:                             ;   in Loop: Header=BB4_9318 Depth=2
	v_accvgpr_read_b32 v2, a12
	v_accvgpr_read_b32 v3, a13
	v_mad_u64_u32 v[4:5], s[26:27], v8, 24, v[2:3]
	flat_load_dword v2, v[4:5]
	s_waitcnt vmcnt(0) lgkmcnt(0)
	v_cmp_ne_u32_e32 vcc, 1, v2
	v_cmp_eq_u32_e64 s[26:27], 1, v2
                                        ; implicit-def: $vgpr2_vgpr3
	s_and_saveexec_b64 s[62:63], s[26:27]
	s_cbranch_execz .LBB4_9334
; %bb.9333:                             ;   in Loop: Header=BB4_9318 Depth=2
	flat_load_dword v2, v[4:5] offset:4 glc
	s_waitcnt vmcnt(0) lgkmcnt(0)
	v_ashrrev_i32_e32 v3, 31, v2
.LBB4_9334:                             ;   in Loop: Header=BB4_9318 Depth=2
	s_or_b64 exec, exec, s[62:63]
	s_orn2_b64 s[26:27], vcc, exec
.LBB4_9335:                             ;   in Loop: Header=BB4_9318 Depth=2
	s_or_b64 exec, exec, s[60:61]
	s_and_saveexec_b64 vcc, s[26:27]
; %bb.9336:                             ;   in Loop: Header=BB4_9318 Depth=2
	v_accvgpr_read_b32 v2, a18
	v_mad_i64_i32 v[2:3], s[26:27], v8, v2, 0
; %bb.9337:                             ;   in Loop: Header=BB4_9318 Depth=2
	s_or_b64 exec, exec, vcc
	v_accvgpr_read_b32 v4, a20
	v_accvgpr_read_b32 v5, a21
	v_add_co_u32_e32 v2, vcc, v4, v2
	v_addc_co_u32_e32 v3, vcc, v5, v3, vcc
	ds_write_b64 v0, v[2:3] offset:720
	v_and_b32_e32 v2, 0x2000, v34
	v_cmp_ne_u32_e32 vcc, 0, v2
	s_and_saveexec_b64 s[26:27], vcc
	s_cbranch_execz .LBB4_9339
; %bb.9338:                             ;   in Loop: Header=BB4_9318 Depth=2
	ds_read_b64 v[2:3], v0 offset:584
	s_waitcnt lgkmcnt(0)
	v_add_co_u32_e32 v2, vcc, 1, v2
	v_addc_co_u32_e32 v3, vcc, 0, v3, vcc
	ds_write_b64 v0, v[2:3] offset:584
.LBB4_9339:                             ;   in Loop: Header=BB4_9318 Depth=2
	s_or_b64 exec, exec, s[26:27]
	v_accvgpr_read_b32 v2, a10
	v_accvgpr_read_b32 v3, a11
	v_add_co_u32_e32 v2, vcc, 2, v2
	v_addc_co_u32_e32 v3, vcc, 0, v3, vcc
	v_accvgpr_write_b32 a11, v3
	v_accvgpr_write_b32 a10, v2
	s_or_b64 exec, exec, s[58:59]
	s_and_saveexec_b64 s[26:27], s[10:11]
	s_cbranch_execz .LBB4_9361
	s_branch .LBB4_9343
.LBB4_9340:                             ;   in Loop: Header=BB4_9318 Depth=2
	s_or_b64 exec, exec, s[60:61]
	v_and_b32_e32 v4, 4, v34
.LBB4_9341:                             ;   in Loop: Header=BB4_9318 Depth=2
	s_or_b64 exec, exec, s[58:59]
	v_cmp_eq_u32_e32 vcc, 0, v4
	s_orn2_b64 s[58:59], vcc, exec
	;;#ASMSTART
	s_wakeup
	;;#ASMEND
	s_or_b64 exec, exec, s[26:27]
	s_xor_b64 s[26:27], s[58:59], -1
	s_and_saveexec_b64 s[58:59], s[26:27]
	s_cbranch_execnz .LBB4_9331
.LBB4_9342:                             ;   in Loop: Header=BB4_9318 Depth=2
	s_or_b64 exec, exec, s[58:59]
	s_and_saveexec_b64 s[26:27], s[10:11]
	s_cbranch_execz .LBB4_9361
.LBB4_9343:                             ;   in Loop: Header=BB4_9318 Depth=2
	s_and_saveexec_b64 vcc, s[44:45]
	s_xor_b64 s[58:59], exec, vcc
	s_cbranch_execz .LBB4_9358
; %bb.9344:                             ;   in Loop: Header=BB4_9318 Depth=2
	s_and_saveexec_b64 s[60:61], s[16:17]
	s_cbranch_execz .LBB4_9357
; %bb.9345:                             ;   in Loop: Header=BB4_9318 Depth=2
	s_mov_b64 s[64:65], exec
	v_mbcnt_lo_u32_b32 v2, s64, 0
	v_mbcnt_hi_u32_b32 v2, s65, v2
	v_cmp_eq_u32_e32 vcc, 0, v2
	s_waitcnt vmcnt(0) lgkmcnt(0)
	buffer_wbinvl1_vol
	s_and_saveexec_b64 s[62:63], vcc
	s_cbranch_execz .LBB4_9347
; %bb.9346:                             ;   in Loop: Header=BB4_9318 Depth=2
	s_bcnt1_i32_b64 vcc_lo, s[64:65]
	v_mov_b32_e32 v42, vcc_lo
	ds_add_u64 v0, v[42:43]
	s_trap 2
.LBB4_9347:                             ;   in Loop: Header=BB4_9318 Depth=2
	s_or_b64 exec, exec, s[62:63]
	s_trap 2
	ds_read_b64 v[2:3], v0
	v_accvgpr_read_b32 v4, a14
	v_accvgpr_read_b32 v5, a15
	v_add_co_u32_e32 v4, vcc, v4, v46
	v_addc_co_u32_e32 v5, vcc, 0, v5, vcc
	v_accvgpr_write_b32 a15, v5
	v_accvgpr_write_b32 a14, v4
	s_waitcnt lgkmcnt(0)
	v_cmp_lt_u64_e32 vcc, v[2:3], v[4:5]
	s_and_saveexec_b64 s[62:63], vcc
	s_cbranch_execz .LBB4_9356
; %bb.9348:                             ;   in Loop: Header=BB4_9318 Depth=2
	s_mov_b32 s74, 0
	s_mov_b64 s[64:65], 0
                                        ; implicit-def: $sgpr66_sgpr67
                                        ; implicit-def: $sgpr68_sgpr69
	s_branch .LBB4_9350
.LBB4_9349:                             ;   in Loop: Header=BB4_9350 Depth=3
	s_or_b64 exec, exec, s[72:73]
	s_and_b64 vcc, exec, vcc
	s_or_b64 s[64:65], vcc, s[64:65]
	s_andn2_b64 vcc, s[66:67], exec
	s_and_b64 s[66:67], s[68:69], exec
	s_or_b64 s[66:67], vcc, s[66:67]
	s_andn2_b64 exec, exec, s[64:65]
	s_cbranch_execz .LBB4_9354
.LBB4_9350:                             ;   Parent Loop BB4_47 Depth=1
                                        ;     Parent Loop BB4_9318 Depth=2
                                        ; =>    This Inner Loop Header: Depth=3
	s_add_i32 s74, s74, 1
	s_cmpk_lg_i32 s74, 0x2710
	s_cselect_b64 s[70:71], -1, 0
	s_and_b64 vcc, exec, s[70:71]
                                        ; implicit-def: $sgpr72_sgpr73
	s_cbranch_vccnz .LBB4_9352
; %bb.9351:                             ;   in Loop: Header=BB4_9350 Depth=3
	s_trap 2
	ds_read_b64 v[2:3], v0
	s_andn2_b64 s[70:71], s[70:71], exec
	s_mov_b32 s74, 0
	s_mov_b64 s[72:73], -1
	s_waitcnt lgkmcnt(0)
	flat_load_dword v2, v[2:3] glc
	s_waitcnt vmcnt(0) lgkmcnt(0)
	buffer_invl2
	buffer_wbinvl1_vol
	v_cmp_eq_u32_e32 vcc, 0, v2
	s_and_b64 vcc, vcc, exec
	s_or_b64 s[70:71], s[70:71], vcc
.LBB4_9352:                             ;   in Loop: Header=BB4_9350 Depth=3
	s_andn2_b64 s[68:69], s[68:69], exec
	s_and_b64 s[72:73], s[72:73], exec
	s_mov_b64 vcc, -1
	s_or_b64 s[68:69], s[68:69], s[72:73]
	s_and_saveexec_b64 s[72:73], s[70:71]
	s_cbranch_execz .LBB4_9349
; %bb.9353:                             ;   in Loop: Header=BB4_9350 Depth=3
	s_sleep 1
	s_trap 2
	ds_read_b64 v[2:3], v0
	v_accvgpr_read_b32 v4, a14
	v_accvgpr_read_b32 v5, a15
	s_andn2_b64 s[68:69], s[68:69], exec
	s_waitcnt lgkmcnt(0)
	v_cmp_ge_u64_e32 vcc, v[2:3], v[4:5]
	s_orn2_b64 vcc, vcc, exec
	s_branch .LBB4_9349
.LBB4_9354:                             ;   in Loop: Header=BB4_9318 Depth=2
	s_or_b64 exec, exec, s[64:65]
	s_and_saveexec_b64 vcc, s[66:67]
	s_xor_b64 vcc, exec, vcc
	s_cbranch_execz .LBB4_9356
; %bb.9355:                             ;   in Loop: Header=BB4_9318 Depth=2
	v_mov_b32_e32 v2, 1
	ds_write_b32 v0, v2
	s_trap 2
.LBB4_9356:                             ;   in Loop: Header=BB4_9318 Depth=2
	s_or_b64 exec, exec, s[62:63]
	;;#ASMSTART
	s_wakeup
	;;#ASMEND
.LBB4_9357:                             ;   in Loop: Header=BB4_9318 Depth=2
	s_or_b64 exec, exec, s[60:61]
.LBB4_9358:                             ;   in Loop: Header=BB4_9318 Depth=2
	s_andn2_saveexec_b64 vcc, s[58:59]
	s_cbranch_execz .LBB4_9360
; %bb.9359:                             ;   in Loop: Header=BB4_9318 Depth=2
	s_waitcnt vmcnt(0) lgkmcnt(0)
	buffer_wbinvl1_vol
	s_barrier
.LBB4_9360:                             ;   in Loop: Header=BB4_9318 Depth=2
	s_or_b64 exec, exec, vcc
.LBB4_9361:                             ;   in Loop: Header=BB4_9318 Depth=2
	s_or_b64 exec, exec, s[26:27]
	s_trap 2
	ds_read_b32 v2, v0
	v_and_b32_e32 v3, 0x4000, v34
	v_cmp_ne_u32_e32 vcc, 0, v3
	s_xor_b64 s[26:27], s[6:7], -1
	s_and_b64 vcc, s[26:27], vcc
	s_and_saveexec_b64 s[26:27], vcc
	s_cbranch_execz .LBB4_9380
; %bb.9362:                             ;   in Loop: Header=BB4_9318 Depth=2
	s_and_saveexec_b64 vcc, s[44:45]
	s_xor_b64 s[58:59], exec, vcc
	s_cbranch_execz .LBB4_9377
; %bb.9363:                             ;   in Loop: Header=BB4_9318 Depth=2
	s_and_saveexec_b64 s[60:61], s[16:17]
	s_cbranch_execz .LBB4_9376
; %bb.9364:                             ;   in Loop: Header=BB4_9318 Depth=2
	s_mov_b64 s[64:65], exec
	v_mbcnt_lo_u32_b32 v3, s64, 0
	v_mbcnt_hi_u32_b32 v3, s65, v3
	v_cmp_eq_u32_e32 vcc, 0, v3
	s_waitcnt vmcnt(0) lgkmcnt(0)
	buffer_wbinvl1_vol
	s_and_saveexec_b64 s[62:63], vcc
	s_cbranch_execz .LBB4_9366
; %bb.9365:                             ;   in Loop: Header=BB4_9318 Depth=2
	s_bcnt1_i32_b64 vcc_lo, s[64:65]
	v_mov_b32_e32 v42, vcc_lo
	ds_add_u64 v0, v[42:43]
	s_trap 2
.LBB4_9366:                             ;   in Loop: Header=BB4_9318 Depth=2
	s_or_b64 exec, exec, s[62:63]
	s_trap 2
	ds_read_b64 v[4:5], v0
	v_accvgpr_read_b32 v8, a14
	v_accvgpr_read_b32 v9, a15
	v_add_co_u32_e32 v8, vcc, v8, v46
	v_addc_co_u32_e32 v9, vcc, 0, v9, vcc
	v_accvgpr_write_b32 a15, v9
	v_accvgpr_write_b32 a14, v8
	s_waitcnt lgkmcnt(0)
	v_cmp_lt_u64_e32 vcc, v[4:5], v[8:9]
	s_and_saveexec_b64 s[62:63], vcc
	s_cbranch_execz .LBB4_9375
; %bb.9367:                             ;   in Loop: Header=BB4_9318 Depth=2
	s_mov_b32 s74, 0
	s_mov_b64 s[64:65], 0
                                        ; implicit-def: $sgpr66_sgpr67
                                        ; implicit-def: $sgpr68_sgpr69
	s_branch .LBB4_9369
.LBB4_9368:                             ;   in Loop: Header=BB4_9369 Depth=3
	s_or_b64 exec, exec, s[72:73]
	s_and_b64 vcc, exec, vcc
	s_or_b64 s[64:65], vcc, s[64:65]
	s_andn2_b64 vcc, s[66:67], exec
	s_and_b64 s[66:67], s[68:69], exec
	s_or_b64 s[66:67], vcc, s[66:67]
	s_andn2_b64 exec, exec, s[64:65]
	s_cbranch_execz .LBB4_9373
.LBB4_9369:                             ;   Parent Loop BB4_47 Depth=1
                                        ;     Parent Loop BB4_9318 Depth=2
                                        ; =>    This Inner Loop Header: Depth=3
	s_add_i32 s74, s74, 1
	s_cmpk_lg_i32 s74, 0x2710
	s_cselect_b64 s[70:71], -1, 0
	s_and_b64 vcc, exec, s[70:71]
                                        ; implicit-def: $sgpr72_sgpr73
	s_cbranch_vccnz .LBB4_9371
; %bb.9370:                             ;   in Loop: Header=BB4_9369 Depth=3
	s_trap 2
	ds_read_b64 v[4:5], v0
	s_andn2_b64 s[70:71], s[70:71], exec
	s_mov_b32 s74, 0
	s_mov_b64 s[72:73], -1
	s_waitcnt lgkmcnt(0)
	flat_load_dword v3, v[4:5] glc
	s_waitcnt vmcnt(0) lgkmcnt(0)
	buffer_invl2
	buffer_wbinvl1_vol
	v_cmp_eq_u32_e32 vcc, 0, v3
	s_and_b64 vcc, vcc, exec
	s_or_b64 s[70:71], s[70:71], vcc
.LBB4_9371:                             ;   in Loop: Header=BB4_9369 Depth=3
	s_andn2_b64 s[68:69], s[68:69], exec
	s_and_b64 s[72:73], s[72:73], exec
	s_mov_b64 vcc, -1
	s_or_b64 s[68:69], s[68:69], s[72:73]
	s_and_saveexec_b64 s[72:73], s[70:71]
	s_cbranch_execz .LBB4_9368
; %bb.9372:                             ;   in Loop: Header=BB4_9369 Depth=3
	s_sleep 1
	s_trap 2
	ds_read_b64 v[4:5], v0
	v_accvgpr_read_b32 v8, a14
	v_accvgpr_read_b32 v9, a15
	s_andn2_b64 s[68:69], s[68:69], exec
	s_waitcnt lgkmcnt(0)
	v_cmp_ge_u64_e32 vcc, v[4:5], v[8:9]
	s_orn2_b64 vcc, vcc, exec
	s_branch .LBB4_9368
.LBB4_9373:                             ;   in Loop: Header=BB4_9318 Depth=2
	s_or_b64 exec, exec, s[64:65]
	s_and_saveexec_b64 vcc, s[66:67]
	s_xor_b64 vcc, exec, vcc
	s_cbranch_execz .LBB4_9375
; %bb.9374:                             ;   in Loop: Header=BB4_9318 Depth=2
	v_mov_b32_e32 v3, 1
	ds_write_b32 v0, v3
	s_trap 2
.LBB4_9375:                             ;   in Loop: Header=BB4_9318 Depth=2
	s_or_b64 exec, exec, s[62:63]
	;;#ASMSTART
	s_wakeup
	;;#ASMEND
.LBB4_9376:                             ;   in Loop: Header=BB4_9318 Depth=2
	s_or_b64 exec, exec, s[60:61]
.LBB4_9377:                             ;   in Loop: Header=BB4_9318 Depth=2
	s_andn2_saveexec_b64 vcc, s[58:59]
	s_cbranch_execz .LBB4_9379
; %bb.9378:                             ;   in Loop: Header=BB4_9318 Depth=2
	s_waitcnt vmcnt(0) lgkmcnt(0)
	buffer_wbinvl1_vol
	s_barrier
.LBB4_9379:                             ;   in Loop: Header=BB4_9318 Depth=2
	s_or_b64 exec, exec, vcc
.LBB4_9380:                             ;   in Loop: Header=BB4_9318 Depth=2
	s_or_b64 exec, exec, s[26:27]
	s_trap 2
	ds_read_b64 v[4:5], v0
	v_sub_u32_e32 v3, v0, v10
	v_min_i32_e32 v7, v7, v3
	v_mov_b32_e32 v13, 0
	s_waitcnt lgkmcnt(0)
	v_readfirstlane_b32 s26, v4
	v_readfirstlane_b32 s27, v5
	s_cmp_eq_u64 s[26:27], 0
	s_cselect_b64 s[26:27], -1, 0
	s_or_b64 s[26:27], s[26:27], s[26:27]
	s_and_b64 vcc, exec, s[26:27]
	s_cbranch_vccnz .LBB4_9396
; %bb.9381:                             ;   in Loop: Header=BB4_9318 Depth=2
	s_mov_b64 s[26:27], -1
	s_and_saveexec_b64 s[58:59], s[20:21]
	s_cbranch_execz .LBB4_9383
; %bb.9382:                             ;   in Loop: Header=BB4_9318 Depth=2
	ds_read_b32 v3, v0 offset:720
	s_waitcnt lgkmcnt(0)
	v_and_b32_e32 v3, 15, v3
	v_cmp_eq_u32_e32 vcc, 0, v3
	s_orn2_b64 s[26:27], vcc, exec
.LBB4_9383:                             ;   in Loop: Header=BB4_9318 Depth=2
	s_or_b64 exec, exec, s[58:59]
	s_and_saveexec_b64 s[58:59], s[18:19]
	s_cbranch_execz .LBB4_9385
; %bb.9384:                             ;   in Loop: Header=BB4_9318 Depth=2
	ds_read_b32 v3, v0 offset:784
	s_waitcnt lgkmcnt(0)
	v_and_b32_e32 v3, 15, v3
	v_cmp_eq_u32_e32 vcc, 0, v3
	s_and_b64 vcc, s[26:27], vcc
	s_andn2_b64 s[26:27], s[26:27], exec
	s_and_b64 vcc, vcc, exec
	s_or_b64 s[26:27], s[26:27], vcc
.LBB4_9385:                             ;   in Loop: Header=BB4_9318 Depth=2
	s_or_b64 exec, exec, s[58:59]
	v_cmp_eq_u32_e32 vcc, 0, v2
	s_xor_b64 s[26:27], s[26:27], -1
	v_cndmask_b32_e32 v13, 0, v7, vcc
	v_cndmask_b32_e64 v2, 0, 1, s[26:27]
	v_mov_b32_e32 v14, 0
	s_mov_b64 s[60:61], -1
	;;#ASMSTART
	;;#ASMEND
	v_cmp_ne_u32_e32 vcc, 0, v2
	v_mov_b32_e32 v15, v13
	v_accvgpr_read_b32 v16, a1
	v_accvgpr_read_b32 v4, a31
	s_cbranch_vccz .LBB4_9408
; %bb.9386:                             ;   in Loop: Header=BB4_9318 Depth=2
	s_and_saveexec_b64 s[26:27], s[60:61]
	s_cbranch_execz .LBB4_9421
.LBB4_9387:                             ;   in Loop: Header=BB4_9318 Depth=2
	v_ashrrev_i32_e32 v2, 31, v15
	v_lshrrev_b32_e32 v2, 22, v2
	v_add_u32_e32 v2, v15, v2
	v_ashrrev_i32_e32 v19, 10, v2
	v_sub_u32_e32 v17, v19, v4
	v_ashrrev_i32_e32 v2, 31, v16
	v_cmp_lt_i32_e32 vcc, 0, v17
	v_lshrrev_b32_e32 v18, 26, v2
	s_and_saveexec_b64 s[58:59], vcc
	s_cbranch_execz .LBB4_9391
; %bb.9388:                             ;   in Loop: Header=BB4_9318 Depth=2
	s_trap 2
	ds_read_b64 v[2:3], v0
	v_add_u32_e32 v5, v16, v18
	v_and_b32_e32 v5, 0xffffffc0, v5
	v_sub_u32_e32 v5, v16, v5
	v_lshlrev_b32_e32 v4, 10, v4
	v_add3_u32 v4, v14, v5, v4
	v_ashrrev_i32_e32 v5, 31, v4
	s_mov_b64 s[60:61], 0
	s_waitcnt lgkmcnt(0)
	v_pk_mov_b32 v[8:9], v[2:3], v[2:3] op_sel:[0,1]
	v_accvgpr_read_b32 v51, a41
	v_accvgpr_read_b32 v52, a42
.LBB4_9389:                             ;   Parent Loop BB4_47 Depth=1
                                        ;     Parent Loop BB4_9318 Depth=2
                                        ; =>    This Inner Loop Header: Depth=3
	v_add_co_u32_e32 v20, vcc, v4, v8
	v_addc_co_u32_e32 v21, vcc, v5, v9, vcc
	flat_load_ubyte v22, v[20:21] glc slc
	flat_load_ubyte v23, v[20:21] offset:64 glc slc
	flat_load_ubyte v24, v[20:21] offset:128 glc slc
	;; [unrolled: 1-line block ×15, first 2 shown]
	v_add_co_u32_e32 v20, vcc, v4, v2
	v_addc_co_u32_e32 v21, vcc, v5, v3, vcc
	v_add_co_u32_e32 v8, vcc, v8, v51
	v_addc_co_u32_e32 v9, vcc, v9, v52, vcc
	v_add_co_u32_e32 v2, vcc, v2, v51
	v_sub_u32_e32 v17, v17, v46
	v_addc_co_u32_e32 v3, vcc, v3, v52, vcc
	v_cmp_gt_i32_e32 vcc, 1, v17
	s_or_b64 s[60:61], vcc, s[60:61]
	s_waitcnt vmcnt(0) lgkmcnt(0)
	flat_store_byte v[20:21], v22 glc slc
	flat_store_byte v[20:21], v23 offset:64 glc slc
	flat_store_byte v[20:21], v24 offset:128 glc slc
	;; [unrolled: 1-line block ×15, first 2 shown]
	s_andn2_b64 exec, exec, s[60:61]
	s_cbranch_execnz .LBB4_9389
; %bb.9390:                             ;   in Loop: Header=BB4_9318 Depth=2
	s_or_b64 exec, exec, s[60:61]
	v_accvgpr_read_b32 v29, a9
	v_accvgpr_read_b32 v28, a8
.LBB4_9391:                             ;   in Loop: Header=BB4_9318 Depth=2
	s_or_b64 exec, exec, s[58:59]
	v_lshlrev_b32_e32 v2, 10, v19
	v_cmp_ne_u32_e32 vcc, v15, v2
	s_mov_b64 s[58:59], exec
	s_and_b64 vcc, s[58:59], vcc
	v_accvgpr_read_b32 v19, a36
	v_accvgpr_read_b32 v20, a37
	s_mov_b64 exec, vcc
	s_cbranch_execz .LBB4_9395
; %bb.9392:                             ;   in Loop: Header=BB4_9318 Depth=2
	v_add_u32_e32 v3, v16, v18
	v_and_b32_e32 v3, 0xffffffc0, v3
	v_sub_u32_e32 v3, v16, v3
	v_lshlrev_b32_e32 v4, 6, v17
	v_sub_u32_e32 v3, v3, v4
	v_add_u32_e32 v4, v2, v3
	v_sub_u32_e32 v8, v15, v4
	v_cmp_lt_i32_e32 vcc, 0, v8
	s_and_b64 exec, exec, vcc
	s_cbranch_execz .LBB4_9395
; %bb.9393:                             ;   in Loop: Header=BB4_9318 Depth=2
	s_trap 2
	ds_read_b64 v[2:3], v0
	v_add_u32_e32 v4, v4, v14
	v_ashrrev_i32_e32 v5, 31, v4
	s_mov_b64 s[60:61], 0
.LBB4_9394:                             ;   Parent Loop BB4_47 Depth=1
                                        ;     Parent Loop BB4_9318 Depth=2
                                        ; =>    This Inner Loop Header: Depth=3
	s_waitcnt lgkmcnt(0)
	v_add_co_u32_e32 v14, vcc, v2, v4
	v_addc_co_u32_e32 v15, vcc, v3, v5, vcc
	flat_load_ubyte v9, v[14:15] glc slc
	v_add_co_u32_e32 v4, vcc, v4, v19
	v_sub_u32_e32 v8, v8, v41
	v_addc_co_u32_e32 v5, vcc, v5, v20, vcc
	v_cmp_gt_i32_e32 vcc, 1, v8
	s_or_b64 s[60:61], vcc, s[60:61]
	s_waitcnt vmcnt(0) lgkmcnt(0)
	flat_store_byte v[14:15], v9 glc slc
	s_andn2_b64 exec, exec, s[60:61]
	s_cbranch_execnz .LBB4_9394
.LBB4_9395:                             ;   in Loop: Header=BB4_9318 Depth=2
	s_or_b64 exec, exec, s[58:59]
	s_or_b64 exec, exec, s[26:27]
	s_and_saveexec_b64 s[26:27], s[10:11]
	s_cbranch_execz .LBB4_9422
	s_branch .LBB4_9397
.LBB4_9396:                             ;   in Loop: Header=BB4_9318 Depth=2
	s_and_saveexec_b64 s[26:27], s[10:11]
	s_cbranch_execz .LBB4_9422
.LBB4_9397:                             ;   in Loop: Header=BB4_9318 Depth=2
	s_and_saveexec_b64 vcc, s[44:45]
	s_xor_b64 s[58:59], exec, vcc
	s_cbranch_execz .LBB4_9430
; %bb.9398:                             ;   in Loop: Header=BB4_9318 Depth=2
	s_and_saveexec_b64 s[60:61], s[16:17]
	s_cbranch_execz .LBB4_9429
; %bb.9399:                             ;   in Loop: Header=BB4_9318 Depth=2
	s_mov_b64 s[64:65], exec
	v_mbcnt_lo_u32_b32 v2, s64, 0
	v_mbcnt_hi_u32_b32 v2, s65, v2
	v_cmp_eq_u32_e32 vcc, 0, v2
	s_waitcnt vmcnt(0) lgkmcnt(0)
	buffer_wbinvl1_vol
	s_and_saveexec_b64 s[62:63], vcc
	s_cbranch_execz .LBB4_9401
; %bb.9400:                             ;   in Loop: Header=BB4_9318 Depth=2
	s_bcnt1_i32_b64 vcc_lo, s[64:65]
	v_mov_b32_e32 v42, vcc_lo
	ds_add_u64 v0, v[42:43]
	s_trap 2
.LBB4_9401:                             ;   in Loop: Header=BB4_9318 Depth=2
	s_or_b64 exec, exec, s[62:63]
	s_trap 2
	ds_read_b64 v[2:3], v0
	v_accvgpr_read_b32 v4, a14
	v_accvgpr_read_b32 v5, a15
	v_add_co_u32_e32 v4, vcc, v4, v46
	v_addc_co_u32_e32 v5, vcc, 0, v5, vcc
	v_accvgpr_write_b32 a15, v5
	v_accvgpr_write_b32 a14, v4
	s_waitcnt lgkmcnt(0)
	v_cmp_lt_u64_e32 vcc, v[2:3], v[4:5]
	s_and_saveexec_b64 s[62:63], vcc
	s_cbranch_execz .LBB4_9428
; %bb.9402:                             ;   in Loop: Header=BB4_9318 Depth=2
	s_mov_b32 s74, 0
	s_mov_b64 s[64:65], 0
                                        ; implicit-def: $sgpr66_sgpr67
                                        ; implicit-def: $sgpr68_sgpr69
	s_branch .LBB4_9404
.LBB4_9403:                             ;   in Loop: Header=BB4_9404 Depth=3
	s_or_b64 exec, exec, s[72:73]
	s_and_b64 vcc, exec, vcc
	s_or_b64 s[64:65], vcc, s[64:65]
	s_andn2_b64 vcc, s[66:67], exec
	s_and_b64 s[66:67], s[68:69], exec
	s_or_b64 s[66:67], vcc, s[66:67]
	s_andn2_b64 exec, exec, s[64:65]
	s_cbranch_execz .LBB4_9426
.LBB4_9404:                             ;   Parent Loop BB4_47 Depth=1
                                        ;     Parent Loop BB4_9318 Depth=2
                                        ; =>    This Inner Loop Header: Depth=3
	s_add_i32 s74, s74, 1
	s_cmpk_lg_i32 s74, 0x2710
	s_cselect_b64 s[70:71], -1, 0
	s_and_b64 vcc, exec, s[70:71]
                                        ; implicit-def: $sgpr72_sgpr73
	s_cbranch_vccnz .LBB4_9406
; %bb.9405:                             ;   in Loop: Header=BB4_9404 Depth=3
	s_trap 2
	ds_read_b64 v[2:3], v0
	s_andn2_b64 s[70:71], s[70:71], exec
	s_mov_b32 s74, 0
	s_mov_b64 s[72:73], -1
	s_waitcnt lgkmcnt(0)
	flat_load_dword v2, v[2:3] glc
	s_waitcnt vmcnt(0) lgkmcnt(0)
	buffer_invl2
	buffer_wbinvl1_vol
	v_cmp_eq_u32_e32 vcc, 0, v2
	s_and_b64 vcc, vcc, exec
	s_or_b64 s[70:71], s[70:71], vcc
.LBB4_9406:                             ;   in Loop: Header=BB4_9404 Depth=3
	s_andn2_b64 s[68:69], s[68:69], exec
	s_and_b64 s[72:73], s[72:73], exec
	s_mov_b64 vcc, -1
	s_or_b64 s[68:69], s[68:69], s[72:73]
	s_and_saveexec_b64 s[72:73], s[70:71]
	s_cbranch_execz .LBB4_9403
; %bb.9407:                             ;   in Loop: Header=BB4_9404 Depth=3
	s_sleep 1
	s_trap 2
	ds_read_b64 v[2:3], v0
	v_accvgpr_read_b32 v4, a14
	v_accvgpr_read_b32 v5, a15
	s_andn2_b64 s[68:69], s[68:69], exec
	s_waitcnt lgkmcnt(0)
	v_cmp_ge_u64_e32 vcc, v[2:3], v[4:5]
	s_orn2_b64 vcc, vcc, exec
	s_branch .LBB4_9403
.LBB4_9408:                             ;   in Loop: Header=BB4_9318 Depth=2
	v_ashrrev_i32_e32 v2, 31, v13
	v_lshrrev_b32_e32 v2, 21, v2
	v_add_u32_e32 v2, v13, v2
	v_ashrrev_i32_e32 v8, 11, v2
	v_accvgpr_read_b32 v2, a31
	v_sub_u32_e32 v9, v8, v2
	v_cmp_lt_i32_e32 vcc, 0, v9
	s_and_saveexec_b64 s[26:27], vcc
	s_cbranch_execz .LBB4_9412
; %bb.9409:                             ;   in Loop: Header=BB4_9318 Depth=2
	s_trap 2
	ds_read_b64 v[2:3], v0
	v_accvgpr_read_b32 v4, a44
	s_mov_b64 s[58:59], 0
	v_accvgpr_read_b32 v5, a45
.LBB4_9410:                             ;   Parent Loop BB4_47 Depth=1
                                        ;     Parent Loop BB4_9318 Depth=2
                                        ; =>    This Inner Loop Header: Depth=3
	s_waitcnt lgkmcnt(0)
	v_add_co_u32_e32 v22, vcc, v2, v4
	v_addc_co_u32_e32 v23, vcc, v3, v5, vcc
	global_load_dwordx4 v[14:17], v[22:23], off glc slc
	global_load_dwordx4 v[18:21], v[22:23], off offset:1024 glc slc
	v_add_co_u32_e32 v4, vcc, v4, v58
	v_sub_u32_e32 v9, v9, v46
	v_addc_co_u32_e32 v5, vcc, v5, v55, vcc
	v_cmp_gt_i32_e32 vcc, 1, v9
	s_or_b64 s[58:59], vcc, s[58:59]
	s_waitcnt vmcnt(0)
	global_store_dwordx4 v[22:23], v[14:17], off glc slc
	global_store_dwordx4 v[22:23], v[18:21], off offset:1024 glc slc
	s_andn2_b64 exec, exec, s[58:59]
	s_cbranch_execnz .LBB4_9410
; %bb.9411:                             ;   in Loop: Header=BB4_9318 Depth=2
	s_or_b64 exec, exec, s[58:59]
.LBB4_9412:                             ;   in Loop: Header=BB4_9318 Depth=2
	s_or_b64 exec, exec, s[26:27]
	v_lshlrev_b32_e32 v8, 11, v8
	v_cmp_ne_u32_e32 vcc, v13, v8
	s_mov_b64 s[60:61], 0
	v_mov_b32_e32 v14, 0
                                        ; implicit-def: $vgpr15
                                        ; implicit-def: $vgpr16
                                        ; implicit-def: $vgpr4
	s_and_saveexec_b64 s[58:59], vcc
	s_cbranch_execz .LBB4_9420
; %bb.9413:                             ;   in Loop: Header=BB4_9318 Depth=2
	v_lshlrev_b32_e32 v3, 6, v9
	v_accvgpr_read_b32 v4, a40
	v_sub_u32_e32 v3, v4, v3
	v_ashrrev_i32_e32 v4, 31, v3
	v_lshrrev_b32_e32 v4, 26, v4
	v_add_u32_e32 v4, v3, v4
	v_ashrrev_i32_e32 v5, 6, v4
	v_and_b32_e32 v4, 0xffffffc0, v4
	v_sub_u32_e32 v9, v3, v4
	v_sub_u32_e32 v2, v13, v8
	v_lshlrev_b32_e32 v3, 4, v9
	v_lshl_add_u32 v4, v5, 10, v3
	v_ashrrev_i32_e32 v3, 31, v2
	v_lshrrev_b32_e32 v3, 22, v3
	v_add_u32_e32 v3, v2, v3
	v_and_b32_e32 v17, 0xfffffc00, v3
	v_sub_u32_e32 v19, v2, v17
	v_ashrrev_i32_e32 v15, 10, v3
	v_cmp_lt_i32_e32 vcc, 15, v19
	v_sub_u32_e32 v14, v2, v4
	v_addc_co_u32_e64 v2, s[26:27], 0, v15, vcc
	v_sub_u32_e32 v18, v2, v5
	v_cmp_lt_i32_e64 s[26:27], 15, v14
	s_and_saveexec_b64 s[60:61], s[26:27]
	s_cbranch_execz .LBB4_9417
; %bb.9414:                             ;   in Loop: Header=BB4_9318 Depth=2
	s_trap 2
	ds_read_b64 v[2:3], v0
	v_add_u32_e32 v4, v4, v8
	v_ashrrev_i32_e32 v5, 31, v4
	s_mov_b64 s[62:63], 0
	v_accvgpr_read_b32 v15, a28
	v_accvgpr_read_b32 v16, a41
	;; [unrolled: 1-line block ×3, first 2 shown]
.LBB4_9415:                             ;   Parent Loop BB4_47 Depth=1
                                        ;     Parent Loop BB4_9318 Depth=2
                                        ; =>    This Inner Loop Header: Depth=3
	s_waitcnt lgkmcnt(0)
	v_add_co_u32_e64 v24, s[26:27], v2, v4
	v_addc_co_u32_e64 v25, s[26:27], v3, v5, s[26:27]
	global_load_dwordx4 v[20:23], v[24:25], off glc slc
	v_add_co_u32_e64 v4, s[26:27], v4, v16
	v_sub_u32_e32 v14, v14, v15
	v_addc_co_u32_e64 v5, s[26:27], v5, v26, s[26:27]
	v_cmp_gt_i32_e64 s[26:27], 16, v14
	v_sub_u32_e32 v18, v18, v46
	s_or_b64 s[62:63], s[26:27], s[62:63]
	s_waitcnt vmcnt(0)
	global_store_dwordx4 v[24:25], v[20:23], off glc slc
	s_andn2_b64 exec, exec, s[62:63]
	s_cbranch_execnz .LBB4_9415
; %bb.9416:                             ;   in Loop: Header=BB4_9318 Depth=2
	s_or_b64 exec, exec, s[62:63]
.LBB4_9417:                             ;   in Loop: Header=BB4_9318 Depth=2
	s_or_b64 exec, exec, s[60:61]
	v_and_b32_e32 v2, 15, v13
	v_cndmask_b32_e32 v15, v19, v2, vcc
	v_cmp_ne_u32_e64 s[26:27], 0, v15
	s_mov_b64 s[60:61], 0
	v_mov_b32_e32 v14, 0
                                        ; implicit-def: $vgpr16
                                        ; implicit-def: $vgpr4
	s_and_saveexec_b64 s[62:63], s[26:27]
	s_cbranch_execz .LBB4_9419
; %bb.9418:                             ;   in Loop: Header=BB4_9318 Depth=2
	v_sub_u32_e32 v2, v19, v2
	v_cndmask_b32_e32 v2, 0, v2, vcc
	v_cmp_lt_i32_e32 vcc, 0, v18
	v_add3_u32 v14, v17, v8, v2
	v_cndmask_b32_e32 v2, 0, v46, vcc
	v_sub_u32_e32 v2, v2, v18
	v_lshl_add_u32 v16, v2, 6, v9
	v_ashrrev_i32_e32 v2, 31, v16
	v_lshrrev_b32_e32 v2, 26, v2
	v_add_u32_e32 v2, v16, v2
	s_mov_b64 s[60:61], exec
	v_ashrrev_i32_e32 v4, 6, v2
.LBB4_9419:                             ;   in Loop: Header=BB4_9318 Depth=2
	s_or_b64 exec, exec, s[62:63]
	s_and_b64 s[60:61], s[60:61], exec
.LBB4_9420:                             ;   in Loop: Header=BB4_9318 Depth=2
	s_or_b64 exec, exec, s[58:59]
	s_and_saveexec_b64 s[26:27], s[60:61]
	s_cbranch_execnz .LBB4_9387
.LBB4_9421:                             ;   in Loop: Header=BB4_9318 Depth=2
	s_or_b64 exec, exec, s[26:27]
	s_and_saveexec_b64 s[26:27], s[10:11]
	s_cbranch_execnz .LBB4_9397
.LBB4_9422:                             ;   in Loop: Header=BB4_9318 Depth=2
	s_or_b64 exec, exec, s[26:27]
	s_and_saveexec_b64 s[26:27], s[24:25]
	s_xor_b64 s[58:59], exec, s[26:27]
	s_cbranch_execz .LBB4_9433
.LBB4_9423:                             ;   in Loop: Header=BB4_9318 Depth=2
	v_and_b32_e32 v2, 16, v34
	v_cmp_lt_i32_e32 vcc, 0, v13
	v_cmp_ne_u32_e64 s[26:27], 0, v2
	s_and_b64 vcc, s[26:27], vcc
	s_and_saveexec_b64 s[26:27], vcc
	s_cbranch_execz .LBB4_9425
; %bb.9424:                             ;   in Loop: Header=BB4_9318 Depth=2
	s_waitcnt vmcnt(0) lgkmcnt(0)
	buffer_wbinvl1_vol
.LBB4_9425:                             ;   in Loop: Header=BB4_9318 Depth=2
	s_or_b64 exec, exec, s[26:27]
	s_andn2_saveexec_b64 s[26:27], s[58:59]
	s_cbranch_execz .LBB4_9452
	s_branch .LBB4_9434
.LBB4_9426:                             ;   in Loop: Header=BB4_9318 Depth=2
	s_or_b64 exec, exec, s[64:65]
	s_and_saveexec_b64 vcc, s[66:67]
	s_xor_b64 vcc, exec, vcc
	s_cbranch_execz .LBB4_9428
; %bb.9427:                             ;   in Loop: Header=BB4_9318 Depth=2
	v_mov_b32_e32 v2, 1
	ds_write_b32 v0, v2
	s_trap 2
.LBB4_9428:                             ;   in Loop: Header=BB4_9318 Depth=2
	s_or_b64 exec, exec, s[62:63]
	;;#ASMSTART
	s_wakeup
	;;#ASMEND
.LBB4_9429:                             ;   in Loop: Header=BB4_9318 Depth=2
	s_or_b64 exec, exec, s[60:61]
.LBB4_9430:                             ;   in Loop: Header=BB4_9318 Depth=2
	s_andn2_saveexec_b64 vcc, s[58:59]
	s_cbranch_execz .LBB4_9432
; %bb.9431:                             ;   in Loop: Header=BB4_9318 Depth=2
	s_waitcnt vmcnt(0) lgkmcnt(0)
	buffer_wbinvl1_vol
	s_barrier
.LBB4_9432:                             ;   in Loop: Header=BB4_9318 Depth=2
	s_or_b64 exec, exec, vcc
	s_or_b64 exec, exec, s[26:27]
	s_and_saveexec_b64 s[26:27], s[24:25]
	s_xor_b64 s[58:59], exec, s[26:27]
	s_cbranch_execnz .LBB4_9423
.LBB4_9433:                             ;   in Loop: Header=BB4_9318 Depth=2
	s_andn2_saveexec_b64 s[26:27], s[58:59]
	s_cbranch_execz .LBB4_9452
.LBB4_9434:                             ;   in Loop: Header=BB4_9318 Depth=2
	s_and_saveexec_b64 vcc, s[44:45]
	s_xor_b64 s[58:59], exec, vcc
	s_cbranch_execz .LBB4_9449
; %bb.9435:                             ;   in Loop: Header=BB4_9318 Depth=2
	s_and_saveexec_b64 s[60:61], s[16:17]
	s_cbranch_execz .LBB4_9448
; %bb.9436:                             ;   in Loop: Header=BB4_9318 Depth=2
	s_mov_b64 s[64:65], exec
	v_mbcnt_lo_u32_b32 v2, s64, 0
	v_mbcnt_hi_u32_b32 v2, s65, v2
	v_cmp_eq_u32_e32 vcc, 0, v2
	;;#ASMSTART
	s_waitcnt lgkmcnt(0) vmcnt(0)
	;;#ASMEND
	s_and_saveexec_b64 s[62:63], vcc
	s_cbranch_execz .LBB4_9438
; %bb.9437:                             ;   in Loop: Header=BB4_9318 Depth=2
	s_bcnt1_i32_b64 vcc_lo, s[64:65]
	v_mov_b32_e32 v42, vcc_lo
	ds_add_u64 v0, v[42:43]
	s_trap 2
.LBB4_9438:                             ;   in Loop: Header=BB4_9318 Depth=2
	s_or_b64 exec, exec, s[62:63]
	s_trap 2
	ds_read_b64 v[2:3], v0
	v_accvgpr_read_b32 v4, a14
	v_accvgpr_read_b32 v5, a15
	v_add_co_u32_e32 v4, vcc, v4, v46
	v_addc_co_u32_e32 v5, vcc, 0, v5, vcc
	v_accvgpr_write_b32 a15, v5
	v_accvgpr_write_b32 a14, v4
	s_waitcnt lgkmcnt(0)
	v_cmp_lt_u64_e32 vcc, v[2:3], v[4:5]
	s_and_saveexec_b64 s[62:63], vcc
	s_cbranch_execz .LBB4_9447
; %bb.9439:                             ;   in Loop: Header=BB4_9318 Depth=2
	s_mov_b32 s74, 0
	s_mov_b64 s[64:65], 0
                                        ; implicit-def: $sgpr66_sgpr67
                                        ; implicit-def: $sgpr68_sgpr69
	s_branch .LBB4_9441
.LBB4_9440:                             ;   in Loop: Header=BB4_9441 Depth=3
	s_or_b64 exec, exec, s[72:73]
	s_and_b64 vcc, exec, vcc
	s_or_b64 s[64:65], vcc, s[64:65]
	s_andn2_b64 vcc, s[66:67], exec
	s_and_b64 s[66:67], s[68:69], exec
	s_or_b64 s[66:67], vcc, s[66:67]
	s_andn2_b64 exec, exec, s[64:65]
	s_cbranch_execz .LBB4_9445
.LBB4_9441:                             ;   Parent Loop BB4_47 Depth=1
                                        ;     Parent Loop BB4_9318 Depth=2
                                        ; =>    This Inner Loop Header: Depth=3
	s_add_i32 s74, s74, 1
	s_cmpk_lg_i32 s74, 0x2710
	s_cselect_b64 s[70:71], -1, 0
	s_and_b64 vcc, exec, s[70:71]
                                        ; implicit-def: $sgpr72_sgpr73
	s_cbranch_vccnz .LBB4_9443
; %bb.9442:                             ;   in Loop: Header=BB4_9441 Depth=3
	s_trap 2
	ds_read_b64 v[2:3], v0
	s_andn2_b64 s[70:71], s[70:71], exec
	s_mov_b32 s74, 0
	s_mov_b64 s[72:73], -1
	s_waitcnt vmcnt(0) lgkmcnt(0)
	flat_load_dword v2, v[2:3] glc
	s_waitcnt vmcnt(0) lgkmcnt(0)
	buffer_invl2
	buffer_wbinvl1_vol
	v_cmp_eq_u32_e32 vcc, 0, v2
	s_and_b64 vcc, vcc, exec
	s_or_b64 s[70:71], s[70:71], vcc
.LBB4_9443:                             ;   in Loop: Header=BB4_9441 Depth=3
	s_andn2_b64 s[68:69], s[68:69], exec
	s_and_b64 s[72:73], s[72:73], exec
	s_mov_b64 vcc, -1
	s_or_b64 s[68:69], s[68:69], s[72:73]
	s_and_saveexec_b64 s[72:73], s[70:71]
	s_cbranch_execz .LBB4_9440
; %bb.9444:                             ;   in Loop: Header=BB4_9441 Depth=3
	s_sleep 1
	s_trap 2
	ds_read_b64 v[2:3], v0
	v_accvgpr_read_b32 v4, a14
	v_accvgpr_read_b32 v5, a15
	s_andn2_b64 s[68:69], s[68:69], exec
	s_waitcnt lgkmcnt(0)
	v_cmp_ge_u64_e32 vcc, v[2:3], v[4:5]
	s_orn2_b64 vcc, vcc, exec
	s_branch .LBB4_9440
.LBB4_9445:                             ;   in Loop: Header=BB4_9318 Depth=2
	s_or_b64 exec, exec, s[64:65]
	s_and_saveexec_b64 vcc, s[66:67]
	s_xor_b64 vcc, exec, vcc
	s_cbranch_execz .LBB4_9447
; %bb.9446:                             ;   in Loop: Header=BB4_9318 Depth=2
	v_mov_b32_e32 v2, 1
	ds_write_b32 v0, v2
	s_trap 2
.LBB4_9447:                             ;   in Loop: Header=BB4_9318 Depth=2
	s_or_b64 exec, exec, s[62:63]
	;;#ASMSTART
	s_wakeup
	;;#ASMEND
.LBB4_9448:                             ;   in Loop: Header=BB4_9318 Depth=2
	s_or_b64 exec, exec, s[60:61]
.LBB4_9449:                             ;   in Loop: Header=BB4_9318 Depth=2
	s_andn2_saveexec_b64 vcc, s[58:59]
	s_cbranch_execz .LBB4_9451
; %bb.9450:                             ;   in Loop: Header=BB4_9318 Depth=2
	;;#ASMSTART
	s_waitcnt lgkmcnt(0) vmcnt(0)
	;;#ASMEND
	s_barrier
.LBB4_9451:                             ;   in Loop: Header=BB4_9318 Depth=2
	s_or_b64 exec, exec, vcc
.LBB4_9452:                             ;   in Loop: Header=BB4_9318 Depth=2
	s_or_b64 exec, exec, s[26:27]
	v_and_b32_e32 v2, 32, v34
	v_cmp_ne_u32_e32 vcc, 0, v2
	s_and_saveexec_b64 s[26:27], vcc
	s_cbranch_execz .LBB4_9317
; %bb.9453:                             ;   in Loop: Header=BB4_9318 Depth=2
	v_accvgpr_read_b32 v2, a10
	v_accvgpr_read_b32 v3, a11
	v_add_co_u32_e32 v2, vcc, 2, v2
	v_addc_co_u32_e32 v3, vcc, 0, v3, vcc
	v_accvgpr_write_b32 a11, v3
	v_accvgpr_read_b32 v4, a16
	v_accvgpr_write_b32 a10, v2
	v_accvgpr_read_b32 v5, a17
	flat_store_dwordx2 v[4:5], v[2:3]
	s_branch .LBB4_9317
.LBB4_9454:                             ;   in Loop: Header=BB4_47 Depth=1
	s_or_b64 exec, exec, s[30:31]
.LBB4_9455:                             ;   in Loop: Header=BB4_47 Depth=1
	s_or_b64 exec, exec, s[28:29]
	v_cmp_gt_i32_e32 vcc, 2, v4
	s_and_saveexec_b64 s[28:29], vcc
	s_cbranch_execnz .LBB4_9456
; %bb.9576:                             ;   in Loop: Header=BB4_47 Depth=1
	s_getpc_b64 s[98:99]
.Lpost_getpc14:
	s_add_u32 s98, s98, (.LBB4_46-.Lpost_getpc14)&4294967295
	s_addc_u32 s99, s99, (.LBB4_46-.Lpost_getpc14)>>32
	s_setpc_b64 s[98:99]
.LBB4_9456:                             ;   in Loop: Header=BB4_47 Depth=1
	v_cmp_eq_u32_e64 s[26:27], 0, v4
	s_mov_b64 s[30:31], 0
	s_branch .LBB4_9458
.LBB4_9457:                             ;   in Loop: Header=BB4_9458 Depth=2
	s_or_b64 exec, exec, s[26:27]
	v_add_u32_e32 v10, v7, v10
	s_mov_b64 s[26:27], 0
	s_andn2_b64 exec, exec, s[30:31]
	s_cbranch_execnz .LBB4_9458
; %bb.9578:                             ;   in Loop: Header=BB4_47 Depth=1
	s_getpc_b64 s[98:99]
.Lpost_getpc15:
	s_add_u32 s98, s98, (.LBB4_45-.Lpost_getpc15)&4294967295
	s_addc_u32 s99, s99, (.LBB4_45-.Lpost_getpc15)>>32
	s_setpc_b64 s[98:99]
.LBB4_9458:                             ;   Parent Loop BB4_47 Depth=1
                                        ; =>  This Loop Header: Depth=2
                                        ;       Child Loop BB4_9464 Depth 3
                                        ;       Child Loop BB4_9488 Depth 3
	;; [unrolled: 1-line block ×3, first 2 shown]
	v_and_b32_e32 v2, 4, v34
	s_mov_b64 s[58:59], -1
	v_cmp_ne_u32_e32 vcc, 0, v2
	s_and_saveexec_b64 s[34:35], vcc
	s_cbranch_execz .LBB4_9470
; %bb.9459:                             ;   in Loop: Header=BB4_9458 Depth=2
	v_accvgpr_read_b32 v2, a10
	v_accvgpr_read_b32 v3, a11
	v_add_co_u32_e32 v2, vcc, 2, v2
	v_addc_co_u32_e32 v3, vcc, 0, v3, vcc
	v_cmp_lt_u64_e32 vcc, v[48:49], v[2:3]
	v_mov_b32_e32 v4, 1
	s_and_saveexec_b64 s[58:59], vcc
	s_cbranch_execz .LBB4_9469
; %bb.9460:                             ;   in Loop: Header=BB4_9458 Depth=2
	s_mov_b64 s[60:61], 0
	v_mov_b32_e32 v4, 0
                                        ; implicit-def: $sgpr62_sgpr63
	s_branch .LBB4_9464
.LBB4_9461:                             ;   in Loop: Header=BB4_9464 Depth=3
	s_or_b64 exec, exec, s[70:71]
	v_mov_b32_e32 v5, 0
	s_orn2_b64 s[68:69], s[68:69], exec
.LBB4_9462:                             ;   in Loop: Header=BB4_9464 Depth=3
	s_or_b64 exec, exec, s[66:67]
	s_andn2_b64 vcc, s[62:63], exec
	s_and_b64 s[62:63], s[68:69], exec
	s_or_b64 s[62:63], vcc, s[62:63]
	v_mov_b32_e32 v4, v5
.LBB4_9463:                             ;   in Loop: Header=BB4_9464 Depth=3
	s_or_b64 exec, exec, s[64:65]
	s_waitcnt vmcnt(0) lgkmcnt(0)
	v_cmp_ge_u64_e32 vcc, v[48:49], v[2:3]
	s_xor_b64 s[64:65], s[62:63], -1
	s_or_b64 vcc, s[64:65], vcc
	s_and_b64 vcc, exec, vcc
	s_or_b64 s[60:61], vcc, s[60:61]
	s_andn2_b64 exec, exec, s[60:61]
	s_cbranch_execz .LBB4_9468
.LBB4_9464:                             ;   Parent Loop BB4_47 Depth=1
                                        ;     Parent Loop BB4_9458 Depth=2
                                        ; =>    This Inner Loop Header: Depth=3
	v_accvgpr_read_b32 v8, a16
	v_accvgpr_read_b32 v9, a17
	s_sleep 1
	flat_load_dwordx2 v[48:49], v[8:9] glc
	v_and_b32_e32 v5, 64, v34
	v_cmp_eq_u32_e32 vcc, 0, v5
	s_andn2_b64 s[62:63], s[62:63], exec
	s_and_saveexec_b64 s[64:65], vcc
	s_cbranch_execz .LBB4_9463
; %bb.9465:                             ;   in Loop: Header=BB4_9464 Depth=3
	v_add_u32_e32 v5, 1, v4
	v_cmp_lt_i32_e32 vcc, s91, v4
	s_mov_b64 s[68:69], -1
	s_and_saveexec_b64 s[66:67], vcc
	s_cbranch_execz .LBB4_9462
; %bb.9466:                             ;   in Loop: Header=BB4_9464 Depth=3
	s_trap 2
	ds_read_b64 v[4:5], v0
	s_waitcnt vmcnt(0) lgkmcnt(0)
	flat_load_dword v4, v[4:5] glc
	s_waitcnt vmcnt(0) lgkmcnt(0)
	buffer_invl2
	buffer_wbinvl1_vol
	v_cmp_ne_u32_e32 vcc, 0, v4
	s_and_saveexec_b64 s[70:71], vcc
	s_cbranch_execz .LBB4_9461
; %bb.9467:                             ;   in Loop: Header=BB4_9464 Depth=3
	v_or_b32_e32 v34, 64, v34
	s_xor_b64 s[68:69], exec, -1
	ds_write_b32 v0, v4
	s_trap 2
	s_branch .LBB4_9461
.LBB4_9468:                             ;   in Loop: Header=BB4_9458 Depth=2
	s_or_b64 exec, exec, s[60:61]
	v_and_b32_e32 v4, 4, v34
.LBB4_9469:                             ;   in Loop: Header=BB4_9458 Depth=2
	s_or_b64 exec, exec, s[58:59]
	v_cmp_eq_u32_e32 vcc, 0, v4
	s_orn2_b64 s[58:59], vcc, exec
	;;#ASMSTART
	s_wakeup
	;;#ASMEND
.LBB4_9470:                             ;   in Loop: Header=BB4_9458 Depth=2
	s_or_b64 exec, exec, s[34:35]
	s_xor_b64 s[26:27], s[26:27], -1
	s_and_b64 s[26:27], exec, s[26:27]
	s_or_b64 s[30:31], s[26:27], s[30:31]
	s_xor_b64 s[26:27], s[58:59], -1
	s_and_saveexec_b64 s[34:35], s[26:27]
	s_cbranch_execz .LBB4_9480
; %bb.9471:                             ;   in Loop: Header=BB4_9458 Depth=2
	v_and_b32_e32 v2, 0x100, v34
	v_cmp_ne_u32_e32 vcc, 0, v2
	v_accvgpr_read_b32 v2, a10
	v_accvgpr_read_b32 v3, a11
	v_and_b32_e32 v8, 7, v2
	s_mov_b64 s[26:27], -1
                                        ; implicit-def: $vgpr2_vgpr3
	s_and_saveexec_b64 s[58:59], vcc
	s_cbranch_execz .LBB4_9475
; %bb.9472:                             ;   in Loop: Header=BB4_9458 Depth=2
	v_accvgpr_read_b32 v2, a12
	v_accvgpr_read_b32 v3, a13
	v_mad_u64_u32 v[4:5], s[26:27], v8, 24, v[2:3]
	flat_load_dword v2, v[4:5]
	s_waitcnt vmcnt(0) lgkmcnt(0)
	v_cmp_ne_u32_e32 vcc, 1, v2
	v_cmp_eq_u32_e64 s[26:27], 1, v2
                                        ; implicit-def: $vgpr2_vgpr3
	s_and_saveexec_b64 s[60:61], s[26:27]
	s_cbranch_execz .LBB4_9474
; %bb.9473:                             ;   in Loop: Header=BB4_9458 Depth=2
	flat_load_dword v2, v[4:5] offset:4 glc
	s_waitcnt vmcnt(0) lgkmcnt(0)
	v_ashrrev_i32_e32 v3, 31, v2
.LBB4_9474:                             ;   in Loop: Header=BB4_9458 Depth=2
	s_or_b64 exec, exec, s[60:61]
	s_orn2_b64 s[26:27], vcc, exec
.LBB4_9475:                             ;   in Loop: Header=BB4_9458 Depth=2
	s_or_b64 exec, exec, s[58:59]
	s_and_saveexec_b64 vcc, s[26:27]
; %bb.9476:                             ;   in Loop: Header=BB4_9458 Depth=2
	v_accvgpr_read_b32 v2, a18
	v_mad_i64_i32 v[2:3], s[26:27], v8, v2, 0
; %bb.9477:                             ;   in Loop: Header=BB4_9458 Depth=2
	s_or_b64 exec, exec, vcc
	v_accvgpr_read_b32 v4, a20
	v_accvgpr_read_b32 v5, a21
	v_add_co_u32_e32 v2, vcc, v4, v2
	v_addc_co_u32_e32 v3, vcc, v5, v3, vcc
	ds_write_b64 v0, v[2:3] offset:720
	v_and_b32_e32 v2, 0x2000, v34
	v_cmp_ne_u32_e32 vcc, 0, v2
	s_and_saveexec_b64 s[26:27], vcc
	s_cbranch_execz .LBB4_9479
; %bb.9478:                             ;   in Loop: Header=BB4_9458 Depth=2
	ds_read_b64 v[2:3], v0 offset:584
	s_waitcnt lgkmcnt(0)
	v_add_co_u32_e32 v2, vcc, 1, v2
	v_addc_co_u32_e32 v3, vcc, 0, v3, vcc
	ds_write_b64 v0, v[2:3] offset:584
.LBB4_9479:                             ;   in Loop: Header=BB4_9458 Depth=2
	s_or_b64 exec, exec, s[26:27]
	v_accvgpr_read_b32 v2, a10
	v_accvgpr_read_b32 v3, a11
	v_add_co_u32_e32 v2, vcc, 2, v2
	v_addc_co_u32_e32 v3, vcc, 0, v3, vcc
	v_accvgpr_write_b32 a11, v3
	v_accvgpr_write_b32 a10, v2
.LBB4_9480:                             ;   in Loop: Header=BB4_9458 Depth=2
	s_or_b64 exec, exec, s[34:35]
	s_and_saveexec_b64 s[26:27], s[10:11]
	s_cbranch_execz .LBB4_9499
; %bb.9481:                             ;   in Loop: Header=BB4_9458 Depth=2
	s_and_saveexec_b64 vcc, s[44:45]
	s_xor_b64 s[34:35], exec, vcc
	s_cbranch_execz .LBB4_9496
; %bb.9482:                             ;   in Loop: Header=BB4_9458 Depth=2
	s_and_saveexec_b64 s[58:59], s[16:17]
	s_cbranch_execz .LBB4_9495
; %bb.9483:                             ;   in Loop: Header=BB4_9458 Depth=2
	s_mov_b64 s[62:63], exec
	v_mbcnt_lo_u32_b32 v2, s62, 0
	v_mbcnt_hi_u32_b32 v2, s63, v2
	v_cmp_eq_u32_e32 vcc, 0, v2
	s_waitcnt vmcnt(0) lgkmcnt(0)
	buffer_wbinvl1_vol
	s_and_saveexec_b64 s[60:61], vcc
	s_cbranch_execz .LBB4_9485
; %bb.9484:                             ;   in Loop: Header=BB4_9458 Depth=2
	s_bcnt1_i32_b64 vcc_lo, s[62:63]
	v_mov_b32_e32 v42, vcc_lo
	ds_add_u64 v0, v[42:43]
	s_trap 2
.LBB4_9485:                             ;   in Loop: Header=BB4_9458 Depth=2
	s_or_b64 exec, exec, s[60:61]
	s_trap 2
	ds_read_b64 v[2:3], v0
	v_accvgpr_read_b32 v4, a14
	v_accvgpr_read_b32 v5, a15
	v_add_co_u32_e32 v4, vcc, v4, v46
	v_addc_co_u32_e32 v5, vcc, 0, v5, vcc
	v_accvgpr_write_b32 a15, v5
	v_accvgpr_write_b32 a14, v4
	s_waitcnt lgkmcnt(0)
	v_cmp_lt_u64_e32 vcc, v[2:3], v[4:5]
	s_and_saveexec_b64 s[60:61], vcc
	s_cbranch_execz .LBB4_9494
; %bb.9486:                             ;   in Loop: Header=BB4_9458 Depth=2
	s_mov_b32 s47, 0
	s_mov_b64 s[62:63], 0
                                        ; implicit-def: $sgpr64_sgpr65
                                        ; implicit-def: $sgpr66_sgpr67
	s_branch .LBB4_9488
.LBB4_9487:                             ;   in Loop: Header=BB4_9488 Depth=3
	s_or_b64 exec, exec, s[70:71]
	s_and_b64 vcc, exec, vcc
	s_or_b64 s[62:63], vcc, s[62:63]
	s_andn2_b64 vcc, s[64:65], exec
	s_and_b64 s[64:65], s[66:67], exec
	s_or_b64 s[64:65], vcc, s[64:65]
	s_andn2_b64 exec, exec, s[62:63]
	s_cbranch_execz .LBB4_9492
.LBB4_9488:                             ;   Parent Loop BB4_47 Depth=1
                                        ;     Parent Loop BB4_9458 Depth=2
                                        ; =>    This Inner Loop Header: Depth=3
	s_add_i32 s47, s47, 1
	s_cmpk_lg_i32 s47, 0x2710
	s_cselect_b64 s[68:69], -1, 0
	s_and_b64 vcc, exec, s[68:69]
                                        ; implicit-def: $sgpr70_sgpr71
	s_cbranch_vccnz .LBB4_9490
; %bb.9489:                             ;   in Loop: Header=BB4_9488 Depth=3
	s_trap 2
	ds_read_b64 v[2:3], v0
	s_andn2_b64 s[68:69], s[68:69], exec
	s_mov_b32 s47, 0
	s_mov_b64 s[70:71], -1
	s_waitcnt lgkmcnt(0)
	flat_load_dword v2, v[2:3] glc
	s_waitcnt vmcnt(0) lgkmcnt(0)
	buffer_invl2
	buffer_wbinvl1_vol
	v_cmp_eq_u32_e32 vcc, 0, v2
	s_and_b64 vcc, vcc, exec
	s_or_b64 s[68:69], s[68:69], vcc
.LBB4_9490:                             ;   in Loop: Header=BB4_9488 Depth=3
	s_andn2_b64 s[66:67], s[66:67], exec
	s_and_b64 s[70:71], s[70:71], exec
	s_mov_b64 vcc, -1
	s_or_b64 s[66:67], s[66:67], s[70:71]
	s_and_saveexec_b64 s[70:71], s[68:69]
	s_cbranch_execz .LBB4_9487
; %bb.9491:                             ;   in Loop: Header=BB4_9488 Depth=3
	s_sleep 1
	s_trap 2
	ds_read_b64 v[2:3], v0
	v_accvgpr_read_b32 v4, a14
	v_accvgpr_read_b32 v5, a15
	s_andn2_b64 s[66:67], s[66:67], exec
	s_waitcnt lgkmcnt(0)
	v_cmp_ge_u64_e32 vcc, v[2:3], v[4:5]
	s_orn2_b64 vcc, vcc, exec
	s_branch .LBB4_9487
.LBB4_9492:                             ;   in Loop: Header=BB4_9458 Depth=2
	s_or_b64 exec, exec, s[62:63]
	s_and_saveexec_b64 vcc, s[64:65]
	s_xor_b64 vcc, exec, vcc
	s_cbranch_execz .LBB4_9494
; %bb.9493:                             ;   in Loop: Header=BB4_9458 Depth=2
	v_mov_b32_e32 v2, 1
	ds_write_b32 v0, v2
	s_trap 2
.LBB4_9494:                             ;   in Loop: Header=BB4_9458 Depth=2
	s_or_b64 exec, exec, s[60:61]
	;;#ASMSTART
	s_wakeup
	;;#ASMEND
.LBB4_9495:                             ;   in Loop: Header=BB4_9458 Depth=2
	s_or_b64 exec, exec, s[58:59]
.LBB4_9496:                             ;   in Loop: Header=BB4_9458 Depth=2
	s_andn2_saveexec_b64 vcc, s[34:35]
	s_cbranch_execz .LBB4_9498
; %bb.9497:                             ;   in Loop: Header=BB4_9458 Depth=2
	s_waitcnt vmcnt(0) lgkmcnt(0)
	buffer_wbinvl1_vol
	s_barrier
.LBB4_9498:                             ;   in Loop: Header=BB4_9458 Depth=2
	s_or_b64 exec, exec, vcc
.LBB4_9499:                             ;   in Loop: Header=BB4_9458 Depth=2
	s_or_b64 exec, exec, s[26:27]
	v_sub_u32_e32 v2, v0, v10
	v_min_i32_e32 v7, v7, v2
	s_and_saveexec_b64 s[26:27], s[24:25]
	s_xor_b64 s[26:27], exec, s[26:27]
	s_cbranch_execz .LBB4_9503
; %bb.9500:                             ;   in Loop: Header=BB4_9458 Depth=2
	s_trap 2
	ds_read_b32 v2, v0
	v_cmp_lt_i32_e32 vcc, 0, v7
	v_and_b32_e32 v3, 16, v34
	s_waitcnt lgkmcnt(0)
	v_readfirstlane_b32 s34, v2
	s_cmp_eq_u32 s34, 0
	s_cselect_b64 s[34:35], -1, 0
	s_and_b64 s[34:35], vcc, s[34:35]
	v_cmp_ne_u32_e32 vcc, 0, v3
	s_and_b64 s[34:35], vcc, s[34:35]
	s_and_saveexec_b64 vcc, s[34:35]
	s_cbranch_execz .LBB4_9502
; %bb.9501:                             ;   in Loop: Header=BB4_9458 Depth=2
	s_waitcnt vmcnt(0)
	buffer_wbinvl1_vol
.LBB4_9502:                             ;   in Loop: Header=BB4_9458 Depth=2
	s_or_b64 exec, exec, vcc
.LBB4_9503:                             ;   in Loop: Header=BB4_9458 Depth=2
	s_andn2_saveexec_b64 s[26:27], s[26:27]
	s_cbranch_execz .LBB4_9522
; %bb.9504:                             ;   in Loop: Header=BB4_9458 Depth=2
	s_and_saveexec_b64 vcc, s[44:45]
	s_xor_b64 s[34:35], exec, vcc
	s_cbranch_execz .LBB4_9519
; %bb.9505:                             ;   in Loop: Header=BB4_9458 Depth=2
	s_and_saveexec_b64 s[58:59], s[16:17]
	s_cbranch_execz .LBB4_9518
; %bb.9506:                             ;   in Loop: Header=BB4_9458 Depth=2
	s_mov_b64 s[62:63], exec
	v_mbcnt_lo_u32_b32 v2, s62, 0
	v_mbcnt_hi_u32_b32 v2, s63, v2
	v_cmp_eq_u32_e32 vcc, 0, v2
	;;#ASMSTART
	s_waitcnt lgkmcnt(0) vmcnt(0)
	;;#ASMEND
	s_and_saveexec_b64 s[60:61], vcc
	s_cbranch_execz .LBB4_9508
; %bb.9507:                             ;   in Loop: Header=BB4_9458 Depth=2
	s_bcnt1_i32_b64 vcc_lo, s[62:63]
	v_mov_b32_e32 v42, vcc_lo
	ds_add_u64 v0, v[42:43]
	s_trap 2
.LBB4_9508:                             ;   in Loop: Header=BB4_9458 Depth=2
	s_or_b64 exec, exec, s[60:61]
	s_trap 2
	ds_read_b64 v[2:3], v0
	v_accvgpr_read_b32 v4, a14
	v_accvgpr_read_b32 v5, a15
	v_add_co_u32_e32 v4, vcc, v4, v46
	v_addc_co_u32_e32 v5, vcc, 0, v5, vcc
	v_accvgpr_write_b32 a15, v5
	v_accvgpr_write_b32 a14, v4
	s_waitcnt lgkmcnt(0)
	v_cmp_lt_u64_e32 vcc, v[2:3], v[4:5]
	s_and_saveexec_b64 s[60:61], vcc
	s_cbranch_execz .LBB4_9517
; %bb.9509:                             ;   in Loop: Header=BB4_9458 Depth=2
	s_mov_b32 s47, 0
	s_mov_b64 s[62:63], 0
                                        ; implicit-def: $sgpr64_sgpr65
                                        ; implicit-def: $sgpr66_sgpr67
	s_branch .LBB4_9511
.LBB4_9510:                             ;   in Loop: Header=BB4_9511 Depth=3
	s_or_b64 exec, exec, s[70:71]
	s_and_b64 vcc, exec, vcc
	s_or_b64 s[62:63], vcc, s[62:63]
	s_andn2_b64 vcc, s[64:65], exec
	s_and_b64 s[64:65], s[66:67], exec
	s_or_b64 s[64:65], vcc, s[64:65]
	s_andn2_b64 exec, exec, s[62:63]
	s_cbranch_execz .LBB4_9515
.LBB4_9511:                             ;   Parent Loop BB4_47 Depth=1
                                        ;     Parent Loop BB4_9458 Depth=2
                                        ; =>    This Inner Loop Header: Depth=3
	s_add_i32 s47, s47, 1
	s_cmpk_lg_i32 s47, 0x2710
	s_cselect_b64 s[68:69], -1, 0
	s_and_b64 vcc, exec, s[68:69]
                                        ; implicit-def: $sgpr70_sgpr71
	s_cbranch_vccnz .LBB4_9513
; %bb.9512:                             ;   in Loop: Header=BB4_9511 Depth=3
	s_trap 2
	ds_read_b64 v[2:3], v0
	s_andn2_b64 s[68:69], s[68:69], exec
	s_mov_b32 s47, 0
	s_mov_b64 s[70:71], -1
	s_waitcnt vmcnt(0) lgkmcnt(0)
	flat_load_dword v2, v[2:3] glc
	s_waitcnt vmcnt(0) lgkmcnt(0)
	buffer_invl2
	buffer_wbinvl1_vol
	v_cmp_eq_u32_e32 vcc, 0, v2
	s_and_b64 vcc, vcc, exec
	s_or_b64 s[68:69], s[68:69], vcc
.LBB4_9513:                             ;   in Loop: Header=BB4_9511 Depth=3
	s_andn2_b64 s[66:67], s[66:67], exec
	s_and_b64 s[70:71], s[70:71], exec
	s_mov_b64 vcc, -1
	s_or_b64 s[66:67], s[66:67], s[70:71]
	s_and_saveexec_b64 s[70:71], s[68:69]
	s_cbranch_execz .LBB4_9510
; %bb.9514:                             ;   in Loop: Header=BB4_9511 Depth=3
	s_sleep 1
	s_trap 2
	ds_read_b64 v[2:3], v0
	v_accvgpr_read_b32 v4, a14
	v_accvgpr_read_b32 v5, a15
	s_andn2_b64 s[66:67], s[66:67], exec
	s_waitcnt lgkmcnt(0)
	v_cmp_ge_u64_e32 vcc, v[2:3], v[4:5]
	s_orn2_b64 vcc, vcc, exec
	s_branch .LBB4_9510
.LBB4_9515:                             ;   in Loop: Header=BB4_9458 Depth=2
	s_or_b64 exec, exec, s[62:63]
	s_and_saveexec_b64 vcc, s[64:65]
	s_xor_b64 vcc, exec, vcc
	s_cbranch_execz .LBB4_9517
; %bb.9516:                             ;   in Loop: Header=BB4_9458 Depth=2
	v_mov_b32_e32 v2, 1
	ds_write_b32 v0, v2
	s_trap 2
.LBB4_9517:                             ;   in Loop: Header=BB4_9458 Depth=2
	s_or_b64 exec, exec, s[60:61]
	;;#ASMSTART
	s_wakeup
	;;#ASMEND
.LBB4_9518:                             ;   in Loop: Header=BB4_9458 Depth=2
	s_or_b64 exec, exec, s[58:59]
.LBB4_9519:                             ;   in Loop: Header=BB4_9458 Depth=2
	s_andn2_saveexec_b64 vcc, s[34:35]
	s_cbranch_execz .LBB4_9521
; %bb.9520:                             ;   in Loop: Header=BB4_9458 Depth=2
	;;#ASMSTART
	s_waitcnt lgkmcnt(0) vmcnt(0)
	;;#ASMEND
	s_barrier
.LBB4_9521:                             ;   in Loop: Header=BB4_9458 Depth=2
	s_or_b64 exec, exec, vcc
.LBB4_9522:                             ;   in Loop: Header=BB4_9458 Depth=2
	s_or_b64 exec, exec, s[26:27]
	v_and_b32_e32 v2, 32, v34
	v_cmp_ne_u32_e32 vcc, 0, v2
	s_and_saveexec_b64 s[26:27], vcc
	s_cbranch_execz .LBB4_9457
; %bb.9523:                             ;   in Loop: Header=BB4_9458 Depth=2
	v_accvgpr_read_b32 v2, a10
	v_accvgpr_read_b32 v3, a11
	v_add_co_u32_e32 v2, vcc, 2, v2
	v_addc_co_u32_e32 v3, vcc, 0, v3, vcc
	v_accvgpr_write_b32 a11, v3
	v_accvgpr_read_b32 v4, a16
	v_accvgpr_write_b32 a10, v2
	v_accvgpr_read_b32 v5, a17
	flat_store_dwordx2 v[4:5], v[2:3]
	s_branch .LBB4_9457
.LBB4_9524:
	s_or_b64 exec, exec, s[40:41]
	v_readlane_b32 s28, v61, 4
	v_readlane_b32 s26, v61, 2
	;; [unrolled: 1-line block ×4, first 2 shown]
	v_accvgpr_read_b32 v18, a0
	v_accvgpr_read_b32 v31, a58
	;; [unrolled: 1-line block ×3, first 2 shown]
.LBB4_9525:
	v_readlane_b32 s4, v61, 0
	v_readlane_b32 s5, v61, 1
	s_or_b64 exec, exec, s[4:5]
	v_and_b32_e32 v0, 0x800, v34
	v_cmp_eq_u32_e32 vcc, 0, v0
	s_and_saveexec_b64 s[4:5], vcc
	s_cbranch_execz .LBB4_9560
; %bb.9526:
	v_and_b32_e32 v0, 48, v34
	v_cmp_ne_u32_e32 vcc, 0, v0
	s_and_saveexec_b64 s[6:7], vcc
	s_cbranch_execz .LBB4_9528
; %bb.9527:
	flat_store_dwordx2 v[28:29], a[10:11] offset:104
.LBB4_9528:
	s_or_b64 exec, exec, s[6:7]
	s_movk_i32 s6, 0x88
	v_and_b32_e32 v0, 0x88, v34
	v_cmp_eq_u32_e32 vcc, s6, v0
	s_and_saveexec_b64 s[6:7], vcc
	s_cbranch_execz .LBB4_9540
; %bb.9529:
	v_accvgpr_read_b32 v0, a10
	v_add_u32_e32 v0, 6, v0
	v_accvgpr_read_b32 v2, a12
	v_and_b32_e32 v0, 7, v0
	v_accvgpr_read_b32 v3, a13
	v_mad_u64_u32 v[0:1], s[8:9], v0, 24, v[2:3]
	v_add_co_u32_e32 v0, vcc, 8, v0
	v_addc_co_u32_e32 v1, vcc, 0, v1, vcc
	s_mov_b64 s[10:11], 0
	v_mov_b32_e32 v2, 0
	s_movk_i32 s8, 0x270e
                                        ; implicit-def: $sgpr12_sgpr13
	s_branch .LBB4_9534
.LBB4_9530:                             ;   in Loop: Header=BB4_9534 Depth=1
	s_or_b64 exec, exec, s[22:23]
	v_mov_b32_e32 v3, 0
	s_orn2_b64 s[20:21], s[20:21], exec
.LBB4_9531:                             ;   in Loop: Header=BB4_9534 Depth=1
	s_or_b64 exec, exec, s[18:19]
	s_and_b64 s[18:19], s[20:21], exec
	v_mov_b32_e32 v2, v3
.LBB4_9532:                             ;   in Loop: Header=BB4_9534 Depth=1
	s_or_b64 exec, exec, s[16:17]
	s_xor_b64 s[16:17], s[18:19], -1
	s_andn2_b64 s[12:13], s[12:13], exec
	s_and_b64 s[16:17], s[16:17], exec
	s_or_b64 s[12:13], s[12:13], s[16:17]
.LBB4_9533:                             ;   in Loop: Header=BB4_9534 Depth=1
	s_or_b64 exec, exec, s[14:15]
	s_and_b64 s[14:15], exec, s[12:13]
	s_or_b64 s[10:11], s[14:15], s[10:11]
	s_andn2_b64 exec, exec, s[10:11]
	s_cbranch_execz .LBB4_9539
.LBB4_9534:                             ; =>This Inner Loop Header: Depth=1
	flat_load_dwordx2 v[4:5], v[0:1] glc
	s_waitcnt vmcnt(0)
	s_or_b64 s[12:13], s[12:13], exec
	s_waitcnt lgkmcnt(0)
	v_cmp_ne_u64_e32 vcc, -1, v[4:5]
	s_and_saveexec_b64 s[14:15], vcc
	s_cbranch_execz .LBB4_9533
; %bb.9535:                             ;   in Loop: Header=BB4_9534 Depth=1
	v_and_b32_e32 v3, 64, v34
	v_cmp_eq_u32_e32 vcc, 0, v3
	s_mov_b64 s[18:19], 0
	s_and_saveexec_b64 s[16:17], vcc
	s_cbranch_execz .LBB4_9532
; %bb.9536:                             ;   in Loop: Header=BB4_9534 Depth=1
	v_add_u32_e32 v3, 1, v2
	v_cmp_lt_i32_e32 vcc, s8, v2
	s_mov_b64 s[20:21], -1
	s_and_saveexec_b64 s[18:19], vcc
	s_cbranch_execz .LBB4_9531
; %bb.9537:                             ;   in Loop: Header=BB4_9534 Depth=1
	s_trap 2
	ds_read_b64 v[2:3], v0
	s_waitcnt lgkmcnt(0)
	flat_load_dword v2, v[2:3] glc
	s_waitcnt vmcnt(0) lgkmcnt(0)
	buffer_invl2
	buffer_wbinvl1_vol
	v_cmp_ne_u32_e32 vcc, 0, v2
	s_and_saveexec_b64 s[22:23], vcc
	s_cbranch_execz .LBB4_9530
; %bb.9538:                             ;   in Loop: Header=BB4_9534 Depth=1
	v_or_b32_e32 v34, 64, v34
	s_xor_b64 s[20:21], exec, -1
	ds_write_b32 v0, v2
	s_trap 2
	s_branch .LBB4_9530
.LBB4_9539:
	s_or_b64 exec, exec, s[10:11]
.LBB4_9540:
	s_or_b64 exec, exec, s[6:7]
	v_and_b32_e32 v0, 0x2000, v34
	v_cmp_ne_u32_e32 vcc, 0, v0
	s_and_saveexec_b64 s[6:7], vcc
	s_cbranch_execz .LBB4_9542
; %bb.9541:
	s_trap 2
	ds_read_b64 v[0:1], v0
	v_accvgpr_read_b32 v2, a6
	v_accvgpr_read_b32 v3, a7
	s_waitcnt lgkmcnt(0)
	flat_store_dwordx2 v[2:3], v[0:1] offset:16
.LBB4_9542:
	s_or_b64 exec, exec, s[6:7]
	v_cmp_ne_u32_e32 vcc, 64, v18
	s_and_b64 exec, exec, vcc
	s_cbranch_execz .LBB4_9560
; %bb.9543:
	v_cmp_ne_u32_sdwa s[6:7], v19, v18 src0_sel:WORD_0 src1_sel:DWORD
	s_and_saveexec_b64 s[8:9], s[6:7]
	s_xor_b64 s[6:7], exec, s[8:9]
	s_cbranch_execz .LBB4_9558
; %bb.9544:
	v_and_b32_e32 v0, 63, v31
	v_cmp_eq_u32_e32 vcc, 0, v0
	s_and_saveexec_b64 s[10:11], vcc
	s_cbranch_execz .LBB4_9557
; %bb.9545:
	s_mov_b64 s[14:15], exec
	v_mbcnt_lo_u32_b32 v0, s14, 0
	v_mbcnt_hi_u32_b32 v0, s15, v0
	v_cmp_eq_u32_e32 vcc, 0, v0
	s_waitcnt vmcnt(0) lgkmcnt(0)
	buffer_wbinvl1_vol
	s_and_saveexec_b64 s[12:13], vcc
	s_cbranch_execz .LBB4_9547
; %bb.9546:
	s_bcnt1_i32_b64 s8, s[14:15]
	v_mov_b32_e32 v0, s8
	v_mov_b32_e32 v1, 0
	ds_add_u64 v0, v[0:1]
	s_trap 2
.LBB4_9547:
	s_or_b64 exec, exec, s[12:13]
	v_ashrrev_i32_e32 v0, 31, v18
	v_lshrrev_b32_e32 v0, 26, v0
	v_add_u32_e32 v0, v18, v0
	v_ashrrev_i32_e32 v0, 6, v0
	s_trap 2
	ds_read_b64 v[2:3], v0
	v_accvgpr_read_b32 v4, a14
	v_ashrrev_i32_e32 v1, 31, v0
	v_accvgpr_read_b32 v5, a15
	v_add_co_u32_e32 v0, vcc, v4, v0
	v_addc_co_u32_e32 v1, vcc, v5, v1, vcc
	s_waitcnt lgkmcnt(0)
	v_cmp_lt_u64_e32 vcc, v[2:3], v[0:1]
	s_and_saveexec_b64 s[12:13], vcc
	s_cbranch_execz .LBB4_9556
; %bb.9548:
	s_mov_b32 s8, 0
	s_mov_b64 s[14:15], 0
                                        ; implicit-def: $sgpr16_sgpr17
                                        ; implicit-def: $sgpr18_sgpr19
	s_branch .LBB4_9550
.LBB4_9549:                             ;   in Loop: Header=BB4_9550 Depth=1
	s_or_b64 exec, exec, s[24:25]
	s_and_b64 s[20:21], exec, s[22:23]
	s_or_b64 s[14:15], s[20:21], s[14:15]
	s_andn2_b64 s[16:17], s[16:17], exec
	s_and_b64 s[20:21], s[18:19], exec
	s_or_b64 s[16:17], s[16:17], s[20:21]
	s_andn2_b64 exec, exec, s[14:15]
	s_cbranch_execz .LBB4_9554
.LBB4_9550:                             ; =>This Inner Loop Header: Depth=1
	s_add_i32 s8, s8, 1
	s_cmpk_lg_i32 s8, 0x2710
	s_cselect_b64 s[20:21], -1, 0
	s_and_b64 vcc, exec, s[20:21]
                                        ; implicit-def: $sgpr24_sgpr25
	s_cbranch_vccnz .LBB4_9552
; %bb.9551:                             ;   in Loop: Header=BB4_9550 Depth=1
	s_trap 2
	ds_read_b64 v[2:3], v0
	s_andn2_b64 s[20:21], s[20:21], exec
	s_mov_b32 s8, 0
	s_mov_b64 s[24:25], -1
	s_waitcnt lgkmcnt(0)
	flat_load_dword v2, v[2:3] glc
	s_waitcnt vmcnt(0) lgkmcnt(0)
	buffer_invl2
	buffer_wbinvl1_vol
	v_cmp_eq_u32_e32 vcc, 0, v2
	s_and_b64 s[22:23], vcc, exec
	s_or_b64 s[20:21], s[20:21], s[22:23]
.LBB4_9552:                             ;   in Loop: Header=BB4_9550 Depth=1
	s_andn2_b64 s[18:19], s[18:19], exec
	s_and_b64 s[24:25], s[24:25], exec
	s_mov_b64 s[22:23], -1
	s_or_b64 s[18:19], s[18:19], s[24:25]
	s_and_saveexec_b64 s[24:25], s[20:21]
	s_cbranch_execz .LBB4_9549
; %bb.9553:                             ;   in Loop: Header=BB4_9550 Depth=1
	s_sleep 1
	s_trap 2
	ds_read_b64 v[2:3], v0
	s_andn2_b64 s[18:19], s[18:19], exec
	s_waitcnt lgkmcnt(0)
	v_cmp_ge_u64_e32 vcc, v[2:3], v[0:1]
	s_orn2_b64 s[22:23], vcc, exec
	s_branch .LBB4_9549
.LBB4_9554:
	s_or_b64 exec, exec, s[14:15]
	s_and_saveexec_b64 s[8:9], s[16:17]
	s_xor_b64 s[8:9], exec, s[8:9]
	s_cbranch_execz .LBB4_9556
; %bb.9555:
	v_mov_b32_e32 v0, 1
	ds_write_b32 v0, v0
	s_trap 2
.LBB4_9556:
	s_or_b64 exec, exec, s[12:13]
	;;#ASMSTART
	s_wakeup
	;;#ASMEND
.LBB4_9557:
	s_or_b64 exec, exec, s[10:11]
.LBB4_9558:
	s_andn2_saveexec_b64 s[6:7], s[6:7]
	s_cbranch_execz .LBB4_9560
; %bb.9559:
	s_waitcnt vmcnt(0) lgkmcnt(0)
	buffer_wbinvl1_vol
	s_barrier
.LBB4_9560:
	s_or_b64 exec, exec, s[4:5]
.LBB4_9561:
	s_andn2_saveexec_b64 s[26:27], s[26:27]
	s_cbranch_execz .LBB4_9563
; %bb.9562:
	s_getpc_b64 s[4:5]
	s_add_u32 s4, s4, __PRETTY_FUNCTION__._ZN10PrimitivesI14__hip_fp8_e5m210FuncMinMaxIS0_E12FanSymmetricILi1EELi0E11ProtoSimpleILi2ELi2ELi0ELi2ELi0ELi0EELi0ELb0ELi0ELi0ELi0EEC2EiiPKiS9_PKvPvmhhhP15ncclDevWorkCollP14ncclDevWorkP2pii@rel32@lo+4
	s_addc_u32 s5, s5, __PRETTY_FUNCTION__._ZN10PrimitivesI14__hip_fp8_e5m210FuncMinMaxIS0_E12FanSymmetricILi1EELi0E11ProtoSimpleILi2ELi2ELi0ELi2ELi0ELi0EELi0ELb0ELi0ELi0ELi0EEC2EiiPKiS9_PKvPvmhhhP15ncclDevWorkCollP14ncclDevWorkP2pii@rel32@hi+12
	s_mov_b64 s[8:9], s[28:29]
	v_mov_b32_e32 v0, s4
	v_mov_b32_e32 v1, s5
	s_getpc_b64 s[6:7]
	s_add_u32 s6, s6, __assert_fail@rel32@lo+4
	s_addc_u32 s7, s7, __assert_fail@rel32@hi+12
	s_swappc_b64 s[30:31], s[6:7]
	; divergent unreachable
.LBB4_9563:
	s_or_b64 exec, exec, s[26:27]
	buffer_load_dword a60, off, s[0:3], s33 ; 4-byte Folded Reload
	buffer_load_dword a59, off, s[0:3], s33 offset:4 ; 4-byte Folded Reload
	buffer_load_dword a58, off, s[0:3], s33 offset:8 ; 4-byte Folded Reload
	;; [unrolled: 1-line block ×41, first 2 shown]
	v_readlane_b32 s30, v62, 0
	v_readlane_b32 s31, v62, 1
	;; [unrolled: 1-line block ×67, first 2 shown]
	s_or_saveexec_b64 s[6:7], -1
	buffer_load_dword v63, off, s[0:3], s33 offset:168 ; 4-byte Folded Reload
	buffer_load_dword v62, off, s[0:3], s33 offset:172 ; 4-byte Folded Reload
	;; [unrolled: 1-line block ×3, first 2 shown]
	s_mov_b64 exec, s[6:7]
	s_addk_i32 s32, 0xd000
	s_mov_b32 s33, s4
	s_waitcnt vmcnt(0) lgkmcnt(0)
	s_setpc_b64 s[30:31]
.Lfunc_end4:
	.size	_ZN12_GLOBAL__N_17runRingI14__hip_fp8_e5m210FuncMinMaxIS1_E11ProtoSimpleILi2ELi2ELi0ELi2ELi0ELi0EELi0ELi0ELi2ELi0EEEviiP15ncclDevWorkColl, .Lfunc_end4-_ZN12_GLOBAL__N_17runRingI14__hip_fp8_e5m210FuncMinMaxIS1_E11ProtoSimpleILi2ELi2ELi0ELi2ELi0ELi0EELi0ELi0ELi2ELi0EEEviiP15ncclDevWorkColl
                                        ; -- End function
	.section	.AMDGPU.csdata,"",@progbits
; Function info:
; codeLenInByte = 257020
; NumSgprs: 104
; NumVgprs: 64
; NumAgprs: 61
; TotalNumVgprs: 125
; ScratchSize: 256
; MemoryBound: 1
	.text
	.p2align	2                               ; -- Begin function _Z53ncclDevFunc_AllReduce_RING_SIMPLE_MinMax_f8e5m2_0_0_2v
	.type	_Z53ncclDevFunc_AllReduce_RING_SIMPLE_MinMax_f8e5m2_0_0_2v,@function
_Z53ncclDevFunc_AllReduce_RING_SIMPLE_MinMax_f8e5m2_0_0_2v: ; @_Z53ncclDevFunc_AllReduce_RING_SIMPLE_MinMax_f8e5m2_0_0_2v
; %bb.0:
	s_waitcnt vmcnt(0) expcnt(0) lgkmcnt(0)
	s_mov_b32 s4, s33
	s_mov_b32 s33, s32
	s_or_saveexec_b64 s[6:7], -1
	buffer_store_dword a32, off, s[0:3], s33 offset:20 ; 4-byte Folded Spill
	buffer_store_dword v63, off, s[0:3], s33 offset:24 ; 4-byte Folded Spill
	;; [unrolled: 1-line block ×5, first 2 shown]
	s_mov_b64 exec, s[6:7]
	v_writelane_b32 v45, s4, 6
	v_writelane_b32 v45, s100, 4
	;; [unrolled: 1-line block ×3, first 2 shown]
	s_addk_i32 s32, 0xc00
	buffer_store_dword v40, off, s[0:3], s33 offset:16 ; 4-byte Folded Spill
	buffer_store_dword v41, off, s[0:3], s33 offset:12 ; 4-byte Folded Spill
	;; [unrolled: 1-line block ×4, first 2 shown]
	buffer_store_dword v62, off, s[0:3], s33 ; 4-byte Folded Spill
	v_writelane_b32 v44, s34, 0
	v_writelane_b32 v44, s35, 1
	;; [unrolled: 1-line block ×68, first 2 shown]
	s_trap 2
	ds_read_b32 v0, v0
	v_mov_b32_e32 v40, v31
                                        ; implicit-def: $vgpr43 : SGPR spill to VGPR lane
	v_and_b32_e32 v41, 0x3ff, v40
	v_writelane_b32 v43, s12, 0
	v_writelane_b32 v43, s8, 1
	s_waitcnt lgkmcnt(0)
	v_cmp_lt_i32_e32 vcc, v41, v0
	v_writelane_b32 v43, s9, 2
	s_and_saveexec_b64 s[4:5], vcc
	s_cbranch_execz .LBB5_5
; %bb.1:
	v_readlane_b32 s8, v43, 1
	v_readlane_b32 s9, v43, 2
	s_load_dword s6, s[8:9], 0x0
	v_readlane_b32 s7, v43, 0
	v_mov_b32_e32 v1, 0
	s_mov_b32 s10, 0
	v_mov_b32_e32 v4, v41
	s_waitcnt lgkmcnt(0)
	s_cmp_lt_u32 s7, s6
	s_cselect_b32 s6, 12, 18
	s_add_u32 s6, s8, s6
	s_addc_u32 s7, s9, 0
	global_load_ushort v1, v1, s[6:7]
	s_trap 2
	ds_read_b32 v3, v0
	s_mov_b64 s[6:7], 0
                                        ; implicit-def: $vgpr2
	s_waitcnt vmcnt(0) lgkmcnt(0)
	v_mul_lo_u32 v3, v3, v1
	s_branch .LBB5_3
.LBB5_2:                                ;   in Loop: Header=BB5_3 Depth=1
	s_or_b64 exec, exec, s[8:9]
	v_add_u32_e32 v4, v4, v1
	v_cmp_ge_i32_e32 vcc, v4, v0
	s_or_b64 s[6:7], vcc, s[6:7]
	v_add_u32_e32 v2, v2, v3
	s_andn2_b64 exec, exec, s[6:7]
	s_cbranch_execz .LBB5_5
.LBB5_3:                                ; =>This Inner Loop Header: Depth=1
	ds_read_b32 v5, v2
	s_waitcnt lgkmcnt(0)
	v_and_b32_e32 v5, 0x1000000, v5
	v_cmp_ne_u32_e32 vcc, 0, v5
	s_and_saveexec_b64 s[8:9], vcc
	s_cbranch_execz .LBB5_2
; %bb.4:                                ;   in Loop: Header=BB5_3 Depth=1
	ds_read_b64 v[6:7], v2 offset:104
	s_waitcnt lgkmcnt(0)
	flat_load_ubyte v5, v[6:7]
	v_mov_b32_e32 v7, s10
	s_waitcnt vmcnt(0) lgkmcnt(0)
	v_and_b32_e32 v6, 0xffff, v5
	ds_write_b64 v2, v[6:7] offset:104
	s_branch .LBB5_2
.LBB5_5:
	s_or_b64 exec, exec, s[4:5]
	s_waitcnt lgkmcnt(0)
	s_barrier
	s_trap 2
	ds_read_b32 v0, v0
	s_waitcnt lgkmcnt(0)
	v_cmp_gt_i32_e32 vcc, 1, v0
	s_cbranch_vccnz .LBB5_13
; %bb.6:
	s_mov_b32 s6, 0
	v_mov_b32_e32 v42, 6
	s_branch .LBB5_8
.LBB5_7:                                ;   in Loop: Header=BB5_8 Depth=1
	s_or_b64 exec, exec, s[8:9]
	s_trap 2
	ds_read_b32 v0, v0
	s_add_i32 s6, s6, 1
	s_waitcnt lgkmcnt(0)
	v_cmp_lt_i32_e32 vcc, s6, v0
	s_cbranch_vccz .LBB5_13
.LBB5_8:                                ; =>This Inner Loop Header: Depth=1
	s_trap 2
	ds_read_b32 v0, v0
	s_cmp_eq_u32 s6, 0
	s_cbranch_scc1 .LBB5_11
; %bb.9:                                ;   in Loop: Header=BB5_8 Depth=1
	s_trap 2
	s_waitcnt lgkmcnt(0)
	ds_read_b32 v1, v0
	s_waitcnt lgkmcnt(0)
	v_xor_b32_e32 v1, v1, v0
	v_and_b32_e32 v1, 0xff0000, v1
	v_cmp_eq_u32_e32 vcc, 0, v1
	s_cbranch_vccnz .LBB5_11
; %bb.10:                               ;   in Loop: Header=BB5_8 Depth=1
	s_barrier
	ds_read_b32 v0, v0
.LBB5_11:                               ;   in Loop: Header=BB5_8 Depth=1
	s_waitcnt lgkmcnt(0)
	v_lshlrev_b32_sdwa v1, v42, v0 dst_sel:DWORD dst_unused:UNUSED_PAD src0_sel:DWORD src1_sel:BYTE_2
	v_cmp_lt_u32_e32 vcc, v41, v1
	s_and_saveexec_b64 s[8:9], vcc
	s_cbranch_execz .LBB5_7
; %bb.12:                               ;   in Loop: Header=BB5_8 Depth=1
	v_writelane_b32 v43, s8, 3
	v_writelane_b32 v43, s9, 4
	v_readlane_b32 s8, v43, 1
	v_readlane_b32 s9, v43, 2
	s_mov_b64 s[10:11], src_shared_base
	s_getpc_b64 s[4:5]
	s_add_u32 s4, s4, _ZN12_GLOBAL__N_17runRingI14__hip_fp8_e5m210FuncMinMaxIS1_E11ProtoSimpleILi2ELi2ELi0ELi2ELi0ELi0EELi0ELi0ELi2ELi0EEEviiP15ncclDevWorkColl@rel32@lo+4
	s_addc_u32 s5, s5, _ZN12_GLOBAL__N_17runRingI14__hip_fp8_e5m210FuncMinMaxIS1_E11ProtoSimpleILi2ELi2ELi0ELi2ELi0ELi0EELi0ELi0ELi2ELi0EEEviiP15ncclDevWorkColl@rel32@hi+12
	v_readlane_b32 s12, v43, 0
	v_mov_b32_e32 v31, v40
	v_mov_b32_e32 v0, v41
	;; [unrolled: 1-line block ×3, first 2 shown]
	v_writelane_b32 v43, s6, 5
	s_or_saveexec_b64 s[100:101], -1
	v_accvgpr_write_b32 a32, v43
	s_mov_b64 exec, s[100:101]
	s_swappc_b64 s[30:31], s[4:5]
	s_or_saveexec_b64 s[100:101], -1
	v_accvgpr_read_b32 v43, a32
	s_mov_b64 exec, s[100:101]
	v_readlane_b32 s8, v43, 3
	v_readlane_b32 s9, v43, 4
	;; [unrolled: 1-line block ×3, first 2 shown]
	s_branch .LBB5_7
.LBB5_13:
	buffer_load_dword v62, off, s[0:3], s33 ; 4-byte Folded Reload
	buffer_load_dword v61, off, s[0:3], s33 offset:4 ; 4-byte Folded Reload
	buffer_load_dword v42, off, s[0:3], s33 offset:8 ; 4-byte Folded Reload
	;; [unrolled: 1-line block ×4, first 2 shown]
	v_readlane_b32 s30, v45, 2
	v_readlane_b32 s31, v45, 3
	v_readlane_b32 s99, v45, 1
	v_readlane_b32 s98, v45, 0
	v_readlane_b32 s97, v44, 63
	v_readlane_b32 s96, v44, 62
	v_readlane_b32 s95, v44, 61
	v_readlane_b32 s94, v44, 60
	v_readlane_b32 s93, v44, 59
	v_readlane_b32 s92, v44, 58
	v_readlane_b32 s91, v44, 57
	v_readlane_b32 s90, v44, 56
	v_readlane_b32 s89, v44, 55
	v_readlane_b32 s88, v44, 54
	v_readlane_b32 s87, v44, 53
	v_readlane_b32 s86, v44, 52
	v_readlane_b32 s85, v44, 51
	v_readlane_b32 s84, v44, 50
	v_readlane_b32 s83, v44, 49
	v_readlane_b32 s82, v44, 48
	v_readlane_b32 s81, v44, 47
	v_readlane_b32 s80, v44, 46
	v_readlane_b32 s79, v44, 45
	v_readlane_b32 s78, v44, 44
	v_readlane_b32 s77, v44, 43
	v_readlane_b32 s76, v44, 42
	v_readlane_b32 s75, v44, 41
	v_readlane_b32 s74, v44, 40
	v_readlane_b32 s73, v44, 39
	v_readlane_b32 s72, v44, 38
	v_readlane_b32 s71, v44, 37
	v_readlane_b32 s70, v44, 36
	v_readlane_b32 s69, v44, 35
	v_readlane_b32 s68, v44, 34
	v_readlane_b32 s67, v44, 33
	v_readlane_b32 s66, v44, 32
	v_readlane_b32 s65, v44, 31
	v_readlane_b32 s64, v44, 30
	v_readlane_b32 s63, v44, 29
	v_readlane_b32 s62, v44, 28
	v_readlane_b32 s61, v44, 27
	v_readlane_b32 s60, v44, 26
	v_readlane_b32 s59, v44, 25
	v_readlane_b32 s58, v44, 24
	v_readlane_b32 s57, v44, 23
	v_readlane_b32 s56, v44, 22
	v_readlane_b32 s55, v44, 21
	v_readlane_b32 s54, v44, 20
	v_readlane_b32 s53, v44, 19
	v_readlane_b32 s52, v44, 18
	v_readlane_b32 s51, v44, 17
	v_readlane_b32 s50, v44, 16
	v_readlane_b32 s49, v44, 15
	v_readlane_b32 s48, v44, 14
	v_readlane_b32 s47, v44, 13
	v_readlane_b32 s46, v44, 12
	v_readlane_b32 s45, v44, 11
	v_readlane_b32 s44, v44, 10
	v_readlane_b32 s43, v44, 9
	v_readlane_b32 s42, v44, 8
	v_readlane_b32 s41, v44, 7
	v_readlane_b32 s40, v44, 6
	v_readlane_b32 s39, v44, 5
	v_readlane_b32 s38, v44, 4
	v_readlane_b32 s37, v44, 3
	v_readlane_b32 s36, v44, 2
	v_readlane_b32 s35, v44, 1
	v_readlane_b32 s34, v44, 0
	v_readlane_b32 s4, v45, 6
	v_readlane_b32 s100, v45, 4
	v_readlane_b32 s101, v45, 5
	s_or_saveexec_b64 s[6:7], -1
	buffer_load_dword a32, off, s[0:3], s33 offset:20 ; 4-byte Folded Reload
	buffer_load_dword v63, off, s[0:3], s33 offset:24 ; 4-byte Folded Reload
	;; [unrolled: 1-line block ×5, first 2 shown]
	s_mov_b64 exec, s[6:7]
	s_addk_i32 s32, 0xf400
	s_mov_b32 s33, s4
	s_waitcnt vmcnt(0)
	s_setpc_b64 s[30:31]
.Lfunc_end5:
	.size	_Z53ncclDevFunc_AllReduce_RING_SIMPLE_MinMax_f8e5m2_0_0_2v, .Lfunc_end5-_Z53ncclDevFunc_AllReduce_RING_SIMPLE_MinMax_f8e5m2_0_0_2v
                                        ; -- End function
	.section	.AMDGPU.csdata,"",@progbits
; Function info:
; codeLenInByte = 1944
; NumSgprs: 106
; NumVgprs: 64
; NumAgprs: 61
; TotalNumVgprs: 125
; ScratchSize: 304
; MemoryBound: 0
	.text
	.p2align	2                               ; -- Begin function _ZN12_GLOBAL__N_17runRingI14__hip_fp8_e5m210FuncMinMaxIS1_E11ProtoSimpleILi2ELi2ELi0ELi4ELi0ELi0EELi0ELi0ELi4ELi0EEEviiP15ncclDevWorkColl
	.type	_ZN12_GLOBAL__N_17runRingI14__hip_fp8_e5m210FuncMinMaxIS1_E11ProtoSimpleILi2ELi2ELi0ELi4ELi0ELi0EELi0ELi0ELi4ELi0EEEviiP15ncclDevWorkColl,@function
_ZN12_GLOBAL__N_17runRingI14__hip_fp8_e5m210FuncMinMaxIS1_E11ProtoSimpleILi2ELi2ELi0ELi4ELi0ELi0EELi0ELi0ELi4ELi0EEEviiP15ncclDevWorkColl: ; @_ZN12_GLOBAL__N_17runRingI14__hip_fp8_e5m210FuncMinMaxIS1_E11ProtoSimpleILi2ELi2ELi0ELi4ELi0ELi0EELi0ELi0ELi4ELi0EEEviiP15ncclDevWorkColl
; %bb.0:
	s_waitcnt vmcnt(0) expcnt(0) lgkmcnt(0)
	s_mov_b32 s4, s33
	s_mov_b32 s33, s32
	s_or_saveexec_b64 s[6:7], -1
	buffer_store_dword v63, off, s[0:3], s33 offset:252 ; 4-byte Folded Spill
	buffer_store_dword v62, off, s[0:3], s33 offset:256 ; 4-byte Folded Spill
	;; [unrolled: 1-line block ×3, first 2 shown]
	s_mov_b64 exec, s[6:7]
	v_writelane_b32 v62, s4, 2
	s_addk_i32 s32, 0x4400
	buffer_store_dword v40, off, s[0:3], s33 offset:168 ; 4-byte Folded Spill
	buffer_store_dword v41, off, s[0:3], s33 offset:164 ; 4-byte Folded Spill
	;; [unrolled: 1-line block ×42, first 2 shown]
	buffer_store_dword a63, off, s[0:3], s33 ; 4-byte Folded Spill
	v_writelane_b32 v63, s34, 0
	v_writelane_b32 v63, s35, 1
	;; [unrolled: 1-line block ×66, first 2 shown]
	s_trap 2
	flat_load_dword v5, v[2:3]
	ds_read_b32 v6, v0
	v_mov_b32_e32 v18, v1
	v_mov_b32_e32 v45, v0
	s_mov_b64 s[28:29], s[8:9]
                                        ; implicit-def: $vgpr0_vgpr1
                                        ; implicit-def: $vgpr8_vgpr9
                                        ; kill: killed $vgpr8_vgpr9
                                        ; implicit-def: $vgpr10_vgpr11
	s_waitcnt lgkmcnt(0)
	v_readfirstlane_b32 s78, v6
	s_waitcnt vmcnt(0)
	v_cmp_ne_u32_sdwa s[4:5], v5, v6 src0_sel:BYTE_0 src1_sel:DWORD
	s_and_saveexec_b64 s[6:7], s[4:5]
	s_xor_b64 s[4:5], exec, s[6:7]
	s_cbranch_execz .LBB6_6
; %bb.1:
	v_not_b32_sdwa v4, v5 dst_sel:DWORD dst_unused:UNUSED_PAD src0_sel:BYTE_0
	v_cmp_ne_u32_sdwa s[6:7], v5, v6 src0_sel:BYTE_1 src1_sel:DWORD
                                        ; implicit-def: $vgpr0_vgpr1
                                        ; implicit-def: $vgpr8_vgpr9
                                        ; kill: killed $vgpr8_vgpr9
                                        ; implicit-def: $vgpr10_vgpr11
	s_and_saveexec_b64 s[8:9], s[6:7]
	s_xor_b64 s[6:7], exec, s[8:9]
	s_cbranch_execz .LBB6_3
; %bb.2:
	flat_load_dwordx4 v[8:11], v[2:3] offset:72
	flat_load_dwordx2 v[0:1], v[2:3] offset:96
	v_add_u32_e32 v4, v6, v4
	v_ashrrev_i32_e32 v5, 31, v4
	s_waitcnt vmcnt(0) lgkmcnt(0)
	v_mul_lo_u32 v5, v10, v5
	v_mad_u64_u32 v[6:7], s[8:9], v10, v4, v[8:9]
	v_mul_lo_u32 v4, v11, v4
	v_add3_u32 v7, v4, v7, v5
	v_lshrrev_b64 v[0:1], 12, v[0:1]
	buffer_store_dword v6, off, s[0:3], s33 offset:220 ; 4-byte Folded Spill
	s_nop 0
	buffer_store_dword v7, off, s[0:3], s33 offset:224 ; 4-byte Folded Spill
                                        ; implicit-def: $vgpr5
                                        ; implicit-def: $vgpr4
.LBB6_3:
	s_andn2_saveexec_b64 s[6:7], s[6:7]
	s_cbranch_execz .LBB6_5
; %bb.4:
	flat_load_dwordx4 v[6:9], v[2:3] offset:72
	flat_load_dwordx4 v[10:13], v[2:3] offset:88
	v_add_u32_sdwa v0, v5, v4 dst_sel:DWORD dst_unused:UNUSED_PAD src0_sel:BYTE_1 src1_sel:DWORD
	v_ashrrev_i32_e32 v1, 31, v0
	s_waitcnt vmcnt(0) lgkmcnt(0)
	v_mul_lo_u32 v1, v8, v1
	v_mad_u64_u32 v[4:5], s[8:9], v8, v0, v[6:7]
	v_mul_lo_u32 v0, v9, v0
	v_add3_u32 v5, v0, v5, v1
	v_lshrrev_b32_e32 v0, 1, v13
	buffer_store_dword v4, off, s[0:3], s33 offset:220 ; 4-byte Folded Spill
	s_nop 0
	buffer_store_dword v5, off, s[0:3], s33 offset:224 ; 4-byte Folded Spill
.LBB6_5:
	s_or_b64 exec, exec, s[6:7]
.LBB6_6:
	s_andn2_saveexec_b64 s[4:5], s[4:5]
	s_cbranch_execz .LBB6_8
; %bb.7:
	flat_load_dwordx2 v[0:1], v[2:3] offset:96
	flat_load_dwordx2 v[10:11], v[2:3] offset:72
	v_pk_mov_b32 v[4:5], 0, 0
	buffer_store_dword v4, off, s[0:3], s33 offset:220 ; 4-byte Folded Spill
	s_nop 0
	buffer_store_dword v5, off, s[0:3], s33 offset:224 ; 4-byte Folded Spill
	s_waitcnt vmcnt(0) lgkmcnt(0)
	v_lshlrev_b64 v[0:1], 9, v[0:1]
.LBB6_8:
	s_or_b64 exec, exec, s[4:5]
	s_trap 2
	ds_read_b64 v[4:5], v0
	s_waitcnt lgkmcnt(0)
	v_cmp_ne_u32_e32 vcc, -1, v4
	v_cndmask_b32_e64 v1, 0, 1, vcc
	v_cmp_ne_u32_e32 vcc, -1, v5
	v_addc_co_u32_e64 v6, s[4:5], 0, v1, vcc
	v_lshlrev_b32_e32 v4, 1, v6
	v_cmp_le_i32_e64 s[4:5], v4, v18
	s_and_saveexec_b64 s[6:7], s[4:5]
	s_xor_b64 s[26:27], exec, s[6:7]
	s_cbranch_execnz .LBB6_9
; %bb.10813:
	s_getpc_b64 s[98:99]
.Lpost_getpc17:
	s_add_u32 s98, s98, (.LBB6_10808-.Lpost_getpc17)&4294967295
	s_addc_u32 s99, s99, (.LBB6_10808-.Lpost_getpc17)>>32
	s_setpc_b64 s[98:99]
.LBB6_9:
	buffer_store_dword v10, off, s[0:3], s33 offset:204 ; 4-byte Folded Spill
	s_nop 0
	buffer_store_dword v11, off, s[0:3], s33 offset:208 ; 4-byte Folded Spill
	buffer_store_dword v12, off, s[0:3], s33 offset:212 ; 4-byte Folded Spill
	;; [unrolled: 1-line block ×3, first 2 shown]
	flat_load_dwordx2 v[4:5], v[2:3] offset:104
	s_nop 0
	flat_load_dwordx4 v[10:13], v[2:3] offset:16
	flat_load_ushort v9, v[2:3] offset:8
	flat_load_dword v8, v[2:3] offset:4
	s_trap 2
	s_load_dword s4, s[28:29], 0x0
	v_mov_b32_e32 v7, 0
	v_mov_b32_e32 v46, 4
	s_waitcnt lgkmcnt(0)
	s_cmp_lt_u32 s12, s4
	s_cselect_b32 s4, 12, 18
	s_add_u32 s4, s28, s4
	s_addc_u32 s5, s29, 0
	global_load_ushort a1, v7, s[4:5]
	ds_read_b32 v7, v0
	v_cmp_ge_i32_e64 s[4:5], v45, v1
	s_waitcnt lgkmcnt(0)
	v_readfirstlane_b32 s8, v7
	s_and_saveexec_b64 s[6:7], s[4:5]
	s_cbranch_execz .LBB6_19
; %bb.10:
	v_cmp_le_u32_e64 s[4:5], v6, v45
                                        ; implicit-def: $vgpr46
	s_and_saveexec_b64 s[10:11], s[4:5]
	s_xor_b64 s[4:5], exec, s[10:11]
	s_cbranch_execz .LBB6_16
; %bb.11:
	v_cndmask_b32_e64 v7, 0, 1, vcc
	v_sub_u32_e32 v7, v18, v7
	v_cmp_ge_u32_e32 vcc, v45, v7
                                        ; implicit-def: $sgpr9
	s_and_saveexec_b64 s[10:11], vcc
	s_xor_b64 s[10:11], exec, s[10:11]
; %bb.12:
	s_mov_b32 s9, 16
                                        ; implicit-def: $vgpr6
; %bb.13:
	s_or_saveexec_b64 s[10:11], s[10:11]
	v_mov_b32_e32 v46, s9
	s_xor_b64 exec, exec, s[10:11]
; %bb.14:
	v_sub_u32_e32 v6, v18, v6
	v_cmp_ge_i32_e32 vcc, v45, v6
	v_cndmask_b32_e64 v6, 0, 1, vcc
	v_lshlrev_b32_e32 v46, 5, v6
; %bb.15:
	s_or_b64 exec, exec, s[10:11]
.LBB6_16:
	s_andn2_saveexec_b64 s[4:5], s[4:5]
; %bb.17:
	v_mov_b32_e32 v46, 8
; %bb.18:
	s_or_b64 exec, exec, s[4:5]
.LBB6_19:
	s_or_b64 exec, exec, s[6:7]
	v_and_b32_e32 v6, 36, v46
	v_cmp_ne_u32_e32 vcc, 0, v6
	v_mov_b32_e32 v6, -1
	s_and_saveexec_b64 s[4:5], vcc
	s_cbranch_execz .LBB6_21
; %bb.20:
	s_trap 2
	ds_read_b32 v6, v0
.LBB6_21:
	s_or_b64 exec, exec, s[4:5]
	v_and_b32_e32 v7, 24, v46
	v_cmp_ne_u32_e64 s[4:5], 0, v7
	s_and_saveexec_b64 s[6:7], s[4:5]
	s_cbranch_execz .LBB6_23
; %bb.22:
	s_trap 2
	s_waitcnt lgkmcnt(0)
	ds_read_b32 v6, v0
.LBB6_23:
	s_or_b64 exec, exec, s[6:7]
	s_waitcnt vmcnt(0)
	v_lshrrev_b64 v[8:9], 31, v[8:9]
	v_pk_mov_b32 v[20:21], 0, 0
	v_and_b32_e32 v8, 3, v8
	v_pk_mov_b32 v[24:25], v[20:21], v[20:21] op_sel:[0,1]
                                        ; implicit-def: $vgpr14_vgpr15
                                        ; kill: killed $vgpr14_vgpr15
                                        ; implicit-def: $agpr20
                                        ; implicit-def: $vgpr58_vgpr59
                                        ; implicit-def: $agpr22_agpr23
                                        ; implicit-def: $agpr26_agpr27
                                        ; implicit-def: $agpr18_agpr19
	s_and_saveexec_b64 s[4:5], vcc
	s_cbranch_execz .LBB6_33
; %bb.24:
	s_trap 2
	ds_read_b64 v[14:15], v0
	s_waitcnt lgkmcnt(1)
	v_ashrrev_i32_e32 v7, 31, v6
	v_lshlrev_b64 v[16:17], 3, v[6:7]
	v_and_b32_e32 v7, 0xffff, v8
	s_movk_i32 s6, 0xa8
	s_waitcnt lgkmcnt(0)
	v_add_co_u32_e32 v14, vcc, v14, v16
	v_addc_co_u32_e32 v15, vcc, v15, v17, vcc
	flat_load_dwordx2 v[14:15], v[14:15]
	s_waitcnt vmcnt(0) lgkmcnt(0)
	v_mad_u64_u32 v[14:15], s[6:7], v7, s6, v[14:15]
	flat_load_dword v7, v[14:15] offset:640
	v_add_co_u32_e32 v20, vcc, 0x1f8, v14
	v_addc_co_u32_e32 v21, vcc, 0, v15, vcc
                                        ; implicit-def: $vgpr14_vgpr15
                                        ; kill: killed $vgpr14_vgpr15
	s_waitcnt vmcnt(0) lgkmcnt(0)
	v_cmp_eq_u32_e32 vcc, 1, v7
	s_and_saveexec_b64 s[6:7], vcc
	s_cbranch_execz .LBB6_26
; %bb.25:
	flat_load_dwordx2 v[16:17], v[20:21] offset:144
	v_or_b32_e32 v46, 0x2000, v46
	s_waitcnt vmcnt(0) lgkmcnt(0)
	flat_load_dwordx2 v[14:15], v[16:17]
	s_trap 2
	s_waitcnt vmcnt(0) lgkmcnt(0)
	ds_write_b64 v0, v[14:15]
	flat_load_dwordx2 v[14:15], v[16:17] offset:8
	s_waitcnt vmcnt(0) lgkmcnt(0)
	ds_write_b64 v0, v[14:15]
	buffer_store_dword v16, off, s[0:3], s33 offset:244 ; 4-byte Folded Spill
	s_nop 0
	buffer_store_dword v17, off, s[0:3], s33 offset:248 ; 4-byte Folded Spill
	flat_load_dwordx2 v[14:15], v[16:17] offset:16
	s_waitcnt vmcnt(0) lgkmcnt(0)
	ds_write_b64 v0, v[14:15]
.LBB6_26:
	s_or_b64 exec, exec, s[6:7]
	flat_load_dwordx2 v[14:15], v[20:21] offset:104
	v_and_b32_e32 v7, 32, v46
                                        ; implicit-def: $agpr18_agpr19
	s_waitcnt vmcnt(0) lgkmcnt(0)
	v_add_co_u32_e32 v9, vcc, 3, v14
	v_addc_co_u32_e32 v59, vcc, 0, v15, vcc
	v_and_b32_e32 v58, -4, v9
	v_cmp_ne_u32_e32 vcc, 0, v7
	s_and_saveexec_b64 s[6:7], vcc
	s_cbranch_execz .LBB6_28
; %bb.27:
	flat_load_dwordx2 v[14:15], v[20:21] offset:56
	s_waitcnt vmcnt(0) lgkmcnt(0)
	v_accvgpr_write_b32 a19, v15
	v_accvgpr_write_b32 a18, v14
	flat_store_dwordx2 v[14:15], v[58:59]
.LBB6_28:
	s_or_b64 exec, exec, s[6:7]
	v_and_b32_e32 v7, 4, v46
	v_cmp_ne_u32_e32 vcc, 0, v7
	v_pk_mov_b32 v[24:25], 0, 0
                                        ; implicit-def: $agpr20
                                        ; implicit-def: $agpr22_agpr23
                                        ; implicit-def: $agpr26_agpr27
	s_and_saveexec_b64 s[6:7], vcc
	s_cbranch_execz .LBB6_32
; %bb.29:
	v_and_b32_e32 v7, 0x800, v46
	v_cmp_eq_u32_e32 vcc, 0, v7
	s_and_saveexec_b64 s[10:11], vcc
	s_cbranch_execz .LBB6_31
; %bb.30:
	s_trap 2
	ds_write_b64 v0, v[20:21]
.LBB6_31:
	s_or_b64 exec, exec, s[10:11]
	flat_load_dwordx2 v[14:15], v[20:21] offset:48
	v_or_b32_e32 v7, 0x100, v46
	s_waitcnt vmcnt(0) lgkmcnt(0)
	flat_load_dwordx2 a[26:27], v[14:15] glc
	flat_load_dwordx2 v[24:25], v[20:21] offset:96
	flat_load_dword a20, v[20:21] offset:72
	flat_load_dwordx2 a[22:23], v[20:21] offset:16
	v_accvgpr_write_b32 a19, v15
	v_accvgpr_write_b32 a18, v14
	s_waitcnt vmcnt(0) lgkmcnt(0)
	v_cmp_eq_u64_e32 vcc, 0, v[24:25]
	v_cndmask_b32_e32 v46, v7, v46, vcc
.LBB6_32:
	s_or_b64 exec, exec, s[6:7]
.LBB6_33:
	s_or_b64 exec, exec, s[4:5]
	v_and_b32_e32 v7, 24, v46
	v_cmp_ne_u32_e32 vcc, 0, v7
                                        ; implicit-def: $agpr24_agpr25
	s_and_saveexec_b64 s[4:5], vcc
	s_cbranch_execz .LBB6_41
; %bb.34:
	s_trap 2
	ds_read_b64 v[14:15], v0
	s_waitcnt lgkmcnt(0)
	v_ashrrev_i32_e32 v7, 31, v6
	v_lshlrev_b64 v[6:7], 3, v[6:7]
	v_and_b32_e32 v8, 0xffff, v8
	s_movk_i32 s6, 0xa8
	v_add_co_u32_e32 v6, vcc, v14, v6
	v_addc_co_u32_e32 v7, vcc, v15, v7, vcc
	flat_load_dwordx2 v[6:7], v[6:7]
                                        ; implicit-def: $agpr24_agpr25
	s_waitcnt vmcnt(0) lgkmcnt(0)
	v_mad_u64_u32 v[20:21], s[6:7], v8, s6, v[6:7]
	flat_load_dwordx4 v[24:27], v[20:21] offset:96
	v_or_b32_e32 v6, 0x100, v46
	s_waitcnt vmcnt(0) lgkmcnt(0)
	v_cmp_eq_u64_e32 vcc, 0, v[24:25]
	v_cndmask_b32_e32 v46, v6, v46, vcc
	v_and_b32_e32 v6, 16, v46
	v_cmp_ne_u32_e32 vcc, 0, v6
	s_and_saveexec_b64 s[6:7], vcc
	s_cbranch_execz .LBB6_36
; %bb.35:
	flat_load_dwordx2 a[24:25], v[20:21] offset:120
	flat_load_dwordx2 a[18:19], v[20:21] offset:48
	flat_load_dwordx2 a[22:23], v[20:21] offset:16
.LBB6_36:
	s_or_b64 exec, exec, s[6:7]
	v_add_co_u32_e32 v6, vcc, 3, v26
	v_addc_co_u32_e32 v59, vcc, 0, v27, vcc
	v_and_b32_e32 v58, -4, v6
	v_and_b32_e32 v6, 8, v46
	v_cmp_ne_u32_e32 vcc, 0, v6
	s_and_saveexec_b64 s[6:7], vcc
	s_cbranch_execz .LBB6_40
; %bb.37:
	v_and_b32_e32 v6, 0x800, v46
	v_cmp_eq_u32_e32 vcc, 0, v6
	s_and_saveexec_b64 s[10:11], vcc
	s_cbranch_execz .LBB6_39
; %bb.38:
	s_trap 2
	ds_write_b64 v0, v[20:21]
.LBB6_39:
	s_or_b64 exec, exec, s[10:11]
	flat_load_dwordx2 v[6:7], v[20:21] offset:56
	s_waitcnt vmcnt(0) lgkmcnt(0)
	flat_load_dwordx2 a[26:27], v[6:7] glc
	flat_load_dword a20, v[20:21] offset:72
	flat_load_dwordx2 a[22:23], v[20:21] offset:16
	v_accvgpr_write_b32 a19, v7
	v_accvgpr_write_b32 a18, v6
.LBB6_40:
	s_or_b64 exec, exec, s[6:7]
.LBB6_41:
	s_or_b64 exec, exec, s[4:5]
	v_cmp_eq_u32_e64 s[4:5], 0, v45
	s_and_saveexec_b64 s[6:7], s[4:5]
	s_cbranch_execz .LBB6_43
; %bb.42:
	s_waitcnt lgkmcnt(0)
	flat_load_dwordx2 v[6:7], v[2:3] offset:32
	v_mov_b32_e32 v8, v12
	v_mov_b32_e32 v9, v13
	ds_write2_b64 v0, v[8:9], v[10:11] offset1:1
	s_trap 2
	s_waitcnt vmcnt(0) lgkmcnt(0)
	ds_write_b64 v0, v[6:7]
	ds_write_b64 v0, v[4:5]
.LBB6_43:
	s_or_b64 exec, exec, s[6:7]
	s_waitcnt lgkmcnt(0)
	buffer_load_dword v4, off, s[0:3], s33 offset:204 ; 4-byte Folded Reload
	buffer_load_dword v5, off, s[0:3], s33 offset:208 ; 4-byte Folded Reload
	;; [unrolled: 1-line block ×4, first 2 shown]
	s_mov_b64 s[6:7], 0
                                        ; implicit-def: $vgpr61 : SGPR spill to VGPR lane
	v_writelane_b32 v61, s6, 0
	v_writelane_b32 v61, s7, 1
	s_waitcnt vmcnt(0)
	v_cmp_lt_i64_e32 vcc, 0, v[4:5]
	v_pk_mov_b32 v[4:5], 0, 0
	v_accvgpr_write_b32 a29, v5
	v_accvgpr_write_b32 a28, v4
	s_mov_b64 s[6:7], exec
	v_writelane_b32 v61, s6, 2
	v_writelane_b32 v61, s7, 3
	s_and_b64 s[6:7], s[6:7], vcc
	s_mov_b64 exec, s[6:7]
	s_cbranch_execnz .LBB6_44
; %bb.10815:
	s_getpc_b64 s[98:99]
.Lpost_getpc18:
	s_add_u32 s98, s98, (.LBB6_10772-.Lpost_getpc18)&4294967295
	s_addc_u32 s99, s99, (.LBB6_10772-.Lpost_getpc18)>>32
	s_setpc_b64 s[98:99]
.LBB6_44:
	v_writelane_b32 v61, s26, 4
	v_writelane_b32 v61, s27, 5
	v_accvgpr_read_b32 v6, a24
	v_writelane_b32 v61, s28, 6
	v_accvgpr_read_b32 v7, a25
	;; [unrolled: 2-line block ×3, first 2 shown]
	v_cmp_ne_u64_e64 s[14:15], 0, v[6:7]
	flat_load_dword v2, v[2:3] offset:4
	v_and_b32_e32 v50, 0x3ffffe00, v0
	v_ashrrev_i32_e32 v3, 31, v4
	v_writelane_b32 v61, s14, 8
	s_ashr_i32 s18, s78, 31
	v_accvgpr_write_b32 a21, v3
	v_accvgpr_read_b32 v3, a1
	v_writelane_b32 v61, s15, 9
	v_mad_i64_i32 v[10:11], s[14:15], v50, s78, 0
	v_and_b32_e32 v0, 63, v31
	v_cmp_ne_u32_sdwa s[44:45], v3, v18 src0_sel:WORD_0 src1_sel:DWORD
	v_lshrrev_b32_e32 v40, 6, v18
	v_ashrrev_i32_e32 v3, 31, v45
	v_mov_b32_e32 v4, 0xfffff000
	s_add_u32 s14, s78, -1
	s_movk_i32 s9, 0x1000
	v_mov_b32_e32 v5, 0xfffff800
	v_writelane_b32 v61, s14, 10
	v_cmp_eq_u32_e64 s[16:17], 0, v0
	v_lshrrev_b32_e32 v0, 26, v3
	v_lshl_add_u32 v3, v40, 12, v4
	v_lshl_add_u32 v4, v40, 11, v5
	v_writelane_b32 v61, s18, 11
	s_addc_u32 s14, s18, -1
	v_ashrrev_i32_e32 v5, 31, v3
	v_add_co_u32_e64 v3, s[18:19], s9, v3
	s_movk_i32 s21, 0x800
	v_cmp_eq_u64_e64 s[12:13], 0, v[6:7]
	v_lshlrev_b32_e32 v6, 10, v40
	v_accvgpr_write_b32 a39, v3
	v_addc_co_u32_e64 v3, s[18:19], 0, v5, s[18:19]
	v_and_b32_e32 v8, 0xffffffc0, v18
	v_accvgpr_write_b32 a34, v6
	v_add_u32_e32 v12, 0xfffffc00, v6
	v_ashrrev_i32_e32 v6, 31, v4
	v_add_co_u32_e64 v4, s[18:19], s21, v4
	v_accvgpr_write_b32 a31, v8
	v_subrev_u32_e32 v8, 64, v8
	v_accvgpr_write_b32 a42, v4
	v_addc_co_u32_e64 v4, s[18:19], 0, v6, s[18:19]
	v_add_u32_e32 v0, v45, v0
	v_ashrrev_i32_e32 v7, 31, v8
	v_accvgpr_write_b32 a43, v4
	v_add_co_u32_e64 v4, s[18:19], 64, v8
	s_movk_i32 s20, 0x400
	v_ashrrev_i32_e32 v9, 6, v0
	v_and_b32_e32 v0, 0xffffffc0, v0
	v_accvgpr_write_b32 a44, v4
	v_addc_co_u32_e64 v4, s[18:19], 0, v7, s[18:19]
	v_accvgpr_write_b32 a40, v3
	v_ashrrev_i32_e32 v3, 31, v12
	v_accvgpr_write_b32 a45, v4
	v_sub_u32_e32 v4, v45, v0
	v_lshlrev_b32_e32 v0, 12, v9
	v_add_co_u32_e64 v5, s[18:19], s20, v12
	v_accvgpr_write_b32 a41, v3
	v_addc_co_u32_e64 v3, s[18:19], 0, v3, s[18:19]
	v_lshl_add_u32 v0, v4, 4, v0
	v_cmp_gt_i32_e64 s[18:19], 1, v4
	v_cmp_lt_i32_e64 s[20:21], v4, v1
	v_accvgpr_write_b32 a46, v4
	v_cmp_le_i32_e64 s[22:23], v4, v1
	v_mov_b32_e32 v4, v0
	v_mov_b32_e32 v51, 0
	buffer_store_dword v31, off, s[0:3], s33 offset:236 ; 4-byte Folded Spill
	s_trap 2
	buffer_store_dword v18, off, s[0:3], s33 offset:240 ; 4-byte Folded Spill
	v_accvgpr_write_b32 a47, v5
	v_accvgpr_write_b32 a48, v3
	v_lshlrev_b32_e32 v3, 11, v9
	buffer_store_dword v4, off, s[0:3], s33 offset:188 ; 4-byte Folded Spill
	s_nop 0
	buffer_store_dword v5, off, s[0:3], s33 offset:192 ; 4-byte Folded Spill
	v_ashrrev_i32_e32 v1, 31, v0
	v_sub_u32_e32 v4, v0, v3
	buffer_store_dword v50, off, s[0:3], s33 offset:180 ; 4-byte Folded Spill
	s_nop 0
	buffer_store_dword v51, off, s[0:3], s33 offset:184 ; 4-byte Folded Spill
	v_accvgpr_write_b32 a35, v7
	v_accvgpr_write_b32 a49, v1
	;; [unrolled: 1-line block ×3, first 2 shown]
	v_ashrrev_i32_e32 v1, 31, v4
	buffer_load_dword v4, off, s[0:3], s33 offset:204 ; 4-byte Folded Reload
	buffer_load_dword v5, off, s[0:3], s33 offset:208 ; 4-byte Folded Reload
	;; [unrolled: 1-line block ×4, first 2 shown]
	v_writelane_b32 v61, s14, 12
	s_add_i32 s84, s78, s78
	s_not_b32 s14, s78
	s_cmp_gt_i32 s78, 0
	s_cselect_b32 s9, s14, -1
	s_ashr_i32 s14, s8, 31
	s_add_i32 s15, s9, s84
	s_lshr_b32 s9, s14, 25
	s_add_i32 s8, s8, s9
	s_ashr_i32 s14, s15, 31
	s_ashr_i32 s87, s8, 7
	v_writelane_b32 v61, s15, 13
	s_cmp_gt_i32 s78, 2
	v_writelane_b32 v61, s14, 14
	s_cselect_b64 s[8:9], -1, 0
	s_waitcnt vmcnt(0) lgkmcnt(0)
	v_and_b32_e32 v0, 1, v2
	v_writelane_b32 v61, s8, 15
	v_cmp_eq_u32_e64 s[24:25], 1, v0
	v_writelane_b32 v61, s9, 16
	s_xor_b64 s[48:49], s[24:25], -1
	s_add_i32 s8, s78, 1
	s_cmp_le_i32 s78, s8
	s_cselect_b32 s9, s78, 0
	s_sub_i32 s8, s8, s9
	v_cmp_ge_i32_e32 vcc, v45, v18
	v_writelane_b32 v61, s8, 17
	s_ashr_i32 s8, s8, 31
	v_writelane_b32 v61, s8, 18
	v_pk_mov_b32 v[2:3], 0, 0
	s_xor_b64 s[8:9], vcc, -1
	v_accvgpr_write_b32 a2, v20
	s_mov_b32 s42, -1
	v_writelane_b32 v61, s8, 19
	v_accvgpr_write_b32 a29, v3
	v_accvgpr_write_b32 a12, v20
	;; [unrolled: 1-line block ×4, first 2 shown]
	s_mov_b32 s43, 0xffffff
	v_cmp_eq_u32_e64 s[6:7], 64, v18
	v_cmp_ne_u32_e64 s[10:11], 64, v18
	s_movk_i32 s80, 0xffc0
	s_movk_i32 s81, 0xfc00
	v_accvgpr_write_b32 a36, v8
	v_accvgpr_write_b32 a38, v12
	;; [unrolled: 1-line block ×4, first 2 shown]
	s_add_i32 s90, s78, -2
	v_writelane_b32 v61, s9, 20
	s_movk_i32 s91, 0x270e
	s_movk_i32 s92, 0x108
	;; [unrolled: 1-line block ×5, first 2 shown]
	s_brev_b32 s96, 1
	s_movk_i32 s97, 0x80
	s_mov_b64 s[52:53], 0x7f800000
	s_mov_b64 s[54:55], 0x47600001
	s_movk_i32 s38, 0x72
	s_mov_b64 s[56:57], 0xffffff
	s_movk_i32 s39, 0x7f
	s_mov_b32 s36, 0x7c0000
	s_brev_b32 s37, 62
	s_mov_b32 s82, 0x4020c0c
	s_mov_b32 s9, 0xc0c0500
	s_movk_i32 s8, 0xfc40
	s_movk_i32 s83, 0xfc80
	;; [unrolled: 1-line block ×13, first 2 shown]
	v_accvgpr_write_b32 a28, v2
	v_accvgpr_write_b32 a55, v45
	v_pk_mov_b32 v[0:1], v[4:5], v[4:5] op_sel:[0,1]
	v_accvgpr_write_b32 a13, v21
	v_accvgpr_write_b32 a17, v25
	;; [unrolled: 1-line block ×3, first 2 shown]
	buffer_store_dword v10, off, s[0:3], s33 offset:228 ; 4-byte Folded Spill
	s_nop 0
	buffer_store_dword v11, off, s[0:3], s33 offset:232 ; 4-byte Folded Spill
	s_branch .LBB6_47
.LBB6_45:                               ;   in Loop: Header=BB6_47 Depth=1
	s_or_b64 exec, exec, s[30:31]
.LBB6_46:                               ;   in Loop: Header=BB6_47 Depth=1
	s_or_b64 exec, exec, s[28:29]
	buffer_load_dword v10, off, s[0:3], s33 offset:228 ; 4-byte Folded Reload
	buffer_load_dword v11, off, s[0:3], s33 offset:232 ; 4-byte Folded Reload
	;; [unrolled: 1-line block ×8, first 2 shown]
	v_readlane_b32 s26, v61, 0
	v_readlane_b32 s27, v61, 1
	s_waitcnt vmcnt(0)
	v_add_co_u32_e32 v2, vcc, v2, v10
	v_addc_co_u32_e32 v3, vcc, v3, v11, vcc
	v_pk_mov_b32 v[0:1], v[4:5], v[4:5] op_sel:[0,1]
	v_cmp_ge_i64_e32 vcc, v[2:3], v[0:1]
	s_or_b64 s[26:27], vcc, s[26:27]
	v_writelane_b32 v61, s26, 0
	v_writelane_b32 v61, s27, 1
	s_andn2_b64 exec, exec, s[26:27]
	s_cbranch_execnz .LBB6_47
; %bb.10817:
	s_getpc_b64 s[98:99]
.Lpost_getpc19:
	s_add_u32 s98, s98, (.LBB6_10771-.Lpost_getpc19)&4294967295
	s_addc_u32 s99, s99, (.LBB6_10771-.Lpost_getpc19)>>32
	s_setpc_b64 s[98:99]
.LBB6_47:                               ; =>This Loop Header: Depth=1
                                        ;     Child Loop BB6_57 Depth 2
                                        ;       Child Loop BB6_65 Depth 3
                                        ;       Child Loop BB6_89 Depth 3
	;; [unrolled: 1-line block ×9, first 2 shown]
                                        ;     Child Loop BB6_199 Depth 2
                                        ;       Child Loop BB6_205 Depth 3
                                        ;       Child Loop BB6_234 Depth 3
	;; [unrolled: 1-line block ×3, first 2 shown]
                                        ;     Child Loop BB6_271 Depth 2
                                        ;       Child Loop BB6_274 Depth 3
                                        ;         Child Loop BB6_282 Depth 4
                                        ;         Child Loop BB6_308 Depth 4
	;; [unrolled: 1-line block ×9, first 2 shown]
                                        ;       Child Loop BB6_3606 Depth 3
                                        ;         Child Loop BB6_3612 Depth 4
                                        ;         Child Loop BB6_3650 Depth 4
	;; [unrolled: 1-line block ×3, first 2 shown]
                                        ;     Child Loop BB6_3679 Depth 2
                                        ;       Child Loop BB6_3687 Depth 3
                                        ;       Child Loop BB6_3713 Depth 3
	;; [unrolled: 1-line block ×9, first 2 shown]
                                        ;         Child Loop BB6_6111 Depth 4
                                        ;       Child Loop BB6_6121 Depth 3
                                        ;       Child Loop BB6_6957 Depth 3
                                        ;         Child Loop BB6_7010 Depth 4
                                        ;       Child Loop BB6_3760 Depth 3
                                        ;       Child Loop BB6_5323 Depth 3
                                        ;     Child Loop BB6_10234 Depth 2
                                        ;       Child Loop BB6_10240 Depth 3
                                        ;       Child Loop BB6_10270 Depth 3
	;; [unrolled: 1-line block ×3, first 2 shown]
                                        ;     Child Loop BB6_10307 Depth 2
                                        ;       Child Loop BB6_10310 Depth 3
                                        ;         Child Loop BB6_10318 Depth 4
                                        ;         Child Loop BB6_10344 Depth 4
	;; [unrolled: 1-line block ×9, first 2 shown]
                                        ;           Child Loop BB6_10404 Depth 5
                                        ;         Child Loop BB6_10413 Depth 4
                                        ;         Child Loop BB6_10418 Depth 4
                                        ;           Child Loop BB6_10419 Depth 5
                                        ;         Child Loop BB6_10391 Depth 4
                                        ;         Child Loop BB6_10470 Depth 4
                                        ;       Child Loop BB6_10488 Depth 3
                                        ;         Child Loop BB6_10494 Depth 4
                                        ;         Child Loop BB6_10524 Depth 4
	;; [unrolled: 1-line block ×3, first 2 shown]
                                        ;     Child Loop BB6_10565 Depth 2
                                        ;       Child Loop BB6_10573 Depth 3
                                        ;       Child Loop BB6_10597 Depth 3
	;; [unrolled: 1-line block ×9, first 2 shown]
                                        ;     Child Loop BB6_10705 Depth 2
                                        ;       Child Loop BB6_10711 Depth 3
                                        ;       Child Loop BB6_10735 Depth 3
	;; [unrolled: 1-line block ×3, first 2 shown]
	v_sub_co_u32_e32 v0, vcc, v0, v2
	buffer_store_dword v2, off, s[0:3], s33 offset:196 ; 4-byte Folded Spill
	s_nop 0
	buffer_store_dword v3, off, s[0:3], s33 offset:200 ; 4-byte Folded Spill
	v_subb_co_u32_e32 v1, vcc, v1, v3, vcc
	buffer_store_dword v0, off, s[0:3], s33 offset:172 ; 4-byte Folded Spill
	s_nop 0
	buffer_store_dword v1, off, s[0:3], s33 offset:176 ; 4-byte Folded Spill
	v_cmp_lt_i64_e32 vcc, v[0:1], v[10:11]
	s_and_saveexec_b64 s[28:29], vcc
	s_cbranch_execz .LBB6_53
; %bb.48:                               ;   in Loop: Header=BB6_47 Depth=1
	buffer_load_dword v2, off, s[0:3], s33 offset:172 ; 4-byte Folded Reload
	buffer_load_dword v3, off, s[0:3], s33 offset:176 ; 4-byte Folded Reload
	v_readlane_b32 s26, v61, 12
	v_mov_b32_e32 v0, s26
	v_readlane_b32 s26, v61, 10
	s_waitcnt vmcnt(0)
	v_add_co_u32_e32 v2, vcc, s26, v2
	s_waitcnt vmcnt(0)
	v_addc_co_u32_e32 v3, vcc, v0, v3, vcc
	v_readlane_b32 s26, v61, 11
	v_or_b32_e32 v1, s26, v3
	v_mov_b32_e32 v0, v51
	v_cmp_ne_u64_e32 vcc, 0, v[0:1]
                                        ; implicit-def: $vgpr0_vgpr1
	s_and_saveexec_b64 s[26:27], vcc
	s_xor_b64 s[30:31], exec, s[26:27]
	s_cbranch_execz .LBB6_50
; %bb.49:                               ;   in Loop: Header=BB6_47 Depth=1
	v_readlane_b32 s27, v61, 11
	s_add_u32 s26, s78, s27
	s_mov_b32 s34, s27
	s_mov_b32 s35, s27
	s_addc_u32 s27, s27, s27
	s_xor_b64 s[58:59], s[26:27], s[34:35]
	v_cvt_f32_u32_e32 v0, s58
	v_cvt_f32_u32_e32 v1, s59
	s_sub_u32 s26, 0, s58
	s_subb_u32 s27, 0, s59
	v_mac_f32_e32 v0, 0x4f800000, v1
	v_rcp_f32_e32 v0, v0
	v_mul_f32_e32 v0, 0x5f7ffffc, v0
	v_mul_f32_e32 v1, 0x2f800000, v0
	v_trunc_f32_e32 v1, v1
	v_mac_f32_e32 v0, 0xcf800000, v1
	v_cvt_u32_f32_e32 v1, v1
	v_cvt_u32_f32_e32 v0, v0
	v_mul_lo_u32 v4, s26, v1
	v_mul_hi_u32 v6, s26, v0
	v_mul_lo_u32 v5, s27, v0
	v_add_u32_e32 v4, v6, v4
	v_mul_lo_u32 v7, s26, v0
	v_add_u32_e32 v4, v4, v5
	v_mul_lo_u32 v6, v0, v4
	v_mul_hi_u32 v8, v0, v7
	v_mul_hi_u32 v5, v0, v4
	v_add_co_u32_e32 v6, vcc, v8, v6
	v_addc_co_u32_e32 v5, vcc, 0, v5, vcc
	v_mul_hi_u32 v9, v1, v7
	v_mul_lo_u32 v7, v1, v7
	v_add_co_u32_e32 v6, vcc, v6, v7
	v_mul_hi_u32 v8, v1, v4
	v_addc_co_u32_e32 v5, vcc, v5, v9, vcc
	v_addc_co_u32_e32 v6, vcc, 0, v8, vcc
	v_mul_lo_u32 v4, v1, v4
	v_add_co_u32_e32 v4, vcc, v5, v4
	v_addc_co_u32_e32 v5, vcc, 0, v6, vcc
	v_add_co_u32_e32 v0, vcc, v0, v4
	v_addc_co_u32_e32 v1, vcc, v1, v5, vcc
	v_mul_lo_u32 v4, s26, v1
	v_mul_hi_u32 v5, s26, v0
	v_add_u32_e32 v4, v5, v4
	v_mul_lo_u32 v5, s27, v0
	v_add_u32_e32 v4, v4, v5
	v_mul_lo_u32 v6, s26, v0
	v_mul_hi_u32 v7, v1, v6
	v_mul_lo_u32 v8, v1, v6
	v_mul_lo_u32 v10, v0, v4
	v_mul_hi_u32 v6, v0, v6
	v_mul_hi_u32 v9, v0, v4
	v_add_co_u32_e32 v6, vcc, v6, v10
	v_addc_co_u32_e32 v9, vcc, 0, v9, vcc
	v_add_co_u32_e32 v6, vcc, v6, v8
	v_mul_hi_u32 v5, v1, v4
	v_addc_co_u32_e32 v6, vcc, v9, v7, vcc
	v_addc_co_u32_e32 v5, vcc, 0, v5, vcc
	v_mul_lo_u32 v4, v1, v4
	v_add_co_u32_e32 v4, vcc, v6, v4
	v_addc_co_u32_e32 v5, vcc, 0, v5, vcc
	v_add_co_u32_e32 v4, vcc, v0, v4
	v_addc_co_u32_e32 v5, vcc, v1, v5, vcc
	v_ashrrev_i32_e32 v6, 31, v3
	v_add_co_u32_e32 v0, vcc, v2, v6
	v_addc_co_u32_e32 v1, vcc, v3, v6, vcc
	v_xor_b32_e32 v8, v0, v6
	v_xor_b32_e32 v7, v1, v6
	v_mad_u64_u32 v[0:1], s[26:27], v8, v5, 0
	v_mul_hi_u32 v2, v8, v4
	v_add_co_u32_e32 v9, vcc, v2, v0
	v_addc_co_u32_e32 v10, vcc, 0, v1, vcc
	v_mad_u64_u32 v[2:3], s[26:27], v7, v4, 0
	v_add_co_u32_e32 v2, vcc, v9, v2
	v_mad_u64_u32 v[0:1], s[26:27], v7, v5, 0
	v_addc_co_u32_e32 v2, vcc, v10, v3, vcc
	v_addc_co_u32_e32 v1, vcc, 0, v1, vcc
	v_add_co_u32_e32 v2, vcc, v2, v0
	v_addc_co_u32_e32 v3, vcc, 0, v1, vcc
	v_mul_lo_u32 v4, s59, v2
	v_mul_lo_u32 v5, s58, v3
	v_mad_u64_u32 v[0:1], s[26:27], s58, v2, 0
	v_add3_u32 v1, v1, v5, v4
	v_sub_u32_e32 v4, v7, v1
	v_mov_b32_e32 v5, s59
	v_sub_co_u32_e32 v0, vcc, v8, v0
	v_subb_co_u32_e64 v4, s[26:27], v4, v5, vcc
	v_subrev_co_u32_e64 v5, s[26:27], s58, v0
	v_subbrev_co_u32_e64 v4, s[26:27], 0, v4, s[26:27]
	v_cmp_le_u32_e64 s[26:27], s59, v4
	v_cndmask_b32_e64 v8, 0, -1, s[26:27]
	v_cmp_le_u32_e64 s[26:27], s58, v5
	v_cndmask_b32_e64 v5, 0, -1, s[26:27]
	v_cmp_eq_u32_e64 s[26:27], s59, v4
	v_cndmask_b32_e64 v4, v8, v5, s[26:27]
	v_add_co_u32_e64 v5, s[26:27], 2, v2
	v_subb_co_u32_e32 v1, vcc, v7, v1, vcc
	v_addc_co_u32_e64 v8, s[26:27], 0, v3, s[26:27]
	v_cmp_le_u32_e32 vcc, s59, v1
	v_add_co_u32_e64 v9, s[26:27], 1, v2
	v_cndmask_b32_e64 v7, 0, -1, vcc
	v_cmp_le_u32_e32 vcc, s58, v0
	v_addc_co_u32_e64 v10, s[26:27], 0, v3, s[26:27]
	v_cndmask_b32_e64 v0, 0, -1, vcc
	v_cmp_eq_u32_e32 vcc, s59, v1
	v_cmp_ne_u32_e64 s[26:27], 0, v4
	v_cndmask_b32_e32 v0, v7, v0, vcc
	v_cndmask_b32_e64 v4, v10, v8, s[26:27]
	v_cmp_ne_u32_e32 vcc, 0, v0
	v_cndmask_b32_e64 v1, v9, v5, s[26:27]
	v_cndmask_b32_e32 v0, v3, v4, vcc
	v_cndmask_b32_e32 v1, v2, v1, vcc
	v_xor_b32_e32 v2, s35, v6
	v_xor_b32_e32 v3, s34, v6
	;; [unrolled: 1-line block ×4, first 2 shown]
	v_sub_co_u32_e32 v0, vcc, v0, v3
	v_subb_co_u32_e32 v1, vcc, v4, v2, vcc
                                        ; implicit-def: $vgpr2
.LBB6_50:                               ;   in Loop: Header=BB6_47 Depth=1
	s_andn2_saveexec_b64 s[26:27], s[30:31]
	s_cbranch_execz .LBB6_52
; %bb.51:                               ;   in Loop: Header=BB6_47 Depth=1
	v_cvt_f32_u32_e32 v0, s78
	s_sub_i32 vcc_lo, 0, s78
	v_rcp_iflag_f32_e32 v0, v0
	v_mul_f32_e32 v0, 0x4f7ffffe, v0
	v_cvt_u32_f32_e32 v0, v0
	v_mul_lo_u32 v1, vcc_lo, v0
	v_mul_hi_u32 v1, v0, v1
	v_add_u32_e32 v0, v0, v1
	v_mul_hi_u32 v0, v2, v0
	v_mul_lo_u32 v1, v0, s78
	v_sub_u32_e32 v1, v2, v1
	v_add_u32_e32 v3, 1, v0
	v_subrev_u32_e32 v2, s78, v1
	v_cmp_le_u32_e32 vcc, s78, v1
	v_cndmask_b32_e32 v1, v1, v2, vcc
	v_cndmask_b32_e32 v0, v0, v3, vcc
	v_add_u32_e32 v2, 1, v0
	v_cmp_le_u32_e32 vcc, s78, v1
	v_cndmask_b32_e32 v50, v0, v2, vcc
	v_pk_mov_b32 v[0:1], v[50:51], v[50:51] op_sel:[0,1]
.LBB6_52:                               ;   in Loop: Header=BB6_47 Depth=1
	s_or_b64 exec, exec, s[26:27]
	v_add_co_u32_e32 v0, vcc, 15, v0
	v_addc_co_u32_e32 v1, vcc, 0, v1, vcc
	v_and_b32_e32 v0, -16, v0
	buffer_store_dword v0, off, s[0:3], s33 offset:180 ; 4-byte Folded Spill
	s_nop 0
	buffer_store_dword v1, off, s[0:3], s33 offset:184 ; 4-byte Folded Spill
.LBB6_53:                               ;   in Loop: Header=BB6_47 Depth=1
	s_or_b64 exec, exec, s[28:29]
	buffer_load_dword v6, off, s[0:3], s33 offset:180 ; 4-byte Folded Reload
	buffer_load_dword v7, off, s[0:3], s33 offset:184 ; 4-byte Folded Reload
	v_readlane_b32 s26, v61, 13
	v_readlane_b32 s27, v61, 14
	v_mov_b32_e32 v13, 0
	s_waitcnt vmcnt(0)
	v_mul_lo_u32 v0, v7, s26
	v_mul_lo_u32 v1, v6, s27
	v_mad_u64_u32 v[2:3], s[26:27], v6, s26, 0
	v_add3_u32 v3, v3, v1, v0
	buffer_load_dword v0, off, s[0:3], s33 offset:220 ; 4-byte Folded Reload
	buffer_load_dword v1, off, s[0:3], s33 offset:224 ; 4-byte Folded Reload
	;; [unrolled: 1-line block ×4, first 2 shown]
	v_readlane_b32 s26, v61, 19
	v_readlane_b32 s27, v61, 20
	s_waitcnt vmcnt(0)
	v_add_co_u32_e32 v0, vcc, v4, v0
	v_accvgpr_write_b32 a53, v0
	s_waitcnt vmcnt(0)
	v_addc_co_u32_e32 v0, vcc, v5, v1, vcc
	v_accvgpr_write_b32 a60, v0
	buffer_load_dword v0, off, s[0:3], s33 offset:172 ; 4-byte Folded Reload
	buffer_load_dword v1, off, s[0:3], s33 offset:176 ; 4-byte Folded Reload
	s_waitcnt vmcnt(0)
	v_sub_co_u32_e32 v0, vcc, v0, v2
	s_waitcnt vmcnt(0)
	v_subb_co_u32_e32 v1, vcc, v1, v3, vcc
	v_cmp_lt_i64_e32 vcc, v[6:7], v[0:1]
	v_cndmask_b32_e32 v1, v0, v6, vcc
	v_max_i32_e32 v12, 0, v1
	v_add_u32_e32 v0, 31, v12
	v_lshrrev_b32_e32 v0, 1, v0
	v_and_b32_e32 v0, 0x3ffffff0, v0
	v_cmp_lt_i32_e32 vcc, 0, v1
	v_max_i32_e32 v0, s87, v0
	s_and_b64 s[26:27], s[26:27], vcc
	v_mov_b32_e32 v1, 0
	s_and_saveexec_b64 s[28:29], s[26:27]
	s_cbranch_execz .LBB6_195
; %bb.54:                               ;   in Loop: Header=BB6_47 Depth=1
	s_mov_b32 s74, 1
	s_mov_b64 s[34:35], -1
	s_mov_b64 s[30:31], 0
	v_mov_b32_e32 v13, 0
	s_branch .LBB6_57
.LBB6_55:                               ;   in Loop: Header=BB6_57 Depth=2
	s_or_b64 exec, exec, vcc
	v_add_co_u32_e32 v58, vcc, 2, v58
	v_accvgpr_read_b32 v4, a18
	v_addc_co_u32_e32 v59, vcc, 0, v59, vcc
	v_accvgpr_read_b32 v5, a19
	flat_store_dwordx2 v[4:5], v[58:59]
.LBB6_56:                               ;   in Loop: Header=BB6_57 Depth=2
	s_or_b64 exec, exec, s[26:27]
	v_add_u32_e32 v13, v0, v13
	v_cmp_ge_i32_e32 vcc, v13, v12
	s_xor_b64 s[26:27], s[34:35], -1
	s_or_b64 s[26:27], s[26:27], vcc
	s_and_b64 s[26:27], exec, s[26:27]
	s_or_b64 s[30:31], s[26:27], s[30:31]
	s_mov_b64 s[34:35], 0
	v_mov_b32_e32 v1, s74
	s_mov_b32 s74, 2
	s_andn2_b64 exec, exec, s[30:31]
	s_cbranch_execz .LBB6_194
.LBB6_57:                               ;   Parent Loop BB6_47 Depth=1
                                        ; =>  This Loop Header: Depth=2
                                        ;       Child Loop BB6_65 Depth 3
                                        ;       Child Loop BB6_89 Depth 3
	;; [unrolled: 1-line block ×9, first 2 shown]
	s_and_saveexec_b64 s[26:27], s[4:5]
	s_cbranch_execz .LBB6_59
; %bb.58:                               ;   in Loop: Header=BB6_57 Depth=2
	s_trap 2
	ds_read_b64 v[4:5], v0
	v_accvgpr_read_b32 v1, a53
	v_ashrrev_i32_e32 v6, 31, v13
	v_mov_b32_e32 v50, v51
	ds_write_b64 v0, v[50:51]
	s_waitcnt lgkmcnt(0)
	v_add_co_u32_e32 v1, vcc, v4, v1
	v_accvgpr_read_b32 v4, a60
	v_addc_co_u32_e32 v4, vcc, v5, v4, vcc
	v_add_co_u32_e32 v1, vcc, v1, v2
	v_addc_co_u32_e32 v5, vcc, v4, v3, vcc
	v_add_co_u32_e32 v4, vcc, v1, v13
	v_addc_co_u32_e32 v5, vcc, v5, v6, vcc
	ds_write_b64 v0, v[4:5]
.LBB6_59:                               ;   in Loop: Header=BB6_57 Depth=2
	s_or_b64 exec, exec, s[26:27]
	v_and_b32_e32 v1, 8, v46
	v_cmp_ne_u32_e32 vcc, 0, v1
	s_mov_b64 s[58:59], -1
	s_and_saveexec_b64 s[26:27], vcc
	s_cbranch_execz .LBB6_71
; %bb.60:                               ;   in Loop: Header=BB6_57 Depth=2
	v_accvgpr_read_b32 v4, a26
	v_accvgpr_read_b32 v5, a27
	v_add_co_u32_e32 v6, vcc, 8, v4
	v_addc_co_u32_e32 v7, vcc, 0, v5, vcc
	v_add_co_u32_e32 v4, vcc, 2, v58
	v_addc_co_u32_e32 v5, vcc, 0, v59, vcc
	v_cmp_lt_u64_e32 vcc, v[6:7], v[4:5]
	v_mov_b32_e32 v1, 1
	s_and_saveexec_b64 s[58:59], vcc
	s_cbranch_execz .LBB6_70
; %bb.61:                               ;   in Loop: Header=BB6_57 Depth=2
	s_mov_b64 s[60:61], 0
	v_mov_b32_e32 v1, 0
                                        ; implicit-def: $sgpr62_sgpr63
	s_branch .LBB6_65
.LBB6_62:                               ;   in Loop: Header=BB6_65 Depth=3
	s_or_b64 exec, exec, s[70:71]
	v_mov_b32_e32 v6, 0
	s_orn2_b64 s[68:69], s[68:69], exec
.LBB6_63:                               ;   in Loop: Header=BB6_65 Depth=3
	s_or_b64 exec, exec, s[66:67]
	s_andn2_b64 vcc, s[62:63], exec
	s_and_b64 s[62:63], s[68:69], exec
	s_or_b64 s[62:63], vcc, s[62:63]
	v_mov_b32_e32 v1, v6
.LBB6_64:                               ;   in Loop: Header=BB6_65 Depth=3
	s_or_b64 exec, exec, s[64:65]
	s_waitcnt vmcnt(0) lgkmcnt(0)
	v_accvgpr_read_b32 v6, a26
	v_accvgpr_read_b32 v7, a27
	v_add_co_u32_e32 v6, vcc, 8, v6
	v_addc_co_u32_e32 v7, vcc, 0, v7, vcc
	v_cmp_ge_u64_e32 vcc, v[6:7], v[4:5]
	s_xor_b64 s[64:65], s[62:63], -1
	s_or_b64 vcc, s[64:65], vcc
	s_and_b64 vcc, exec, vcc
	s_or_b64 s[60:61], vcc, s[60:61]
	s_andn2_b64 exec, exec, s[60:61]
	s_cbranch_execz .LBB6_69
.LBB6_65:                               ;   Parent Loop BB6_47 Depth=1
                                        ;     Parent Loop BB6_57 Depth=2
                                        ; =>    This Inner Loop Header: Depth=3
	v_accvgpr_read_b32 v6, a18
	v_accvgpr_read_b32 v7, a19
	s_sleep 1
	flat_load_dwordx2 a[26:27], v[6:7] glc
	v_and_b32_e32 v6, 64, v46
	v_cmp_eq_u32_e32 vcc, 0, v6
	s_andn2_b64 s[62:63], s[62:63], exec
	s_and_saveexec_b64 s[64:65], vcc
	s_cbranch_execz .LBB6_64
; %bb.66:                               ;   in Loop: Header=BB6_65 Depth=3
	v_add_u32_e32 v6, 1, v1
	v_cmp_lt_i32_e32 vcc, s91, v1
	s_mov_b64 s[68:69], -1
	s_and_saveexec_b64 s[66:67], vcc
	s_cbranch_execz .LBB6_63
; %bb.67:                               ;   in Loop: Header=BB6_65 Depth=3
	s_trap 2
	ds_read_b64 v[6:7], v0
	s_waitcnt vmcnt(0) lgkmcnt(0)
	flat_load_dword v1, v[6:7] glc
	s_waitcnt vmcnt(0) lgkmcnt(0)
	buffer_invl2
	buffer_wbinvl1_vol
	v_cmp_ne_u32_e32 vcc, 0, v1
	s_and_saveexec_b64 s[70:71], vcc
	s_cbranch_execz .LBB6_62
; %bb.68:                               ;   in Loop: Header=BB6_65 Depth=3
	v_or_b32_e32 v46, 64, v46
	s_xor_b64 s[68:69], exec, -1
	ds_write_b32 v0, v1
	s_trap 2
	s_branch .LBB6_62
.LBB6_69:                               ;   in Loop: Header=BB6_57 Depth=2
	s_or_b64 exec, exec, s[60:61]
	v_and_b32_e32 v1, 8, v46
.LBB6_70:                               ;   in Loop: Header=BB6_57 Depth=2
	s_or_b64 exec, exec, s[58:59]
	v_cmp_eq_u32_e32 vcc, 0, v1
	s_orn2_b64 s[58:59], vcc, exec
	;;#ASMSTART
	s_wakeup
	;;#ASMEND
.LBB6_71:                               ;   in Loop: Header=BB6_57 Depth=2
	s_or_b64 exec, exec, s[26:27]
	v_sub_u32_e32 v1, v12, v13
	s_xor_b64 s[26:27], s[58:59], -1
	v_min_i32_e32 v0, v0, v1
	s_and_saveexec_b64 s[58:59], s[26:27]
	s_cbranch_execz .LBB6_81
; %bb.72:                               ;   in Loop: Header=BB6_57 Depth=2
	v_and_b32_e32 v1, 0x100, v46
	v_cmp_ne_u32_e32 vcc, 0, v1
	v_and_b32_e32 v8, 7, v58
	s_mov_b64 s[26:27], -1
                                        ; implicit-def: $vgpr4_vgpr5
	s_and_saveexec_b64 s[60:61], vcc
	s_cbranch_execz .LBB6_76
; %bb.73:                               ;   in Loop: Header=BB6_57 Depth=2
	v_mad_u64_u32 v[6:7], s[26:27], v8, 24, v[24:25]
	flat_load_dword v4, v[6:7]
	v_ashrrev_i32_e32 v1, 31, v0
	flat_store_dwordx2 v[6:7], v[0:1] offset:8
	s_waitcnt vmcnt(0) lgkmcnt(0)
	v_cmp_ne_u32_e32 vcc, 1, v4
	v_cmp_eq_u32_e64 s[26:27], 1, v4
                                        ; implicit-def: $vgpr4_vgpr5
	s_and_saveexec_b64 s[62:63], s[26:27]
	s_cbranch_execz .LBB6_75
; %bb.74:                               ;   in Loop: Header=BB6_57 Depth=2
	flat_load_dword v4, v[6:7] offset:4 glc
	s_waitcnt vmcnt(0) lgkmcnt(0)
	v_ashrrev_i32_e32 v5, 31, v4
.LBB6_75:                               ;   in Loop: Header=BB6_57 Depth=2
	s_or_b64 exec, exec, s[62:63]
	s_orn2_b64 s[26:27], vcc, exec
.LBB6_76:                               ;   in Loop: Header=BB6_57 Depth=2
	s_or_b64 exec, exec, s[60:61]
	s_and_saveexec_b64 vcc, s[26:27]
; %bb.77:                               ;   in Loop: Header=BB6_57 Depth=2
	v_accvgpr_read_b32 v4, a20
	v_mad_i64_i32 v[4:5], s[26:27], v8, v4, 0
; %bb.78:                               ;   in Loop: Header=BB6_57 Depth=2
	s_or_b64 exec, exec, vcc
	v_accvgpr_read_b32 v6, a22
	v_accvgpr_read_b32 v7, a23
	v_add_co_u32_e32 v4, vcc, v6, v4
	v_addc_co_u32_e32 v5, vcc, v7, v5, vcc
	v_and_b32_e32 v1, 0x2000, v46
	v_cmp_ne_u32_e32 vcc, 0, v1
	ds_write_b64 v0, v[4:5] offset:784
	s_and_saveexec_b64 s[26:27], vcc
	s_cbranch_execz .LBB6_80
; %bb.79:                               ;   in Loop: Header=BB6_57 Depth=2
	ds_read_b64 v[4:5], v0 offset:584
	s_waitcnt lgkmcnt(0)
	v_add_co_u32_e32 v4, vcc, 1, v4
	v_addc_co_u32_e32 v5, vcc, 0, v5, vcc
	ds_write_b64 v0, v[4:5] offset:584
.LBB6_80:                               ;   in Loop: Header=BB6_57 Depth=2
	s_or_b64 exec, exec, s[26:27]
	v_add_co_u32_e32 v58, vcc, 2, v58
	v_addc_co_u32_e32 v59, vcc, 0, v59, vcc
.LBB6_81:                               ;   in Loop: Header=BB6_57 Depth=2
	s_or_b64 exec, exec, s[58:59]
	s_and_saveexec_b64 s[26:27], s[10:11]
	s_cbranch_execz .LBB6_100
; %bb.82:                               ;   in Loop: Header=BB6_57 Depth=2
	s_and_saveexec_b64 vcc, s[44:45]
	s_xor_b64 s[58:59], exec, vcc
	s_cbranch_execz .LBB6_97
; %bb.83:                               ;   in Loop: Header=BB6_57 Depth=2
	s_and_saveexec_b64 s[60:61], s[16:17]
	s_cbranch_execz .LBB6_96
; %bb.84:                               ;   in Loop: Header=BB6_57 Depth=2
	s_mov_b64 s[64:65], exec
	v_mbcnt_lo_u32_b32 v1, s64, 0
	v_mbcnt_hi_u32_b32 v1, s65, v1
	v_cmp_eq_u32_e32 vcc, 0, v1
	s_waitcnt vmcnt(0) lgkmcnt(0)
	buffer_wbinvl1_vol
	s_and_saveexec_b64 s[62:63], vcc
	s_cbranch_execz .LBB6_86
; %bb.85:                               ;   in Loop: Header=BB6_57 Depth=2
	s_bcnt1_i32_b64 vcc_lo, s[64:65]
	v_mov_b32_e32 v50, vcc_lo
	ds_add_u64 v0, v[50:51]
	s_trap 2
.LBB6_86:                               ;   in Loop: Header=BB6_57 Depth=2
	s_or_b64 exec, exec, s[62:63]
	s_trap 2
	ds_read_b64 v[4:5], v0
	v_accvgpr_read_b32 v6, a28
	v_accvgpr_read_b32 v7, a29
	v_add_co_u32_e32 v6, vcc, v6, v40
	v_addc_co_u32_e32 v7, vcc, 0, v7, vcc
	v_accvgpr_write_b32 a29, v7
	v_accvgpr_write_b32 a28, v6
	s_waitcnt lgkmcnt(0)
	v_cmp_lt_u64_e32 vcc, v[4:5], v[6:7]
	s_and_saveexec_b64 s[62:63], vcc
	s_cbranch_execz .LBB6_95
; %bb.87:                               ;   in Loop: Header=BB6_57 Depth=2
	s_mov_b32 s75, 0
	s_mov_b64 s[64:65], 0
                                        ; implicit-def: $sgpr66_sgpr67
                                        ; implicit-def: $sgpr68_sgpr69
	s_branch .LBB6_89
.LBB6_88:                               ;   in Loop: Header=BB6_89 Depth=3
	s_or_b64 exec, exec, s[72:73]
	s_and_b64 vcc, exec, vcc
	s_or_b64 s[64:65], vcc, s[64:65]
	s_andn2_b64 vcc, s[66:67], exec
	s_and_b64 s[50:51], s[68:69], exec
	s_or_b64 s[66:67], vcc, s[50:51]
	s_andn2_b64 exec, exec, s[64:65]
	s_cbranch_execz .LBB6_93
.LBB6_89:                               ;   Parent Loop BB6_47 Depth=1
                                        ;     Parent Loop BB6_57 Depth=2
                                        ; =>    This Inner Loop Header: Depth=3
	s_add_i32 s75, s75, 1
	s_cmpk_lg_i32 s75, 0x2710
	s_cselect_b64 s[70:71], -1, 0
	s_and_b64 vcc, exec, s[70:71]
                                        ; implicit-def: $sgpr72_sgpr73
	s_cbranch_vccnz .LBB6_91
; %bb.90:                               ;   in Loop: Header=BB6_89 Depth=3
	s_trap 2
	ds_read_b64 v[4:5], v0
	s_andn2_b64 s[70:71], s[70:71], exec
	s_mov_b32 s75, 0
	s_mov_b64 s[72:73], -1
	s_waitcnt lgkmcnt(0)
	flat_load_dword v1, v[4:5] glc
	s_waitcnt vmcnt(0) lgkmcnt(0)
	buffer_invl2
	buffer_wbinvl1_vol
	v_cmp_eq_u32_e32 vcc, 0, v1
	s_and_b64 vcc, vcc, exec
	s_or_b64 s[70:71], s[70:71], vcc
.LBB6_91:                               ;   in Loop: Header=BB6_89 Depth=3
	s_andn2_b64 s[68:69], s[68:69], exec
	s_and_b64 s[72:73], s[72:73], exec
	s_mov_b64 vcc, -1
	s_or_b64 s[68:69], s[68:69], s[72:73]
	s_and_saveexec_b64 s[72:73], s[70:71]
	s_cbranch_execz .LBB6_88
; %bb.92:                               ;   in Loop: Header=BB6_89 Depth=3
	s_sleep 1
	s_trap 2
	ds_read_b64 v[4:5], v0
	v_accvgpr_read_b32 v6, a28
	v_accvgpr_read_b32 v7, a29
	s_andn2_b64 s[68:69], s[68:69], exec
	s_waitcnt lgkmcnt(0)
	v_cmp_ge_u64_e32 vcc, v[4:5], v[6:7]
	s_orn2_b64 vcc, vcc, exec
	s_branch .LBB6_88
.LBB6_93:                               ;   in Loop: Header=BB6_57 Depth=2
	s_or_b64 exec, exec, s[64:65]
	s_and_saveexec_b64 vcc, s[66:67]
	s_xor_b64 vcc, exec, vcc
	s_cbranch_execz .LBB6_95
; %bb.94:                               ;   in Loop: Header=BB6_57 Depth=2
	v_mov_b32_e32 v1, 1
	ds_write_b32 v0, v1
	s_trap 2
.LBB6_95:                               ;   in Loop: Header=BB6_57 Depth=2
	s_or_b64 exec, exec, s[62:63]
	;;#ASMSTART
	s_wakeup
	;;#ASMEND
.LBB6_96:                               ;   in Loop: Header=BB6_57 Depth=2
	s_or_b64 exec, exec, s[60:61]
.LBB6_97:                               ;   in Loop: Header=BB6_57 Depth=2
	s_andn2_saveexec_b64 vcc, s[58:59]
	s_cbranch_execz .LBB6_99
; %bb.98:                               ;   in Loop: Header=BB6_57 Depth=2
	s_waitcnt vmcnt(0) lgkmcnt(0)
	buffer_wbinvl1_vol
	s_barrier
.LBB6_99:                               ;   in Loop: Header=BB6_57 Depth=2
	s_or_b64 exec, exec, vcc
.LBB6_100:                              ;   in Loop: Header=BB6_57 Depth=2
	s_or_b64 exec, exec, s[26:27]
	s_trap 2
	ds_read_b32 v1, v0
	v_and_b32_e32 v4, 0x4000, v46
	v_cmp_ne_u32_e32 vcc, 0, v4
	s_xor_b64 s[26:27], s[6:7], -1
	s_and_b64 vcc, s[26:27], vcc
	s_and_saveexec_b64 s[26:27], vcc
	s_cbranch_execz .LBB6_119
; %bb.101:                              ;   in Loop: Header=BB6_57 Depth=2
	s_and_saveexec_b64 vcc, s[44:45]
	s_xor_b64 s[58:59], exec, vcc
	s_cbranch_execz .LBB6_116
; %bb.102:                              ;   in Loop: Header=BB6_57 Depth=2
	s_and_saveexec_b64 s[60:61], s[16:17]
	s_cbranch_execz .LBB6_115
; %bb.103:                              ;   in Loop: Header=BB6_57 Depth=2
	s_mov_b64 s[64:65], exec
	v_mbcnt_lo_u32_b32 v4, s64, 0
	v_mbcnt_hi_u32_b32 v4, s65, v4
	v_cmp_eq_u32_e32 vcc, 0, v4
	s_waitcnt vmcnt(0) lgkmcnt(0)
	buffer_wbinvl1_vol
	s_and_saveexec_b64 s[62:63], vcc
	s_cbranch_execz .LBB6_105
; %bb.104:                              ;   in Loop: Header=BB6_57 Depth=2
	s_bcnt1_i32_b64 vcc_lo, s[64:65]
	v_mov_b32_e32 v50, vcc_lo
	ds_add_u64 v0, v[50:51]
	s_trap 2
.LBB6_105:                              ;   in Loop: Header=BB6_57 Depth=2
	s_or_b64 exec, exec, s[62:63]
	s_trap 2
	ds_read_b64 v[4:5], v0
	v_accvgpr_read_b32 v6, a28
	v_accvgpr_read_b32 v7, a29
	v_add_co_u32_e32 v6, vcc, v6, v40
	v_addc_co_u32_e32 v7, vcc, 0, v7, vcc
	v_accvgpr_write_b32 a29, v7
	v_accvgpr_write_b32 a28, v6
	s_waitcnt lgkmcnt(0)
	v_cmp_lt_u64_e32 vcc, v[4:5], v[6:7]
	s_and_saveexec_b64 s[62:63], vcc
	s_cbranch_execz .LBB6_114
; %bb.106:                              ;   in Loop: Header=BB6_57 Depth=2
	s_mov_b32 s75, 0
	s_mov_b64 s[64:65], 0
                                        ; implicit-def: $sgpr66_sgpr67
                                        ; implicit-def: $sgpr68_sgpr69
	s_branch .LBB6_108
.LBB6_107:                              ;   in Loop: Header=BB6_108 Depth=3
	s_or_b64 exec, exec, s[72:73]
	s_and_b64 vcc, exec, vcc
	s_or_b64 s[64:65], vcc, s[64:65]
	s_andn2_b64 vcc, s[66:67], exec
	s_and_b64 s[50:51], s[68:69], exec
	s_or_b64 s[66:67], vcc, s[50:51]
	s_andn2_b64 exec, exec, s[64:65]
	s_cbranch_execz .LBB6_112
.LBB6_108:                              ;   Parent Loop BB6_47 Depth=1
                                        ;     Parent Loop BB6_57 Depth=2
                                        ; =>    This Inner Loop Header: Depth=3
	s_add_i32 s75, s75, 1
	s_cmpk_lg_i32 s75, 0x2710
	s_cselect_b64 s[70:71], -1, 0
	s_and_b64 vcc, exec, s[70:71]
                                        ; implicit-def: $sgpr72_sgpr73
	s_cbranch_vccnz .LBB6_110
; %bb.109:                              ;   in Loop: Header=BB6_108 Depth=3
	s_trap 2
	ds_read_b64 v[4:5], v0
	s_andn2_b64 s[70:71], s[70:71], exec
	s_mov_b32 s75, 0
	s_mov_b64 s[72:73], -1
	s_waitcnt lgkmcnt(0)
	flat_load_dword v4, v[4:5] glc
	s_waitcnt vmcnt(0) lgkmcnt(0)
	buffer_invl2
	buffer_wbinvl1_vol
	v_cmp_eq_u32_e32 vcc, 0, v4
	s_and_b64 vcc, vcc, exec
	s_or_b64 s[70:71], s[70:71], vcc
.LBB6_110:                              ;   in Loop: Header=BB6_108 Depth=3
	s_andn2_b64 s[68:69], s[68:69], exec
	s_and_b64 s[72:73], s[72:73], exec
	s_mov_b64 vcc, -1
	s_or_b64 s[68:69], s[68:69], s[72:73]
	s_and_saveexec_b64 s[72:73], s[70:71]
	s_cbranch_execz .LBB6_107
; %bb.111:                              ;   in Loop: Header=BB6_108 Depth=3
	s_sleep 1
	s_trap 2
	ds_read_b64 v[4:5], v0
	v_accvgpr_read_b32 v6, a28
	v_accvgpr_read_b32 v7, a29
	s_andn2_b64 s[68:69], s[68:69], exec
	s_waitcnt lgkmcnt(0)
	v_cmp_ge_u64_e32 vcc, v[4:5], v[6:7]
	s_orn2_b64 vcc, vcc, exec
	s_branch .LBB6_107
.LBB6_112:                              ;   in Loop: Header=BB6_57 Depth=2
	s_or_b64 exec, exec, s[64:65]
	s_and_saveexec_b64 vcc, s[66:67]
	s_xor_b64 vcc, exec, vcc
	s_cbranch_execz .LBB6_114
; %bb.113:                              ;   in Loop: Header=BB6_57 Depth=2
	v_mov_b32_e32 v4, 1
	ds_write_b32 v0, v4
	s_trap 2
.LBB6_114:                              ;   in Loop: Header=BB6_57 Depth=2
	s_or_b64 exec, exec, s[62:63]
	;;#ASMSTART
	s_wakeup
	;;#ASMEND
.LBB6_115:                              ;   in Loop: Header=BB6_57 Depth=2
	s_or_b64 exec, exec, s[60:61]
.LBB6_116:                              ;   in Loop: Header=BB6_57 Depth=2
	s_andn2_saveexec_b64 vcc, s[58:59]
	s_cbranch_execz .LBB6_118
; %bb.117:                              ;   in Loop: Header=BB6_57 Depth=2
	s_waitcnt vmcnt(0) lgkmcnt(0)
	buffer_wbinvl1_vol
	s_barrier
.LBB6_118:                              ;   in Loop: Header=BB6_57 Depth=2
	s_or_b64 exec, exec, vcc
.LBB6_119:                              ;   in Loop: Header=BB6_57 Depth=2
	s_or_b64 exec, exec, s[26:27]
	s_trap 2
	ds_read_b64 v[4:5], v0
	v_mov_b32_e32 v14, 0
	s_waitcnt lgkmcnt(0)
	v_readfirstlane_b32 s26, v4
	v_readfirstlane_b32 s27, v5
	s_cmp_eq_u64 s[26:27], 0
	s_cselect_b64 s[26:27], -1, 0
	s_or_b64 s[26:27], s[26:27], s[26:27]
	s_and_b64 vcc, exec, s[26:27]
	s_cbranch_vccnz .LBB6_140
; %bb.120:                              ;   in Loop: Header=BB6_57 Depth=2
	s_mov_b64 s[26:27], -1
	s_and_saveexec_b64 s[58:59], s[18:19]
	s_cbranch_execz .LBB6_122
; %bb.121:                              ;   in Loop: Header=BB6_57 Depth=2
	ds_read_b32 v4, v0 offset:720
	s_waitcnt lgkmcnt(0)
	v_and_b32_e32 v4, 15, v4
	v_cmp_eq_u32_e32 vcc, 0, v4
	s_orn2_b64 s[26:27], vcc, exec
.LBB6_122:                              ;   in Loop: Header=BB6_57 Depth=2
	s_or_b64 exec, exec, s[58:59]
	s_and_saveexec_b64 s[58:59], s[20:21]
	s_cbranch_execz .LBB6_124
; %bb.123:                              ;   in Loop: Header=BB6_57 Depth=2
	ds_read_b32 v4, v0 offset:784
	s_waitcnt lgkmcnt(0)
	v_and_b32_e32 v4, 15, v4
	v_cmp_eq_u32_e32 vcc, 0, v4
	s_and_b64 vcc, s[26:27], vcc
	s_andn2_b64 s[26:27], s[26:27], exec
	s_and_b64 vcc, vcc, exec
	s_or_b64 s[26:27], s[26:27], vcc
.LBB6_124:                              ;   in Loop: Header=BB6_57 Depth=2
	s_or_b64 exec, exec, s[58:59]
	s_xor_b64 s[26:27], s[26:27], -1
	v_cmp_eq_u32_e32 vcc, 0, v1
	v_cndmask_b32_e64 v1, 0, 1, s[26:27]
	v_cndmask_b32_e32 v14, 0, v0, vcc
	;;#ASMSTART
	;;#ASMEND
	v_mov_b32_e32 v7, 0
	s_mov_b64 s[60:61], -1
	v_cmp_ne_u32_e32 vcc, 0, v1
	v_mov_b32_e32 v15, v14
	v_mov_b32_e32 v16, v45
	v_accvgpr_read_b32 v1, a37
	s_cbranch_vccz .LBB6_141
; %bb.125:                              ;   in Loop: Header=BB6_57 Depth=2
	s_and_saveexec_b64 s[26:27], s[60:61]
	s_cbranch_execz .LBB6_154
.LBB6_126:                              ;   in Loop: Header=BB6_57 Depth=2
	v_ashrrev_i32_e32 v4, 31, v15
	v_lshrrev_b32_e32 v4, 21, v4
	v_add_u32_e32 v4, v15, v4
	v_ashrrev_i32_e32 v19, 11, v4
	v_sub_u32_e32 v17, v19, v1
	v_ashrrev_i32_e32 v4, 31, v16
	v_cmp_lt_i32_e32 vcc, 0, v17
	v_lshrrev_b32_e32 v18, 26, v4
	s_and_saveexec_b64 s[58:59], vcc
	s_cbranch_execz .LBB6_130
; %bb.127:                              ;   in Loop: Header=BB6_57 Depth=2
	s_trap 2
	ds_read_b64 v[4:5], v0
	v_add_u32_e32 v6, v16, v18
	v_and_b32_e32 v6, 0xffffffc0, v6
	v_sub_u32_e32 v6, v16, v6
	v_lshlrev_b32_e32 v1, 11, v1
	v_add3_u32 v6, v7, v6, v1
	v_ashrrev_i32_e32 v1, 31, v6
	s_mov_b64 s[60:61], 0
	s_waitcnt lgkmcnt(0)
	v_pk_mov_b32 v[8:9], v[4:5], v[4:5] op_sel:[0,1]
	v_mov_b32_e32 v56, v40
	v_accvgpr_read_b32 v47, a42
	v_accvgpr_read_b32 v57, a43
.LBB6_128:                              ;   Parent Loop BB6_47 Depth=1
                                        ;     Parent Loop BB6_57 Depth=2
                                        ; =>    This Inner Loop Header: Depth=3
	v_add_co_u32_e32 v10, vcc, v6, v8
	v_addc_co_u32_e32 v11, vcc, v1, v9, vcc
	flat_load_ubyte v20, v[10:11] glc slc
	flat_load_ubyte v21, v[10:11] offset:64 glc slc
	flat_load_ubyte v22, v[10:11] offset:128 glc slc
	;; [unrolled: 1-line block ×31, first 2 shown]
	v_add_co_u32_e32 v10, vcc, v6, v4
	v_addc_co_u32_e32 v11, vcc, v1, v5, vcc
	v_add_co_u32_e32 v8, vcc, v8, v47
	v_addc_co_u32_e32 v9, vcc, v9, v57, vcc
	v_add_co_u32_e32 v4, vcc, v4, v47
	v_sub_u32_e32 v17, v17, v56
	v_addc_co_u32_e32 v5, vcc, v5, v57, vcc
	v_cmp_gt_i32_e32 vcc, 1, v17
	s_or_b64 s[60:61], vcc, s[60:61]
	s_waitcnt vmcnt(0) lgkmcnt(0)
	flat_store_byte v[10:11], v20 glc slc
	flat_store_byte v[10:11], v21 offset:64 glc slc
	flat_store_byte v[10:11], v22 offset:128 glc slc
	;; [unrolled: 1-line block ×31, first 2 shown]
	s_andn2_b64 exec, exec, s[60:61]
	s_cbranch_execnz .LBB6_128
; %bb.129:                              ;   in Loop: Header=BB6_57 Depth=2
	s_or_b64 exec, exec, s[60:61]
	v_accvgpr_read_b32 v25, a17
	v_accvgpr_read_b32 v24, a16
	v_mov_b32_e32 v40, v56
.LBB6_130:                              ;   in Loop: Header=BB6_57 Depth=2
	s_or_b64 exec, exec, s[58:59]
	v_lshlrev_b32_e32 v1, 11, v19
	v_cmp_ne_u32_e32 vcc, v15, v1
	s_mov_b64 s[58:59], exec
	s_and_b64 vcc, s[58:59], vcc
	v_accvgpr_read_b32 v9, a31
	v_accvgpr_read_b32 v19, a44
	;; [unrolled: 1-line block ×3, first 2 shown]
	s_mov_b64 exec, vcc
	s_cbranch_execz .LBB6_134
; %bb.131:                              ;   in Loop: Header=BB6_57 Depth=2
	v_add_u32_e32 v4, v16, v18
	v_and_b32_e32 v4, 0xffffffc0, v4
	v_sub_u32_e32 v4, v16, v4
	v_lshlrev_b32_e32 v5, 6, v17
	v_sub_u32_e32 v4, v4, v5
	v_add_u32_e32 v1, v1, v4
	v_sub_u32_e32 v8, v15, v1
	v_cmp_lt_i32_e32 vcc, 0, v8
	s_and_b64 exec, exec, vcc
	s_cbranch_execz .LBB6_134
; %bb.132:                              ;   in Loop: Header=BB6_57 Depth=2
	s_trap 2
	ds_read_b64 v[4:5], v0
	v_add_u32_e32 v6, v1, v7
	v_ashrrev_i32_e32 v1, 31, v6
	s_mov_b64 s[60:61], 0
.LBB6_133:                              ;   Parent Loop BB6_47 Depth=1
                                        ;     Parent Loop BB6_57 Depth=2
                                        ; =>    This Inner Loop Header: Depth=3
	s_waitcnt lgkmcnt(0)
	v_add_co_u32_e32 v10, vcc, v4, v6
	v_addc_co_u32_e32 v11, vcc, v5, v1, vcc
	flat_load_ubyte v7, v[10:11] glc slc
	v_add_co_u32_e32 v6, vcc, v6, v19
	v_sub_u32_e32 v8, v8, v9
	v_addc_co_u32_e32 v1, vcc, v1, v20, vcc
	v_cmp_gt_i32_e32 vcc, 1, v8
	s_or_b64 s[60:61], vcc, s[60:61]
	s_waitcnt vmcnt(0) lgkmcnt(0)
	flat_store_byte v[10:11], v7 glc slc
	s_andn2_b64 exec, exec, s[60:61]
	s_cbranch_execnz .LBB6_133
.LBB6_134:                              ;   in Loop: Header=BB6_57 Depth=2
	s_or_b64 exec, exec, s[58:59]
	s_or_b64 exec, exec, s[26:27]
	s_and_saveexec_b64 s[26:27], s[10:11]
	s_cbranch_execnz .LBB6_155
.LBB6_135:                              ;   in Loop: Header=BB6_57 Depth=2
	s_or_b64 exec, exec, s[26:27]
                                        ; implicit-def: $vgpr1
	s_and_saveexec_b64 s[26:27], s[24:25]
	s_xor_b64 s[58:59], exec, s[26:27]
	s_cbranch_execz .LBB6_173
.LBB6_136:                              ;   in Loop: Header=BB6_57 Depth=2
	v_and_b32_e32 v4, 16, v46
	v_cmp_lt_i32_e32 vcc, 0, v14
	v_cmp_ne_u32_e64 s[26:27], 0, v4
	v_and_b32_e32 v1, 16, v46
	s_and_b64 vcc, s[26:27], vcc
	s_and_saveexec_b64 s[26:27], vcc
	s_cbranch_execz .LBB6_138
; %bb.137:                              ;   in Loop: Header=BB6_57 Depth=2
	v_mov_b32_e32 v1, 1
	s_waitcnt vmcnt(0) lgkmcnt(0)
	buffer_wbinvl1_vol
.LBB6_138:                              ;   in Loop: Header=BB6_57 Depth=2
	s_or_b64 exec, exec, s[26:27]
	s_andn2_saveexec_b64 s[26:27], s[58:59]
	s_cbranch_execnz .LBB6_174
.LBB6_139:                              ;   in Loop: Header=BB6_57 Depth=2
	s_or_b64 exec, exec, s[26:27]
	v_cmp_ne_u32_e32 vcc, 0, v1
	s_and_saveexec_b64 s[26:27], vcc
	s_cbranch_execz .LBB6_56
	s_branch .LBB6_192
.LBB6_140:                              ;   in Loop: Header=BB6_57 Depth=2
	s_and_saveexec_b64 s[26:27], s[10:11]
	s_cbranch_execnz .LBB6_155
	s_branch .LBB6_135
.LBB6_141:                              ;   in Loop: Header=BB6_57 Depth=2
	v_ashrrev_i32_e32 v1, 31, v14
	v_lshrrev_b32_e32 v1, 20, v1
	v_add_u32_e32 v1, v14, v1
	v_ashrrev_i32_e32 v1, 12, v1
	v_accvgpr_read_b32 v4, a37
	v_sub_u32_e32 v9, v1, v4
	v_cmp_lt_i32_e32 vcc, 0, v9
	s_and_saveexec_b64 s[26:27], vcc
	s_cbranch_execz .LBB6_145
; %bb.142:                              ;   in Loop: Header=BB6_57 Depth=2
	s_trap 2
	ds_read_b64 v[4:5], v0
	buffer_load_dword v32, off, s[0:3], s33 offset:188 ; 4-byte Folded Reload
	buffer_load_dword v33, off, s[0:3], s33 offset:192 ; 4-byte Folded Reload
	s_mov_b64 s[58:59], 0
	v_accvgpr_read_b32 v8, a39
	v_accvgpr_read_b32 v15, a40
	s_waitcnt lgkmcnt(0)
	v_pk_mov_b32 v[6:7], v[4:5], v[4:5] op_sel:[0,1]
	s_waitcnt vmcnt(0)
	v_accvgpr_read_b32 v33, a49
.LBB6_143:                              ;   Parent Loop BB6_47 Depth=1
                                        ;     Parent Loop BB6_57 Depth=2
                                        ; =>    This Inner Loop Header: Depth=3
	v_add_co_u32_e32 v10, vcc, v32, v6
	v_addc_co_u32_e32 v11, vcc, v33, v7, vcc
	global_load_dwordx4 v[16:19], v[10:11], off glc slc
	global_load_dwordx4 v[20:23], v[10:11], off offset:1024 glc slc
	global_load_dwordx4 v[24:27], v[10:11], off offset:2048 glc slc
	global_load_dwordx4 v[28:31], v[10:11], off offset:3072 glc slc
	v_add_co_u32_e32 v10, vcc, v32, v4
	v_addc_co_u32_e32 v11, vcc, v33, v5, vcc
	v_add_co_u32_e32 v6, vcc, v6, v8
	v_addc_co_u32_e32 v7, vcc, v7, v15, vcc
	v_add_co_u32_e32 v4, vcc, v4, v8
	v_sub_u32_e32 v9, v9, v40
	v_addc_co_u32_e32 v5, vcc, v5, v15, vcc
	v_cmp_gt_i32_e32 vcc, 1, v9
	s_or_b64 s[58:59], vcc, s[58:59]
	s_waitcnt vmcnt(3)
	global_store_dwordx4 v[10:11], v[16:19], off glc slc
	s_waitcnt vmcnt(3)
	global_store_dwordx4 v[10:11], v[20:23], off offset:1024 glc slc
	s_waitcnt vmcnt(3)
	global_store_dwordx4 v[10:11], v[24:27], off offset:2048 glc slc
	;; [unrolled: 2-line block ×3, first 2 shown]
	s_andn2_b64 exec, exec, s[58:59]
	s_cbranch_execnz .LBB6_143
; %bb.144:                              ;   in Loop: Header=BB6_57 Depth=2
	s_or_b64 exec, exec, s[58:59]
	v_accvgpr_read_b32 v25, a17
	v_accvgpr_read_b32 v24, a16
.LBB6_145:                              ;   in Loop: Header=BB6_57 Depth=2
	s_or_b64 exec, exec, s[26:27]
	v_lshlrev_b32_e32 v8, 12, v1
	v_cmp_ne_u32_e32 vcc, v14, v8
	s_mov_b64 s[60:61], 0
	v_mov_b32_e32 v7, 0
                                        ; implicit-def: $vgpr15
                                        ; implicit-def: $vgpr16
                                        ; implicit-def: $vgpr1
	s_and_saveexec_b64 s[58:59], vcc
	s_cbranch_execz .LBB6_153
; %bb.146:                              ;   in Loop: Header=BB6_57 Depth=2
	v_lshlrev_b32_e32 v1, 6, v9
	v_accvgpr_read_b32 v5, a46
	v_sub_u32_e32 v1, v5, v1
	v_ashrrev_i32_e32 v5, 31, v1
	v_lshrrev_b32_e32 v5, 26, v5
	v_add_u32_e32 v5, v1, v5
	v_sub_u32_e32 v4, v14, v8
	v_ashrrev_i32_e32 v6, 6, v5
	v_and_b32_e32 v5, 0xffffffc0, v5
	v_sub_u32_e32 v9, v1, v5
	v_ashrrev_i32_e32 v5, 31, v4
	v_lshrrev_b32_e32 v5, 22, v5
	v_add_u32_e32 v5, v4, v5
	v_and_b32_e32 v10, 0xfffffc00, v5
	v_lshlrev_b32_e32 v1, 4, v9
	v_sub_u32_e32 v17, v4, v10
	v_lshl_add_u32 v1, v6, 10, v1
	v_ashrrev_i32_e32 v11, 10, v5
	v_cmp_lt_i32_e32 vcc, 15, v17
	v_sub_u32_e32 v7, v4, v1
	v_addc_co_u32_e64 v4, s[26:27], 0, v11, vcc
	v_sub_u32_e32 v11, v4, v6
	v_cmp_lt_i32_e64 s[26:27], 15, v7
	s_and_saveexec_b64 s[60:61], s[26:27]
	s_cbranch_execz .LBB6_150
; %bb.147:                              ;   in Loop: Header=BB6_57 Depth=2
	s_trap 2
	ds_read_b64 v[4:5], v0
	v_add_u32_e32 v6, v1, v8
	v_ashrrev_i32_e32 v1, 31, v6
	s_mov_b64 s[62:63], 0
	v_accvgpr_read_b32 v15, a34
	v_accvgpr_read_b32 v16, a47
	;; [unrolled: 1-line block ×3, first 2 shown]
.LBB6_148:                              ;   Parent Loop BB6_47 Depth=1
                                        ;     Parent Loop BB6_57 Depth=2
                                        ; =>    This Inner Loop Header: Depth=3
	s_waitcnt lgkmcnt(0)
	v_add_co_u32_e64 v22, s[26:27], v4, v6
	v_addc_co_u32_e64 v23, s[26:27], v5, v1, s[26:27]
	global_load_dwordx4 v[18:21], v[22:23], off glc slc
	v_add_co_u32_e64 v6, s[26:27], v6, v16
	v_sub_u32_e32 v7, v7, v15
	v_addc_co_u32_e64 v1, s[26:27], v1, v26, s[26:27]
	v_cmp_gt_i32_e64 s[26:27], 16, v7
	v_sub_u32_e32 v11, v11, v40
	s_or_b64 s[62:63], s[26:27], s[62:63]
	s_waitcnt vmcnt(0)
	global_store_dwordx4 v[22:23], v[18:21], off glc slc
	s_andn2_b64 exec, exec, s[62:63]
	s_cbranch_execnz .LBB6_148
; %bb.149:                              ;   in Loop: Header=BB6_57 Depth=2
	s_or_b64 exec, exec, s[62:63]
.LBB6_150:                              ;   in Loop: Header=BB6_57 Depth=2
	s_or_b64 exec, exec, s[60:61]
	v_and_b32_e32 v4, 15, v14
	v_cndmask_b32_e32 v15, v17, v4, vcc
	v_cmp_ne_u32_e64 s[26:27], 0, v15
	s_mov_b64 s[60:61], 0
	v_mov_b32_e32 v7, 0
                                        ; implicit-def: $vgpr16
                                        ; implicit-def: $vgpr1
	s_and_saveexec_b64 s[62:63], s[26:27]
	s_cbranch_execz .LBB6_152
; %bb.151:                              ;   in Loop: Header=BB6_57 Depth=2
	v_sub_u32_e32 v1, v17, v4
	v_cndmask_b32_e32 v1, 0, v1, vcc
	v_cmp_lt_i32_e32 vcc, 0, v11
	v_add3_u32 v7, v10, v8, v1
	v_cndmask_b32_e32 v1, 0, v40, vcc
	v_sub_u32_e32 v1, v1, v11
	v_lshl_add_u32 v16, v1, 6, v9
	v_ashrrev_i32_e32 v1, 31, v16
	v_lshrrev_b32_e32 v1, 26, v1
	v_add_u32_e32 v1, v16, v1
	s_mov_b64 s[60:61], exec
	v_ashrrev_i32_e32 v1, 6, v1
.LBB6_152:                              ;   in Loop: Header=BB6_57 Depth=2
	s_or_b64 exec, exec, s[62:63]
	s_and_b64 s[60:61], s[60:61], exec
.LBB6_153:                              ;   in Loop: Header=BB6_57 Depth=2
	s_or_b64 exec, exec, s[58:59]
	s_and_saveexec_b64 s[26:27], s[60:61]
	s_cbranch_execnz .LBB6_126
.LBB6_154:                              ;   in Loop: Header=BB6_57 Depth=2
	s_or_b64 exec, exec, s[26:27]
	s_and_saveexec_b64 s[26:27], s[10:11]
	s_cbranch_execz .LBB6_135
.LBB6_155:                              ;   in Loop: Header=BB6_57 Depth=2
	s_and_saveexec_b64 vcc, s[44:45]
	s_xor_b64 s[58:59], exec, vcc
	s_cbranch_execz .LBB6_170
; %bb.156:                              ;   in Loop: Header=BB6_57 Depth=2
	s_and_saveexec_b64 s[60:61], s[16:17]
	s_cbranch_execz .LBB6_169
; %bb.157:                              ;   in Loop: Header=BB6_57 Depth=2
	s_mov_b64 s[64:65], exec
	v_mbcnt_lo_u32_b32 v1, s64, 0
	v_mbcnt_hi_u32_b32 v1, s65, v1
	v_cmp_eq_u32_e32 vcc, 0, v1
	s_waitcnt vmcnt(0) lgkmcnt(0)
	buffer_wbinvl1_vol
	s_and_saveexec_b64 s[62:63], vcc
	s_cbranch_execz .LBB6_159
; %bb.158:                              ;   in Loop: Header=BB6_57 Depth=2
	s_bcnt1_i32_b64 vcc_lo, s[64:65]
	v_mov_b32_e32 v50, vcc_lo
	ds_add_u64 v0, v[50:51]
	s_trap 2
.LBB6_159:                              ;   in Loop: Header=BB6_57 Depth=2
	s_or_b64 exec, exec, s[62:63]
	s_trap 2
	ds_read_b64 v[4:5], v0
	v_accvgpr_read_b32 v6, a28
	v_accvgpr_read_b32 v7, a29
	v_add_co_u32_e32 v6, vcc, v6, v40
	v_addc_co_u32_e32 v7, vcc, 0, v7, vcc
	v_accvgpr_write_b32 a29, v7
	v_accvgpr_write_b32 a28, v6
	s_waitcnt lgkmcnt(0)
	v_cmp_lt_u64_e32 vcc, v[4:5], v[6:7]
	s_and_saveexec_b64 s[62:63], vcc
	s_cbranch_execz .LBB6_168
; %bb.160:                              ;   in Loop: Header=BB6_57 Depth=2
	s_mov_b32 s75, 0
	s_mov_b64 s[64:65], 0
                                        ; implicit-def: $sgpr66_sgpr67
                                        ; implicit-def: $sgpr68_sgpr69
	s_branch .LBB6_162
.LBB6_161:                              ;   in Loop: Header=BB6_162 Depth=3
	s_or_b64 exec, exec, s[72:73]
	s_and_b64 vcc, exec, vcc
	s_or_b64 s[64:65], vcc, s[64:65]
	s_andn2_b64 vcc, s[66:67], exec
	s_and_b64 s[50:51], s[68:69], exec
	s_or_b64 s[66:67], vcc, s[50:51]
	s_andn2_b64 exec, exec, s[64:65]
	s_cbranch_execz .LBB6_166
.LBB6_162:                              ;   Parent Loop BB6_47 Depth=1
                                        ;     Parent Loop BB6_57 Depth=2
                                        ; =>    This Inner Loop Header: Depth=3
	s_add_i32 s75, s75, 1
	s_cmpk_lg_i32 s75, 0x2710
	s_cselect_b64 s[70:71], -1, 0
	s_and_b64 vcc, exec, s[70:71]
                                        ; implicit-def: $sgpr72_sgpr73
	s_cbranch_vccnz .LBB6_164
; %bb.163:                              ;   in Loop: Header=BB6_162 Depth=3
	s_trap 2
	ds_read_b64 v[4:5], v0
	s_andn2_b64 s[70:71], s[70:71], exec
	s_mov_b32 s75, 0
	s_mov_b64 s[72:73], -1
	s_waitcnt lgkmcnt(0)
	flat_load_dword v1, v[4:5] glc
	s_waitcnt vmcnt(0) lgkmcnt(0)
	buffer_invl2
	buffer_wbinvl1_vol
	v_cmp_eq_u32_e32 vcc, 0, v1
	s_and_b64 vcc, vcc, exec
	s_or_b64 s[70:71], s[70:71], vcc
.LBB6_164:                              ;   in Loop: Header=BB6_162 Depth=3
	s_andn2_b64 s[68:69], s[68:69], exec
	s_and_b64 s[72:73], s[72:73], exec
	s_mov_b64 vcc, -1
	s_or_b64 s[68:69], s[68:69], s[72:73]
	s_and_saveexec_b64 s[72:73], s[70:71]
	s_cbranch_execz .LBB6_161
; %bb.165:                              ;   in Loop: Header=BB6_162 Depth=3
	s_sleep 1
	s_trap 2
	ds_read_b64 v[4:5], v0
	v_accvgpr_read_b32 v6, a28
	v_accvgpr_read_b32 v7, a29
	s_andn2_b64 s[68:69], s[68:69], exec
	s_waitcnt lgkmcnt(0)
	v_cmp_ge_u64_e32 vcc, v[4:5], v[6:7]
	s_orn2_b64 vcc, vcc, exec
	s_branch .LBB6_161
.LBB6_166:                              ;   in Loop: Header=BB6_57 Depth=2
	s_or_b64 exec, exec, s[64:65]
	s_and_saveexec_b64 vcc, s[66:67]
	s_xor_b64 vcc, exec, vcc
	s_cbranch_execz .LBB6_168
; %bb.167:                              ;   in Loop: Header=BB6_57 Depth=2
	v_mov_b32_e32 v1, 1
	ds_write_b32 v0, v1
	s_trap 2
.LBB6_168:                              ;   in Loop: Header=BB6_57 Depth=2
	s_or_b64 exec, exec, s[62:63]
	;;#ASMSTART
	s_wakeup
	;;#ASMEND
.LBB6_169:                              ;   in Loop: Header=BB6_57 Depth=2
	s_or_b64 exec, exec, s[60:61]
.LBB6_170:                              ;   in Loop: Header=BB6_57 Depth=2
	s_andn2_saveexec_b64 vcc, s[58:59]
	s_cbranch_execz .LBB6_172
; %bb.171:                              ;   in Loop: Header=BB6_57 Depth=2
	s_waitcnt vmcnt(0) lgkmcnt(0)
	buffer_wbinvl1_vol
	s_barrier
.LBB6_172:                              ;   in Loop: Header=BB6_57 Depth=2
	s_or_b64 exec, exec, vcc
	s_or_b64 exec, exec, s[26:27]
                                        ; implicit-def: $vgpr1
	s_and_saveexec_b64 s[26:27], s[24:25]
	s_xor_b64 s[58:59], exec, s[26:27]
	s_cbranch_execnz .LBB6_136
.LBB6_173:                              ;   in Loop: Header=BB6_57 Depth=2
	s_andn2_saveexec_b64 s[26:27], s[58:59]
	s_cbranch_execz .LBB6_139
.LBB6_174:                              ;   in Loop: Header=BB6_57 Depth=2
	s_and_saveexec_b64 vcc, s[44:45]
	s_xor_b64 s[58:59], exec, vcc
	s_cbranch_execz .LBB6_189
; %bb.175:                              ;   in Loop: Header=BB6_57 Depth=2
	s_and_saveexec_b64 s[60:61], s[16:17]
	s_cbranch_execz .LBB6_188
; %bb.176:                              ;   in Loop: Header=BB6_57 Depth=2
	s_mov_b64 s[64:65], exec
	v_mbcnt_lo_u32_b32 v1, s64, 0
	v_mbcnt_hi_u32_b32 v1, s65, v1
	v_cmp_eq_u32_e32 vcc, 0, v1
	;;#ASMSTART
	s_waitcnt lgkmcnt(0) vmcnt(0)
	;;#ASMEND
	s_and_saveexec_b64 s[62:63], vcc
	s_cbranch_execz .LBB6_178
; %bb.177:                              ;   in Loop: Header=BB6_57 Depth=2
	s_bcnt1_i32_b64 vcc_lo, s[64:65]
	v_mov_b32_e32 v50, vcc_lo
	ds_add_u64 v0, v[50:51]
	s_trap 2
.LBB6_178:                              ;   in Loop: Header=BB6_57 Depth=2
	s_or_b64 exec, exec, s[62:63]
	s_trap 2
	ds_read_b64 v[4:5], v0
	v_accvgpr_read_b32 v6, a28
	v_accvgpr_read_b32 v7, a29
	v_add_co_u32_e32 v6, vcc, v6, v40
	v_addc_co_u32_e32 v7, vcc, 0, v7, vcc
	v_accvgpr_write_b32 a29, v7
	v_accvgpr_write_b32 a28, v6
	s_waitcnt lgkmcnt(0)
	v_cmp_lt_u64_e32 vcc, v[4:5], v[6:7]
	s_and_saveexec_b64 s[62:63], vcc
	s_cbranch_execz .LBB6_187
; %bb.179:                              ;   in Loop: Header=BB6_57 Depth=2
	s_mov_b32 s75, 0
	s_mov_b64 s[64:65], 0
                                        ; implicit-def: $sgpr66_sgpr67
                                        ; implicit-def: $sgpr68_sgpr69
	s_branch .LBB6_181
.LBB6_180:                              ;   in Loop: Header=BB6_181 Depth=3
	s_or_b64 exec, exec, s[72:73]
	s_and_b64 vcc, exec, vcc
	s_or_b64 s[64:65], vcc, s[64:65]
	s_andn2_b64 vcc, s[66:67], exec
	s_and_b64 s[50:51], s[68:69], exec
	s_or_b64 s[66:67], vcc, s[50:51]
	s_andn2_b64 exec, exec, s[64:65]
	s_cbranch_execz .LBB6_185
.LBB6_181:                              ;   Parent Loop BB6_47 Depth=1
                                        ;     Parent Loop BB6_57 Depth=2
                                        ; =>    This Inner Loop Header: Depth=3
	s_add_i32 s75, s75, 1
	s_cmpk_lg_i32 s75, 0x2710
	s_cselect_b64 s[70:71], -1, 0
	s_and_b64 vcc, exec, s[70:71]
                                        ; implicit-def: $sgpr72_sgpr73
	s_cbranch_vccnz .LBB6_183
; %bb.182:                              ;   in Loop: Header=BB6_181 Depth=3
	s_trap 2
	ds_read_b64 v[4:5], v0
	s_andn2_b64 s[70:71], s[70:71], exec
	s_mov_b32 s75, 0
	s_mov_b64 s[72:73], -1
	s_waitcnt vmcnt(0) lgkmcnt(0)
	flat_load_dword v1, v[4:5] glc
	s_waitcnt vmcnt(0) lgkmcnt(0)
	buffer_invl2
	buffer_wbinvl1_vol
	v_cmp_eq_u32_e32 vcc, 0, v1
	s_and_b64 vcc, vcc, exec
	s_or_b64 s[70:71], s[70:71], vcc
.LBB6_183:                              ;   in Loop: Header=BB6_181 Depth=3
	s_andn2_b64 s[68:69], s[68:69], exec
	s_and_b64 s[72:73], s[72:73], exec
	s_mov_b64 vcc, -1
	s_or_b64 s[68:69], s[68:69], s[72:73]
	s_and_saveexec_b64 s[72:73], s[70:71]
	s_cbranch_execz .LBB6_180
; %bb.184:                              ;   in Loop: Header=BB6_181 Depth=3
	s_sleep 1
	s_trap 2
	ds_read_b64 v[4:5], v0
	v_accvgpr_read_b32 v6, a28
	v_accvgpr_read_b32 v7, a29
	s_andn2_b64 s[68:69], s[68:69], exec
	s_waitcnt lgkmcnt(0)
	v_cmp_ge_u64_e32 vcc, v[4:5], v[6:7]
	s_orn2_b64 vcc, vcc, exec
	s_branch .LBB6_180
.LBB6_185:                              ;   in Loop: Header=BB6_57 Depth=2
	s_or_b64 exec, exec, s[64:65]
	s_and_saveexec_b64 vcc, s[66:67]
	s_xor_b64 vcc, exec, vcc
	s_cbranch_execz .LBB6_187
; %bb.186:                              ;   in Loop: Header=BB6_57 Depth=2
	v_mov_b32_e32 v1, 1
	ds_write_b32 v0, v1
	s_trap 2
.LBB6_187:                              ;   in Loop: Header=BB6_57 Depth=2
	s_or_b64 exec, exec, s[62:63]
	;;#ASMSTART
	s_wakeup
	;;#ASMEND
.LBB6_188:                              ;   in Loop: Header=BB6_57 Depth=2
	s_or_b64 exec, exec, s[60:61]
.LBB6_189:                              ;   in Loop: Header=BB6_57 Depth=2
	s_andn2_saveexec_b64 vcc, s[58:59]
	s_cbranch_execz .LBB6_191
; %bb.190:                              ;   in Loop: Header=BB6_57 Depth=2
	;;#ASMSTART
	s_waitcnt lgkmcnt(0) vmcnt(0)
	;;#ASMEND
	s_barrier
.LBB6_191:                              ;   in Loop: Header=BB6_57 Depth=2
	s_or_b64 exec, exec, vcc
	v_and_b32_e32 v1, 16, v46
	s_or_b64 exec, exec, s[26:27]
	v_cmp_ne_u32_e32 vcc, 0, v1
	s_and_saveexec_b64 s[26:27], vcc
	s_cbranch_execz .LBB6_56
.LBB6_192:                              ;   in Loop: Header=BB6_57 Depth=2
	v_readlane_b32 s50, v61, 8
	v_readlane_b32 s51, v61, 9
	s_and_saveexec_b64 vcc, s[50:51]
	s_cbranch_execz .LBB6_55
; %bb.193:                              ;   in Loop: Header=BB6_57 Depth=2
	v_accvgpr_read_b32 v4, a24
	v_accvgpr_read_b32 v5, a25
	v_mov_b32_e32 v1, 1
	flat_store_dword v[4:5], v1
	s_branch .LBB6_55
.LBB6_194:                              ;   in Loop: Header=BB6_47 Depth=1
	s_or_b64 exec, exec, s[30:31]
.LBB6_195:                              ;   in Loop: Header=BB6_47 Depth=1
	s_or_b64 exec, exec, s[28:29]
	v_cmp_gt_i32_e32 vcc, 2, v1
	s_and_saveexec_b64 s[28:29], vcc
	s_cbranch_execz .LBB6_267
; %bb.196:                              ;   in Loop: Header=BB6_47 Depth=1
	v_cmp_eq_u32_e64 s[26:27], 0, v1
	s_mov_b64 s[30:31], 0
	s_branch .LBB6_199
.LBB6_197:                              ;   in Loop: Header=BB6_199 Depth=2
	s_or_b64 exec, exec, vcc
	v_add_co_u32_e32 v58, vcc, 2, v58
	v_accvgpr_read_b32 v2, a18
	v_addc_co_u32_e32 v59, vcc, 0, v59, vcc
	v_accvgpr_read_b32 v3, a19
	flat_store_dwordx2 v[2:3], v[58:59]
.LBB6_198:                              ;   in Loop: Header=BB6_199 Depth=2
	s_or_b64 exec, exec, s[26:27]
	v_add_u32_e32 v13, v0, v13
	s_mov_b64 s[26:27], 0
	s_andn2_b64 exec, exec, s[30:31]
	s_cbranch_execz .LBB6_266
.LBB6_199:                              ;   Parent Loop BB6_47 Depth=1
                                        ; =>  This Loop Header: Depth=2
                                        ;       Child Loop BB6_205 Depth 3
                                        ;       Child Loop BB6_234 Depth 3
                                        ;       Child Loop BB6_253 Depth 3
	v_and_b32_e32 v1, 8, v46
	s_mov_b64 s[58:59], -1
	v_cmp_ne_u32_e32 vcc, 0, v1
	s_and_saveexec_b64 s[34:35], vcc
	s_cbranch_execz .LBB6_211
; %bb.200:                              ;   in Loop: Header=BB6_199 Depth=2
	v_accvgpr_read_b32 v2, a26
	v_accvgpr_read_b32 v3, a27
	v_add_co_u32_e32 v4, vcc, 8, v2
	v_addc_co_u32_e32 v5, vcc, 0, v3, vcc
	v_add_co_u32_e32 v2, vcc, 2, v58
	v_addc_co_u32_e32 v3, vcc, 0, v59, vcc
	v_cmp_lt_u64_e32 vcc, v[4:5], v[2:3]
	v_mov_b32_e32 v1, 1
	s_and_saveexec_b64 s[58:59], vcc
	s_cbranch_execz .LBB6_210
; %bb.201:                              ;   in Loop: Header=BB6_199 Depth=2
	s_mov_b64 s[60:61], 0
	v_mov_b32_e32 v1, 0
                                        ; implicit-def: $sgpr62_sgpr63
	s_branch .LBB6_205
.LBB6_202:                              ;   in Loop: Header=BB6_205 Depth=3
	s_or_b64 exec, exec, s[70:71]
	v_mov_b32_e32 v4, 0
	s_orn2_b64 s[68:69], s[68:69], exec
.LBB6_203:                              ;   in Loop: Header=BB6_205 Depth=3
	s_or_b64 exec, exec, s[66:67]
	s_andn2_b64 vcc, s[62:63], exec
	s_and_b64 s[62:63], s[68:69], exec
	s_or_b64 s[62:63], vcc, s[62:63]
	v_mov_b32_e32 v1, v4
.LBB6_204:                              ;   in Loop: Header=BB6_205 Depth=3
	s_or_b64 exec, exec, s[64:65]
	s_waitcnt vmcnt(0) lgkmcnt(0)
	v_accvgpr_read_b32 v4, a26
	v_accvgpr_read_b32 v5, a27
	v_add_co_u32_e32 v4, vcc, 8, v4
	v_addc_co_u32_e32 v5, vcc, 0, v5, vcc
	v_cmp_ge_u64_e32 vcc, v[4:5], v[2:3]
	s_xor_b64 s[64:65], s[62:63], -1
	s_or_b64 vcc, s[64:65], vcc
	s_and_b64 vcc, exec, vcc
	s_or_b64 s[60:61], vcc, s[60:61]
	s_andn2_b64 exec, exec, s[60:61]
	s_cbranch_execz .LBB6_209
.LBB6_205:                              ;   Parent Loop BB6_47 Depth=1
                                        ;     Parent Loop BB6_199 Depth=2
                                        ; =>    This Inner Loop Header: Depth=3
	v_accvgpr_read_b32 v4, a18
	v_accvgpr_read_b32 v5, a19
	s_sleep 1
	flat_load_dwordx2 a[26:27], v[4:5] glc
	v_and_b32_e32 v4, 64, v46
	v_cmp_eq_u32_e32 vcc, 0, v4
	s_andn2_b64 s[62:63], s[62:63], exec
	s_and_saveexec_b64 s[64:65], vcc
	s_cbranch_execz .LBB6_204
; %bb.206:                              ;   in Loop: Header=BB6_205 Depth=3
	v_add_u32_e32 v4, 1, v1
	v_cmp_lt_i32_e32 vcc, s91, v1
	s_mov_b64 s[68:69], -1
	s_and_saveexec_b64 s[66:67], vcc
	s_cbranch_execz .LBB6_203
; %bb.207:                              ;   in Loop: Header=BB6_205 Depth=3
	s_trap 2
	ds_read_b64 v[4:5], v0
	s_waitcnt vmcnt(0) lgkmcnt(0)
	flat_load_dword v1, v[4:5] glc
	s_waitcnt vmcnt(0) lgkmcnt(0)
	buffer_invl2
	buffer_wbinvl1_vol
	v_cmp_ne_u32_e32 vcc, 0, v1
	s_and_saveexec_b64 s[70:71], vcc
	s_cbranch_execz .LBB6_202
; %bb.208:                              ;   in Loop: Header=BB6_205 Depth=3
	v_or_b32_e32 v46, 64, v46
	s_xor_b64 s[68:69], exec, -1
	ds_write_b32 v0, v1
	s_trap 2
	s_branch .LBB6_202
.LBB6_209:                              ;   in Loop: Header=BB6_199 Depth=2
	s_or_b64 exec, exec, s[60:61]
	v_and_b32_e32 v1, 8, v46
.LBB6_210:                              ;   in Loop: Header=BB6_199 Depth=2
	s_or_b64 exec, exec, s[58:59]
	v_cmp_eq_u32_e32 vcc, 0, v1
	s_orn2_b64 s[58:59], vcc, exec
	;;#ASMSTART
	s_wakeup
	;;#ASMEND
.LBB6_211:                              ;   in Loop: Header=BB6_199 Depth=2
	s_or_b64 exec, exec, s[34:35]
	s_xor_b64 s[26:27], s[26:27], -1
	s_and_b64 s[26:27], exec, s[26:27]
	s_or_b64 s[30:31], s[26:27], s[30:31]
	v_sub_u32_e32 v1, v12, v13
	s_xor_b64 s[26:27], s[58:59], -1
	v_min_i32_e32 v0, v0, v1
	s_and_saveexec_b64 s[34:35], s[26:27]
	s_cbranch_execz .LBB6_226
; %bb.212:                              ;   in Loop: Header=BB6_199 Depth=2
	v_and_b32_e32 v1, 0x100, v46
	v_cmp_ne_u32_e32 vcc, 0, v1
	v_and_b32_e32 v6, 7, v58
	s_mov_b64 s[26:27], -1
                                        ; implicit-def: $vgpr2_vgpr3
	s_and_saveexec_b64 s[58:59], vcc
	s_cbranch_execz .LBB6_216
; %bb.213:                              ;   in Loop: Header=BB6_199 Depth=2
	v_mad_u64_u32 v[4:5], s[26:27], v6, 24, v[24:25]
	flat_load_dword v2, v[4:5]
	v_ashrrev_i32_e32 v1, 31, v0
	flat_store_dwordx2 v[4:5], v[0:1] offset:8
	s_waitcnt vmcnt(0) lgkmcnt(0)
	v_cmp_ne_u32_e32 vcc, 1, v2
	v_cmp_eq_u32_e64 s[26:27], 1, v2
                                        ; implicit-def: $vgpr2_vgpr3
	s_and_saveexec_b64 s[60:61], s[26:27]
	s_cbranch_execz .LBB6_215
; %bb.214:                              ;   in Loop: Header=BB6_199 Depth=2
	flat_load_dword v2, v[4:5] offset:4 glc
	s_waitcnt vmcnt(0) lgkmcnt(0)
	v_ashrrev_i32_e32 v3, 31, v2
.LBB6_215:                              ;   in Loop: Header=BB6_199 Depth=2
	s_or_b64 exec, exec, s[60:61]
	s_orn2_b64 s[26:27], vcc, exec
.LBB6_216:                              ;   in Loop: Header=BB6_199 Depth=2
	s_or_b64 exec, exec, s[58:59]
	s_and_saveexec_b64 vcc, s[26:27]
; %bb.217:                              ;   in Loop: Header=BB6_199 Depth=2
	v_accvgpr_read_b32 v2, a20
	v_mad_i64_i32 v[2:3], s[26:27], v6, v2, 0
; %bb.218:                              ;   in Loop: Header=BB6_199 Depth=2
	s_or_b64 exec, exec, vcc
	v_accvgpr_read_b32 v4, a22
	v_accvgpr_read_b32 v5, a23
	v_add_co_u32_e32 v2, vcc, v4, v2
	v_addc_co_u32_e32 v3, vcc, v5, v3, vcc
	v_and_b32_e32 v1, 0x2000, v46
	v_cmp_ne_u32_e32 vcc, 0, v1
	ds_write_b64 v0, v[2:3] offset:784
	s_and_saveexec_b64 s[26:27], vcc
	s_cbranch_execz .LBB6_220
; %bb.219:                              ;   in Loop: Header=BB6_199 Depth=2
	ds_read_b64 v[2:3], v0 offset:584
	s_waitcnt lgkmcnt(0)
	v_add_co_u32_e32 v2, vcc, 1, v2
	v_addc_co_u32_e32 v3, vcc, 0, v3, vcc
	ds_write_b64 v0, v[2:3] offset:584
.LBB6_220:                              ;   in Loop: Header=BB6_199 Depth=2
	s_or_b64 exec, exec, s[26:27]
	v_add_co_u32_e32 v58, vcc, 2, v58
	v_addc_co_u32_e32 v59, vcc, 0, v59, vcc
	s_or_b64 exec, exec, s[34:35]
	s_and_saveexec_b64 s[26:27], s[10:11]
	s_cbranch_execnz .LBB6_227
.LBB6_221:                              ;   in Loop: Header=BB6_199 Depth=2
	s_or_b64 exec, exec, s[26:27]
                                        ; implicit-def: $vgpr1
	s_and_saveexec_b64 s[26:27], s[24:25]
	s_xor_b64 s[26:27], exec, s[26:27]
	s_cbranch_execz .LBB6_245
.LBB6_222:                              ;   in Loop: Header=BB6_199 Depth=2
	s_trap 2
	ds_read_b32 v2, v0
	v_cmp_lt_i32_e32 vcc, 0, v0
	v_and_b32_e32 v3, 16, v46
	v_and_b32_e32 v1, 16, v46
	s_waitcnt lgkmcnt(0)
	v_readfirstlane_b32 s34, v2
	s_cmp_eq_u32 s34, 0
	s_cselect_b64 s[34:35], -1, 0
	s_and_b64 s[34:35], vcc, s[34:35]
	v_cmp_ne_u32_e32 vcc, 0, v3
	s_and_b64 s[34:35], vcc, s[34:35]
	s_and_saveexec_b64 vcc, s[34:35]
	s_cbranch_execz .LBB6_224
; %bb.223:                              ;   in Loop: Header=BB6_199 Depth=2
	v_mov_b32_e32 v1, 1
	s_waitcnt vmcnt(0)
	buffer_wbinvl1_vol
.LBB6_224:                              ;   in Loop: Header=BB6_199 Depth=2
	s_or_b64 exec, exec, vcc
	s_andn2_saveexec_b64 s[26:27], s[26:27]
	s_cbranch_execnz .LBB6_246
.LBB6_225:                              ;   in Loop: Header=BB6_199 Depth=2
	s_or_b64 exec, exec, s[26:27]
	v_cmp_ne_u32_e32 vcc, 0, v1
	s_and_saveexec_b64 s[26:27], vcc
	s_cbranch_execz .LBB6_198
	s_branch .LBB6_264
.LBB6_226:                              ;   in Loop: Header=BB6_199 Depth=2
	s_or_b64 exec, exec, s[34:35]
	s_and_saveexec_b64 s[26:27], s[10:11]
	s_cbranch_execz .LBB6_221
.LBB6_227:                              ;   in Loop: Header=BB6_199 Depth=2
	s_and_saveexec_b64 vcc, s[44:45]
	s_xor_b64 s[34:35], exec, vcc
	s_cbranch_execz .LBB6_242
; %bb.228:                              ;   in Loop: Header=BB6_199 Depth=2
	s_and_saveexec_b64 s[58:59], s[16:17]
	s_cbranch_execz .LBB6_241
; %bb.229:                              ;   in Loop: Header=BB6_199 Depth=2
	s_mov_b64 s[62:63], exec
	v_mbcnt_lo_u32_b32 v1, s62, 0
	v_mbcnt_hi_u32_b32 v1, s63, v1
	v_cmp_eq_u32_e32 vcc, 0, v1
	s_waitcnt vmcnt(0) lgkmcnt(0)
	buffer_wbinvl1_vol
	s_and_saveexec_b64 s[60:61], vcc
	s_cbranch_execz .LBB6_231
; %bb.230:                              ;   in Loop: Header=BB6_199 Depth=2
	s_bcnt1_i32_b64 vcc_lo, s[62:63]
	v_mov_b32_e32 v50, vcc_lo
	ds_add_u64 v0, v[50:51]
	s_trap 2
.LBB6_231:                              ;   in Loop: Header=BB6_199 Depth=2
	s_or_b64 exec, exec, s[60:61]
	s_trap 2
	ds_read_b64 v[2:3], v0
	v_accvgpr_read_b32 v4, a28
	v_accvgpr_read_b32 v5, a29
	v_add_co_u32_e32 v4, vcc, v4, v40
	v_addc_co_u32_e32 v5, vcc, 0, v5, vcc
	v_accvgpr_write_b32 a29, v5
	v_accvgpr_write_b32 a28, v4
	s_waitcnt lgkmcnt(0)
	v_cmp_lt_u64_e32 vcc, v[2:3], v[4:5]
	s_and_saveexec_b64 s[60:61], vcc
	s_cbranch_execz .LBB6_240
; %bb.232:                              ;   in Loop: Header=BB6_199 Depth=2
	s_mov_b32 s72, 0
	s_mov_b64 s[62:63], 0
                                        ; implicit-def: $sgpr64_sgpr65
                                        ; implicit-def: $sgpr66_sgpr67
	s_branch .LBB6_234
.LBB6_233:                              ;   in Loop: Header=BB6_234 Depth=3
	s_or_b64 exec, exec, s[70:71]
	s_and_b64 vcc, exec, vcc
	s_or_b64 s[62:63], vcc, s[62:63]
	s_andn2_b64 vcc, s[64:65], exec
	s_and_b64 s[50:51], s[66:67], exec
	s_or_b64 s[64:65], vcc, s[50:51]
	s_andn2_b64 exec, exec, s[62:63]
	s_cbranch_execz .LBB6_238
.LBB6_234:                              ;   Parent Loop BB6_47 Depth=1
                                        ;     Parent Loop BB6_199 Depth=2
                                        ; =>    This Inner Loop Header: Depth=3
	s_add_i32 s72, s72, 1
	s_cmpk_lg_i32 s72, 0x2710
	s_cselect_b64 s[68:69], -1, 0
	s_and_b64 vcc, exec, s[68:69]
                                        ; implicit-def: $sgpr70_sgpr71
	s_cbranch_vccnz .LBB6_236
; %bb.235:                              ;   in Loop: Header=BB6_234 Depth=3
	s_trap 2
	ds_read_b64 v[2:3], v0
	s_andn2_b64 s[68:69], s[68:69], exec
	s_mov_b32 s72, 0
	s_mov_b64 s[70:71], -1
	s_waitcnt lgkmcnt(0)
	flat_load_dword v1, v[2:3] glc
	s_waitcnt vmcnt(0) lgkmcnt(0)
	buffer_invl2
	buffer_wbinvl1_vol
	v_cmp_eq_u32_e32 vcc, 0, v1
	s_and_b64 vcc, vcc, exec
	s_or_b64 s[68:69], s[68:69], vcc
.LBB6_236:                              ;   in Loop: Header=BB6_234 Depth=3
	s_andn2_b64 s[66:67], s[66:67], exec
	s_and_b64 s[70:71], s[70:71], exec
	s_mov_b64 vcc, -1
	s_or_b64 s[66:67], s[66:67], s[70:71]
	s_and_saveexec_b64 s[70:71], s[68:69]
	s_cbranch_execz .LBB6_233
; %bb.237:                              ;   in Loop: Header=BB6_234 Depth=3
	s_sleep 1
	s_trap 2
	ds_read_b64 v[2:3], v0
	v_accvgpr_read_b32 v4, a28
	v_accvgpr_read_b32 v5, a29
	s_andn2_b64 s[66:67], s[66:67], exec
	s_waitcnt lgkmcnt(0)
	v_cmp_ge_u64_e32 vcc, v[2:3], v[4:5]
	s_orn2_b64 vcc, vcc, exec
	s_branch .LBB6_233
.LBB6_238:                              ;   in Loop: Header=BB6_199 Depth=2
	s_or_b64 exec, exec, s[62:63]
	s_and_saveexec_b64 vcc, s[64:65]
	s_xor_b64 vcc, exec, vcc
	s_cbranch_execz .LBB6_240
; %bb.239:                              ;   in Loop: Header=BB6_199 Depth=2
	v_mov_b32_e32 v1, 1
	ds_write_b32 v0, v1
	s_trap 2
.LBB6_240:                              ;   in Loop: Header=BB6_199 Depth=2
	s_or_b64 exec, exec, s[60:61]
	;;#ASMSTART
	s_wakeup
	;;#ASMEND
.LBB6_241:                              ;   in Loop: Header=BB6_199 Depth=2
	s_or_b64 exec, exec, s[58:59]
.LBB6_242:                              ;   in Loop: Header=BB6_199 Depth=2
	s_andn2_saveexec_b64 vcc, s[34:35]
	s_cbranch_execz .LBB6_244
; %bb.243:                              ;   in Loop: Header=BB6_199 Depth=2
	s_waitcnt vmcnt(0) lgkmcnt(0)
	buffer_wbinvl1_vol
	s_barrier
.LBB6_244:                              ;   in Loop: Header=BB6_199 Depth=2
	s_or_b64 exec, exec, vcc
	s_or_b64 exec, exec, s[26:27]
                                        ; implicit-def: $vgpr1
	s_and_saveexec_b64 s[26:27], s[24:25]
	s_xor_b64 s[26:27], exec, s[26:27]
	s_cbranch_execnz .LBB6_222
.LBB6_245:                              ;   in Loop: Header=BB6_199 Depth=2
	s_andn2_saveexec_b64 s[26:27], s[26:27]
	s_cbranch_execz .LBB6_225
.LBB6_246:                              ;   in Loop: Header=BB6_199 Depth=2
	s_and_saveexec_b64 vcc, s[44:45]
	s_xor_b64 s[34:35], exec, vcc
	s_cbranch_execz .LBB6_261
; %bb.247:                              ;   in Loop: Header=BB6_199 Depth=2
	s_and_saveexec_b64 s[58:59], s[16:17]
	s_cbranch_execz .LBB6_260
; %bb.248:                              ;   in Loop: Header=BB6_199 Depth=2
	s_mov_b64 s[62:63], exec
	v_mbcnt_lo_u32_b32 v1, s62, 0
	v_mbcnt_hi_u32_b32 v1, s63, v1
	v_cmp_eq_u32_e32 vcc, 0, v1
	;;#ASMSTART
	s_waitcnt lgkmcnt(0) vmcnt(0)
	;;#ASMEND
	s_and_saveexec_b64 s[60:61], vcc
	s_cbranch_execz .LBB6_250
; %bb.249:                              ;   in Loop: Header=BB6_199 Depth=2
	s_bcnt1_i32_b64 vcc_lo, s[62:63]
	v_mov_b32_e32 v50, vcc_lo
	ds_add_u64 v0, v[50:51]
	s_trap 2
.LBB6_250:                              ;   in Loop: Header=BB6_199 Depth=2
	s_or_b64 exec, exec, s[60:61]
	s_trap 2
	ds_read_b64 v[2:3], v0
	v_accvgpr_read_b32 v4, a28
	v_accvgpr_read_b32 v5, a29
	v_add_co_u32_e32 v4, vcc, v4, v40
	v_addc_co_u32_e32 v5, vcc, 0, v5, vcc
	v_accvgpr_write_b32 a29, v5
	v_accvgpr_write_b32 a28, v4
	s_waitcnt lgkmcnt(0)
	v_cmp_lt_u64_e32 vcc, v[2:3], v[4:5]
	s_and_saveexec_b64 s[60:61], vcc
	s_cbranch_execz .LBB6_259
; %bb.251:                              ;   in Loop: Header=BB6_199 Depth=2
	s_mov_b32 s72, 0
	s_mov_b64 s[62:63], 0
                                        ; implicit-def: $sgpr64_sgpr65
                                        ; implicit-def: $sgpr66_sgpr67
	s_branch .LBB6_253
.LBB6_252:                              ;   in Loop: Header=BB6_253 Depth=3
	s_or_b64 exec, exec, s[70:71]
	s_and_b64 vcc, exec, vcc
	s_or_b64 s[62:63], vcc, s[62:63]
	s_andn2_b64 vcc, s[64:65], exec
	s_and_b64 s[50:51], s[66:67], exec
	s_or_b64 s[64:65], vcc, s[50:51]
	s_andn2_b64 exec, exec, s[62:63]
	s_cbranch_execz .LBB6_257
.LBB6_253:                              ;   Parent Loop BB6_47 Depth=1
                                        ;     Parent Loop BB6_199 Depth=2
                                        ; =>    This Inner Loop Header: Depth=3
	s_add_i32 s72, s72, 1
	s_cmpk_lg_i32 s72, 0x2710
	s_cselect_b64 s[68:69], -1, 0
	s_and_b64 vcc, exec, s[68:69]
                                        ; implicit-def: $sgpr70_sgpr71
	s_cbranch_vccnz .LBB6_255
; %bb.254:                              ;   in Loop: Header=BB6_253 Depth=3
	s_trap 2
	ds_read_b64 v[2:3], v0
	s_andn2_b64 s[68:69], s[68:69], exec
	s_mov_b32 s72, 0
	s_mov_b64 s[70:71], -1
	s_waitcnt vmcnt(0) lgkmcnt(0)
	flat_load_dword v1, v[2:3] glc
	s_waitcnt vmcnt(0) lgkmcnt(0)
	buffer_invl2
	buffer_wbinvl1_vol
	v_cmp_eq_u32_e32 vcc, 0, v1
	s_and_b64 vcc, vcc, exec
	s_or_b64 s[68:69], s[68:69], vcc
.LBB6_255:                              ;   in Loop: Header=BB6_253 Depth=3
	s_andn2_b64 s[66:67], s[66:67], exec
	s_and_b64 s[70:71], s[70:71], exec
	s_mov_b64 vcc, -1
	s_or_b64 s[66:67], s[66:67], s[70:71]
	s_and_saveexec_b64 s[70:71], s[68:69]
	s_cbranch_execz .LBB6_252
; %bb.256:                              ;   in Loop: Header=BB6_253 Depth=3
	s_sleep 1
	s_trap 2
	ds_read_b64 v[2:3], v0
	v_accvgpr_read_b32 v4, a28
	v_accvgpr_read_b32 v5, a29
	s_andn2_b64 s[66:67], s[66:67], exec
	s_waitcnt lgkmcnt(0)
	v_cmp_ge_u64_e32 vcc, v[2:3], v[4:5]
	s_orn2_b64 vcc, vcc, exec
	s_branch .LBB6_252
.LBB6_257:                              ;   in Loop: Header=BB6_199 Depth=2
	s_or_b64 exec, exec, s[62:63]
	s_and_saveexec_b64 vcc, s[64:65]
	s_xor_b64 vcc, exec, vcc
	s_cbranch_execz .LBB6_259
; %bb.258:                              ;   in Loop: Header=BB6_199 Depth=2
	v_mov_b32_e32 v1, 1
	ds_write_b32 v0, v1
	s_trap 2
.LBB6_259:                              ;   in Loop: Header=BB6_199 Depth=2
	s_or_b64 exec, exec, s[60:61]
	;;#ASMSTART
	s_wakeup
	;;#ASMEND
.LBB6_260:                              ;   in Loop: Header=BB6_199 Depth=2
	s_or_b64 exec, exec, s[58:59]
.LBB6_261:                              ;   in Loop: Header=BB6_199 Depth=2
	s_andn2_saveexec_b64 vcc, s[34:35]
	s_cbranch_execz .LBB6_263
; %bb.262:                              ;   in Loop: Header=BB6_199 Depth=2
	;;#ASMSTART
	s_waitcnt lgkmcnt(0) vmcnt(0)
	;;#ASMEND
	s_barrier
.LBB6_263:                              ;   in Loop: Header=BB6_199 Depth=2
	s_or_b64 exec, exec, vcc
	v_and_b32_e32 v1, 16, v46
	s_or_b64 exec, exec, s[26:27]
	v_cmp_ne_u32_e32 vcc, 0, v1
	s_and_saveexec_b64 s[26:27], vcc
	s_cbranch_execz .LBB6_198
.LBB6_264:                              ;   in Loop: Header=BB6_199 Depth=2
	s_mov_b64 vcc, exec
	v_readlane_b32 s34, v61, 8
	v_readlane_b32 s35, v61, 9
	s_and_b64 s[34:35], vcc, s[34:35]
	s_mov_b64 exec, s[34:35]
	s_cbranch_execz .LBB6_197
; %bb.265:                              ;   in Loop: Header=BB6_199 Depth=2
	v_accvgpr_read_b32 v2, a24
	v_accvgpr_read_b32 v3, a25
	v_mov_b32_e32 v1, 1
	flat_store_dword v[2:3], v1
	s_branch .LBB6_197
.LBB6_266:                              ;   in Loop: Header=BB6_47 Depth=1
	s_or_b64 exec, exec, s[30:31]
.LBB6_267:                              ;   in Loop: Header=BB6_47 Depth=1
	s_or_b64 exec, exec, s[28:29]
	v_readlane_b32 s26, v61, 15
	v_readlane_b32 s27, v61, 16
	v_cndmask_b32_e64 v0, 0, 1, s[26:27]
	v_cmp_ne_u32_e64 s[28:29], 1, v0
	v_writelane_b32 v61, s28, 21
	v_writelane_b32 v61, s29, 22
	s_andn2_b64 vcc, exec, s[26:27]
	s_cbranch_vccnz .LBB6_3676
; %bb.268:                              ;   in Loop: Header=BB6_47 Depth=1
	s_mov_b32 s26, 2
	s_branch .LBB6_271
.LBB6_269:                              ;   in Loop: Header=BB6_271 Depth=2
	s_or_b64 exec, exec, s[34:35]
.LBB6_270:                              ;   in Loop: Header=BB6_271 Depth=2
	s_or_b64 exec, exec, s[30:31]
	s_add_i32 s26, s26, 1
	s_cmp_eq_u32 s26, s78
	s_cbranch_scc1 .LBB6_3676
.LBB6_271:                              ;   Parent Loop BB6_47 Depth=1
                                        ; =>  This Loop Header: Depth=2
                                        ;       Child Loop BB6_274 Depth 3
                                        ;         Child Loop BB6_282 Depth 4
                                        ;         Child Loop BB6_308 Depth 4
	;; [unrolled: 1-line block ×9, first 2 shown]
                                        ;       Child Loop BB6_3606 Depth 3
                                        ;         Child Loop BB6_3612 Depth 4
                                        ;         Child Loop BB6_3650 Depth 4
	;; [unrolled: 1-line block ×3, first 2 shown]
	buffer_load_dword v2, off, s[0:3], s33 offset:180 ; 4-byte Folded Reload
	buffer_load_dword v3, off, s[0:3], s33 offset:184 ; 4-byte Folded Reload
	s_sub_i32 s27, s84, s26
	s_cmp_le_i32 s78, s27
	s_cselect_b32 s28, s78, 0
	s_sub_i32 s27, s27, s28
	s_ashr_i32 s28, s27, 31
	v_mov_b32_e32 v44, 0
	s_waitcnt vmcnt(0)
	v_mul_lo_u32 v0, v2, s28
	v_mul_lo_u32 v1, v3, s27
	v_mad_u64_u32 v[4:5], s[28:29], v2, s27, 0
	v_add3_u32 v5, v5, v0, v1
	buffer_load_dword v0, off, s[0:3], s33 offset:172 ; 4-byte Folded Reload
	buffer_load_dword v1, off, s[0:3], s33 offset:176 ; 4-byte Folded Reload
	v_readlane_b32 s28, v61, 19
	v_accvgpr_write_b32 a63, v5
	v_readlane_b32 s29, v61, 20
	v_accvgpr_write_b32 a62, v4
	s_waitcnt vmcnt(0)
	v_sub_co_u32_e32 v0, vcc, v0, v4
	v_subb_co_u32_e32 v1, vcc, v1, v5, vcc
	v_cmp_lt_i64_e32 vcc, v[2:3], v[0:1]
	v_cndmask_b32_e32 v0, v0, v2, vcc
	v_max_i32_e32 v43, 0, v0
	v_add_u32_e32 v1, 31, v43
	v_lshrrev_b32_e32 v1, 1, v1
	v_and_b32_e32 v1, 0x3ffffff0, v1
	v_cmp_lt_i32_e32 vcc, 0, v0
	v_max_i32_e32 v56, s87, v1
	s_and_b64 s[28:29], s[28:29], vcc
	v_mov_b32_e32 v0, 0
	s_and_saveexec_b64 s[58:59], s[28:29]
	s_cbranch_execz .LBB6_3603
; %bb.272:                              ;   in Loop: Header=BB6_271 Depth=2
	s_mov_b32 s27, 1
	s_mov_b64 s[62:63], -1
	s_mov_b64 s[60:61], 0
	v_mov_b32_e32 v44, 0
	s_branch .LBB6_274
.LBB6_273:                              ;   in Loop: Header=BB6_274 Depth=3
	s_or_b64 exec, exec, s[28:29]
	v_add_u32_e32 v44, v56, v44
	v_cmp_ge_i32_e32 vcc, v44, v43
	s_xor_b64 s[28:29], s[62:63], -1
	s_or_b64 s[28:29], s[28:29], vcc
	s_and_b64 s[28:29], exec, s[28:29]
	s_or_b64 s[60:61], s[28:29], s[60:61]
	s_mov_b64 s[62:63], 0
	v_mov_b32_e32 v0, s27
	s_mov_b32 s27, 2
	s_andn2_b64 exec, exec, s[60:61]
	s_cbranch_execz .LBB6_3602
.LBB6_274:                              ;   Parent Loop BB6_47 Depth=1
                                        ;     Parent Loop BB6_271 Depth=2
                                        ; =>    This Loop Header: Depth=3
                                        ;         Child Loop BB6_282 Depth 4
                                        ;         Child Loop BB6_308 Depth 4
	;; [unrolled: 1-line block ×9, first 2 shown]
	s_and_saveexec_b64 s[28:29], s[4:5]
	s_cbranch_execz .LBB6_276
; %bb.275:                              ;   in Loop: Header=BB6_274 Depth=3
	s_trap 2
	ds_read_b64 v[0:1], v0
	v_accvgpr_read_b32 v2, a53
	v_mov_b32_e32 v50, v51
	s_waitcnt lgkmcnt(0)
	v_add_co_u32_e32 v0, vcc, v0, v2
	v_accvgpr_read_b32 v2, a60
	v_addc_co_u32_e32 v1, vcc, v1, v2, vcc
	v_accvgpr_read_b32 v2, a62
	v_accvgpr_read_b32 v3, a63
	v_add_co_u32_e32 v0, vcc, v0, v2
	v_addc_co_u32_e32 v1, vcc, v1, v3, vcc
	v_ashrrev_i32_e32 v2, 31, v44
	v_add_co_u32_e32 v0, vcc, v0, v44
	v_addc_co_u32_e32 v1, vcc, v1, v2, vcc
	ds_write_b64 v0, v[0:1]
	ds_write_b64 v0, v[50:51]
.LBB6_276:                              ;   in Loop: Header=BB6_274 Depth=3
	s_or_b64 exec, exec, s[28:29]
	v_and_b32_e32 v0, 12, v46
	v_cmp_ne_u32_e32 vcc, 0, v0
	s_mov_b64 s[30:31], -1
	s_and_saveexec_b64 s[28:29], vcc
	s_cbranch_execz .LBB6_288
; %bb.277:                              ;   in Loop: Header=BB6_274 Depth=3
	v_and_b32_e32 v0, 8, v46
	v_accvgpr_read_b32 v2, a26
	v_accvgpr_read_b32 v3, a27
	v_add_co_u32_e32 v4, vcc, v2, v0
	v_addc_co_u32_e32 v5, vcc, 0, v3, vcc
	v_add_co_u32_e32 v2, vcc, 2, v58
	v_addc_co_u32_e32 v3, vcc, 0, v59, vcc
	v_cmp_lt_u64_e32 vcc, v[4:5], v[2:3]
	v_mov_b32_e32 v1, 1
	s_and_saveexec_b64 s[30:31], vcc
	s_cbranch_execz .LBB6_287
; %bb.278:                              ;   in Loop: Header=BB6_274 Depth=3
	s_mov_b64 s[34:35], 0
	v_mov_b32_e32 v1, 0
                                        ; implicit-def: $sgpr64_sgpr65
	s_branch .LBB6_282
.LBB6_279:                              ;   in Loop: Header=BB6_282 Depth=4
	s_or_b64 exec, exec, s[72:73]
	v_mov_b32_e32 v4, 0
	s_orn2_b64 s[70:71], s[70:71], exec
.LBB6_280:                              ;   in Loop: Header=BB6_282 Depth=4
	s_or_b64 exec, exec, s[68:69]
	s_andn2_b64 vcc, s[64:65], exec
	s_and_b64 s[64:65], s[70:71], exec
	s_or_b64 s[64:65], vcc, s[64:65]
	v_mov_b32_e32 v1, v4
.LBB6_281:                              ;   in Loop: Header=BB6_282 Depth=4
	s_or_b64 exec, exec, s[66:67]
	s_waitcnt vmcnt(0) lgkmcnt(0)
	v_accvgpr_read_b32 v4, a26
	v_accvgpr_read_b32 v5, a27
	v_add_co_u32_e32 v4, vcc, v4, v0
	v_addc_co_u32_e32 v5, vcc, 0, v5, vcc
	v_cmp_ge_u64_e32 vcc, v[4:5], v[2:3]
	s_xor_b64 s[66:67], s[64:65], -1
	s_or_b64 vcc, s[66:67], vcc
	s_and_b64 vcc, exec, vcc
	s_or_b64 s[34:35], vcc, s[34:35]
	s_andn2_b64 exec, exec, s[34:35]
	s_cbranch_execz .LBB6_286
.LBB6_282:                              ;   Parent Loop BB6_47 Depth=1
                                        ;     Parent Loop BB6_271 Depth=2
                                        ;       Parent Loop BB6_274 Depth=3
                                        ; =>      This Inner Loop Header: Depth=4
	v_accvgpr_read_b32 v4, a18
	v_accvgpr_read_b32 v5, a19
	s_sleep 1
	flat_load_dwordx2 a[26:27], v[4:5] glc
	v_and_b32_e32 v4, 64, v46
	v_cmp_eq_u32_e32 vcc, 0, v4
	s_andn2_b64 s[64:65], s[64:65], exec
	s_and_saveexec_b64 s[66:67], vcc
	s_cbranch_execz .LBB6_281
; %bb.283:                              ;   in Loop: Header=BB6_282 Depth=4
	v_add_u32_e32 v4, 1, v1
	v_cmp_lt_i32_e32 vcc, s91, v1
	s_mov_b64 s[70:71], -1
	s_and_saveexec_b64 s[68:69], vcc
	s_cbranch_execz .LBB6_280
; %bb.284:                              ;   in Loop: Header=BB6_282 Depth=4
	s_trap 2
	ds_read_b64 v[4:5], v0
	s_waitcnt vmcnt(0) lgkmcnt(0)
	flat_load_dword v1, v[4:5] glc
	s_waitcnt vmcnt(0) lgkmcnt(0)
	buffer_invl2
	buffer_wbinvl1_vol
	v_cmp_ne_u32_e32 vcc, 0, v1
	s_and_saveexec_b64 s[72:73], vcc
	s_cbranch_execz .LBB6_279
; %bb.285:                              ;   in Loop: Header=BB6_282 Depth=4
	v_or_b32_e32 v46, 64, v46
	s_xor_b64 s[70:71], exec, -1
	ds_write_b32 v0, v1
	s_trap 2
	s_branch .LBB6_279
.LBB6_286:                              ;   in Loop: Header=BB6_274 Depth=3
	s_or_b64 exec, exec, s[34:35]
	v_and_b32_e32 v1, 12, v46
.LBB6_287:                              ;   in Loop: Header=BB6_274 Depth=3
	s_or_b64 exec, exec, s[30:31]
	v_cmp_eq_u32_e32 vcc, 0, v1
	s_orn2_b64 s[30:31], vcc, exec
	;;#ASMSTART
	s_wakeup
	;;#ASMEND
.LBB6_288:                              ;   in Loop: Header=BB6_274 Depth=3
	s_or_b64 exec, exec, s[28:29]
	v_sub_u32_e32 v0, v43, v44
	s_xor_b64 s[28:29], s[30:31], -1
	v_min_i32_e32 v56, v56, v0
	s_and_saveexec_b64 s[30:31], s[28:29]
	s_cbranch_execz .LBB6_300
; %bb.289:                              ;   in Loop: Header=BB6_274 Depth=3
	v_and_b32_e32 v0, 0x108, v46
	v_cmp_ne_u32_e32 vcc, s92, v0
	v_and_b32_e32 v0, 7, v58
	s_and_saveexec_b64 s[28:29], vcc
	s_xor_b64 s[28:29], exec, s[28:29]
	s_andn2_saveexec_b64 s[28:29], s[28:29]
	s_cbranch_execz .LBB6_291
; %bb.290:                              ;   in Loop: Header=BB6_274 Depth=3
	v_mad_u64_u32 v[2:3], vcc, v0, 24, v[24:25]
	v_ashrrev_i32_e32 v57, 31, v56
	flat_store_dwordx2 v[2:3], v[56:57] offset:8
.LBB6_291:                              ;   in Loop: Header=BB6_274 Depth=3
	s_or_b64 exec, exec, s[28:29]
	v_and_b32_e32 v1, 0x100, v46
	v_cmp_ne_u32_e32 vcc, 0, v1
	s_mov_b64 s[28:29], -1
                                        ; implicit-def: $vgpr2_vgpr3
	s_and_saveexec_b64 s[34:35], vcc
	s_cbranch_execz .LBB6_295
; %bb.292:                              ;   in Loop: Header=BB6_274 Depth=3
	v_mad_u64_u32 v[4:5], s[28:29], v0, 24, v[24:25]
	v_mov_b32_e32 v2, v5
	v_mad_u64_u32 v[2:3], s[28:29], v51, 24, v[2:3]
	v_mov_b32_e32 v5, v2
	flat_load_dword v1, v[4:5]
                                        ; implicit-def: $vgpr2_vgpr3
	s_waitcnt vmcnt(0) lgkmcnt(0)
	v_cmp_ne_u32_e32 vcc, 1, v1
	v_cmp_eq_u32_e64 s[28:29], 1, v1
	s_and_saveexec_b64 s[64:65], s[28:29]
	s_cbranch_execz .LBB6_294
; %bb.293:                              ;   in Loop: Header=BB6_274 Depth=3
	flat_load_dword v2, v[4:5] offset:4 glc
	s_waitcnt vmcnt(0) lgkmcnt(0)
	v_ashrrev_i32_e32 v3, 31, v2
.LBB6_294:                              ;   in Loop: Header=BB6_274 Depth=3
	s_or_b64 exec, exec, s[64:65]
	s_orn2_b64 s[28:29], vcc, exec
.LBB6_295:                              ;   in Loop: Header=BB6_274 Depth=3
	s_or_b64 exec, exec, s[34:35]
	s_and_saveexec_b64 vcc, s[28:29]
; %bb.296:                              ;   in Loop: Header=BB6_274 Depth=3
	v_accvgpr_read_b32 v2, a20
	v_accvgpr_read_b32 v3, a21
	v_mul_lo_u32 v1, v51, v2
	v_mul_lo_u32 v4, v0, v3
	v_mad_u64_u32 v[2:3], s[28:29], v0, v2, 0
	v_add3_u32 v3, v3, v4, v1
; %bb.297:                              ;   in Loop: Header=BB6_274 Depth=3
	s_or_b64 exec, exec, vcc
	v_accvgpr_read_b32 v0, a22
	v_accvgpr_read_b32 v1, a23
	v_add_co_u32_e32 v0, vcc, v0, v2
	v_addc_co_u32_e32 v1, vcc, v1, v3, vcc
	s_trap 2
	ds_write_b64 v0, v[0:1]
	v_and_b32_e32 v0, 0x2000, v46
	v_cmp_ne_u32_e32 vcc, 0, v0
	s_and_saveexec_b64 s[28:29], vcc
	s_cbranch_execz .LBB6_299
; %bb.298:                              ;   in Loop: Header=BB6_274 Depth=3
	ds_read_b64 v[0:1], v0 offset:584
	s_waitcnt lgkmcnt(0)
	v_add_co_u32_e32 v0, vcc, 1, v0
	v_addc_co_u32_e32 v1, vcc, 0, v1, vcc
	ds_write_b64 v0, v[0:1] offset:584
.LBB6_299:                              ;   in Loop: Header=BB6_274 Depth=3
	s_or_b64 exec, exec, s[28:29]
	v_add_co_u32_e32 v58, vcc, 2, v58
	v_addc_co_u32_e32 v59, vcc, 0, v59, vcc
.LBB6_300:                              ;   in Loop: Header=BB6_274 Depth=3
	s_or_b64 exec, exec, s[30:31]
	s_and_saveexec_b64 s[28:29], s[10:11]
	s_cbranch_execz .LBB6_319
; %bb.301:                              ;   in Loop: Header=BB6_274 Depth=3
	s_and_saveexec_b64 vcc, s[44:45]
	s_xor_b64 s[30:31], exec, vcc
	s_cbranch_execz .LBB6_316
; %bb.302:                              ;   in Loop: Header=BB6_274 Depth=3
	s_and_saveexec_b64 s[34:35], s[16:17]
	s_cbranch_execz .LBB6_315
; %bb.303:                              ;   in Loop: Header=BB6_274 Depth=3
	s_mov_b64 s[66:67], exec
	v_mbcnt_lo_u32_b32 v0, s66, 0
	v_mbcnt_hi_u32_b32 v0, s67, v0
	v_cmp_eq_u32_e32 vcc, 0, v0
	s_waitcnt vmcnt(0) lgkmcnt(0)
	buffer_wbinvl1_vol
	s_and_saveexec_b64 s[64:65], vcc
	s_cbranch_execz .LBB6_305
; %bb.304:                              ;   in Loop: Header=BB6_274 Depth=3
	s_bcnt1_i32_b64 vcc_lo, s[66:67]
	v_mov_b32_e32 v50, vcc_lo
	ds_add_u64 v0, v[50:51]
	s_trap 2
.LBB6_305:                              ;   in Loop: Header=BB6_274 Depth=3
	s_or_b64 exec, exec, s[64:65]
	s_trap 2
	ds_read_b64 v[0:1], v0
	v_accvgpr_read_b32 v2, a28
	v_accvgpr_read_b32 v3, a29
	v_add_co_u32_e32 v2, vcc, v2, v40
	v_addc_co_u32_e32 v3, vcc, 0, v3, vcc
	v_accvgpr_write_b32 a29, v3
	v_accvgpr_write_b32 a28, v2
	s_waitcnt lgkmcnt(0)
	v_cmp_lt_u64_e32 vcc, v[0:1], v[2:3]
	s_and_saveexec_b64 s[64:65], vcc
	s_cbranch_execz .LBB6_314
; %bb.306:                              ;   in Loop: Header=BB6_274 Depth=3
	s_mov_b32 s76, 0
	s_mov_b64 s[66:67], 0
                                        ; implicit-def: $sgpr68_sgpr69
                                        ; implicit-def: $sgpr70_sgpr71
	s_branch .LBB6_308
.LBB6_307:                              ;   in Loop: Header=BB6_308 Depth=4
	s_or_b64 exec, exec, s[74:75]
	s_and_b64 vcc, exec, vcc
	s_or_b64 s[66:67], vcc, s[66:67]
	s_andn2_b64 vcc, s[68:69], exec
	s_and_b64 s[50:51], s[70:71], exec
	s_or_b64 s[68:69], vcc, s[50:51]
	s_andn2_b64 exec, exec, s[66:67]
	s_cbranch_execz .LBB6_312
.LBB6_308:                              ;   Parent Loop BB6_47 Depth=1
                                        ;     Parent Loop BB6_271 Depth=2
                                        ;       Parent Loop BB6_274 Depth=3
                                        ; =>      This Inner Loop Header: Depth=4
	s_add_i32 s76, s76, 1
	s_cmpk_lg_i32 s76, 0x2710
	s_cselect_b64 s[72:73], -1, 0
	s_and_b64 vcc, exec, s[72:73]
                                        ; implicit-def: $sgpr74_sgpr75
	s_cbranch_vccnz .LBB6_310
; %bb.309:                              ;   in Loop: Header=BB6_308 Depth=4
	s_trap 2
	ds_read_b64 v[0:1], v0
	s_andn2_b64 s[72:73], s[72:73], exec
	s_mov_b32 s76, 0
	s_mov_b64 s[74:75], -1
	s_waitcnt lgkmcnt(0)
	flat_load_dword v0, v[0:1] glc
	s_waitcnt vmcnt(0) lgkmcnt(0)
	buffer_invl2
	buffer_wbinvl1_vol
	v_cmp_eq_u32_e32 vcc, 0, v0
	s_and_b64 vcc, vcc, exec
	s_or_b64 s[72:73], s[72:73], vcc
.LBB6_310:                              ;   in Loop: Header=BB6_308 Depth=4
	s_andn2_b64 s[70:71], s[70:71], exec
	s_and_b64 s[74:75], s[74:75], exec
	s_mov_b64 vcc, -1
	s_or_b64 s[70:71], s[70:71], s[74:75]
	s_and_saveexec_b64 s[74:75], s[72:73]
	s_cbranch_execz .LBB6_307
; %bb.311:                              ;   in Loop: Header=BB6_308 Depth=4
	s_sleep 1
	s_trap 2
	ds_read_b64 v[0:1], v0
	v_accvgpr_read_b32 v2, a28
	v_accvgpr_read_b32 v3, a29
	s_andn2_b64 s[70:71], s[70:71], exec
	s_waitcnt lgkmcnt(0)
	v_cmp_ge_u64_e32 vcc, v[0:1], v[2:3]
	s_orn2_b64 vcc, vcc, exec
	s_branch .LBB6_307
.LBB6_312:                              ;   in Loop: Header=BB6_274 Depth=3
	s_or_b64 exec, exec, s[66:67]
	s_and_saveexec_b64 vcc, s[68:69]
	s_xor_b64 vcc, exec, vcc
	s_cbranch_execz .LBB6_314
; %bb.313:                              ;   in Loop: Header=BB6_274 Depth=3
	v_mov_b32_e32 v0, 1
	ds_write_b32 v0, v0
	s_trap 2
.LBB6_314:                              ;   in Loop: Header=BB6_274 Depth=3
	s_or_b64 exec, exec, s[64:65]
	;;#ASMSTART
	s_wakeup
	;;#ASMEND
.LBB6_315:                              ;   in Loop: Header=BB6_274 Depth=3
	s_or_b64 exec, exec, s[34:35]
.LBB6_316:                              ;   in Loop: Header=BB6_274 Depth=3
	s_andn2_saveexec_b64 vcc, s[30:31]
	s_cbranch_execz .LBB6_318
; %bb.317:                              ;   in Loop: Header=BB6_274 Depth=3
	s_waitcnt vmcnt(0) lgkmcnt(0)
	buffer_wbinvl1_vol
	s_barrier
.LBB6_318:                              ;   in Loop: Header=BB6_274 Depth=3
	s_or_b64 exec, exec, vcc
.LBB6_319:                              ;   in Loop: Header=BB6_274 Depth=3
	s_or_b64 exec, exec, s[28:29]
	s_trap 2
	ds_read_b32 v0, v0
	v_and_b32_e32 v1, 0x4000, v46
	v_cmp_ne_u32_e32 vcc, 0, v1
	s_xor_b64 s[28:29], s[6:7], -1
	s_and_b64 vcc, s[28:29], vcc
	s_and_saveexec_b64 s[28:29], vcc
	s_cbranch_execz .LBB6_338
; %bb.320:                              ;   in Loop: Header=BB6_274 Depth=3
	s_and_saveexec_b64 vcc, s[44:45]
	s_xor_b64 s[30:31], exec, vcc
	s_cbranch_execz .LBB6_335
; %bb.321:                              ;   in Loop: Header=BB6_274 Depth=3
	s_and_saveexec_b64 s[34:35], s[16:17]
	s_cbranch_execz .LBB6_334
; %bb.322:                              ;   in Loop: Header=BB6_274 Depth=3
	s_mov_b64 s[66:67], exec
	v_mbcnt_lo_u32_b32 v1, s66, 0
	v_mbcnt_hi_u32_b32 v1, s67, v1
	v_cmp_eq_u32_e32 vcc, 0, v1
	s_waitcnt vmcnt(0) lgkmcnt(0)
	buffer_wbinvl1_vol
	s_and_saveexec_b64 s[64:65], vcc
	s_cbranch_execz .LBB6_324
; %bb.323:                              ;   in Loop: Header=BB6_274 Depth=3
	s_bcnt1_i32_b64 vcc_lo, s[66:67]
	v_mov_b32_e32 v50, vcc_lo
	ds_add_u64 v0, v[50:51]
	s_trap 2
.LBB6_324:                              ;   in Loop: Header=BB6_274 Depth=3
	s_or_b64 exec, exec, s[64:65]
	s_trap 2
	ds_read_b64 v[2:3], v0
	v_accvgpr_read_b32 v4, a28
	v_accvgpr_read_b32 v5, a29
	v_add_co_u32_e32 v4, vcc, v4, v40
	v_addc_co_u32_e32 v5, vcc, 0, v5, vcc
	v_accvgpr_write_b32 a29, v5
	v_accvgpr_write_b32 a28, v4
	s_waitcnt lgkmcnt(0)
	v_cmp_lt_u64_e32 vcc, v[2:3], v[4:5]
	s_and_saveexec_b64 s[64:65], vcc
	s_cbranch_execz .LBB6_333
; %bb.325:                              ;   in Loop: Header=BB6_274 Depth=3
	s_mov_b32 s76, 0
	s_mov_b64 s[66:67], 0
                                        ; implicit-def: $sgpr68_sgpr69
                                        ; implicit-def: $sgpr70_sgpr71
	s_branch .LBB6_327
.LBB6_326:                              ;   in Loop: Header=BB6_327 Depth=4
	s_or_b64 exec, exec, s[74:75]
	s_and_b64 vcc, exec, vcc
	s_or_b64 s[66:67], vcc, s[66:67]
	s_andn2_b64 vcc, s[68:69], exec
	s_and_b64 s[50:51], s[70:71], exec
	s_or_b64 s[68:69], vcc, s[50:51]
	s_andn2_b64 exec, exec, s[66:67]
	s_cbranch_execz .LBB6_331
.LBB6_327:                              ;   Parent Loop BB6_47 Depth=1
                                        ;     Parent Loop BB6_271 Depth=2
                                        ;       Parent Loop BB6_274 Depth=3
                                        ; =>      This Inner Loop Header: Depth=4
	s_add_i32 s76, s76, 1
	s_cmpk_lg_i32 s76, 0x2710
	s_cselect_b64 s[72:73], -1, 0
	s_and_b64 vcc, exec, s[72:73]
                                        ; implicit-def: $sgpr74_sgpr75
	s_cbranch_vccnz .LBB6_329
; %bb.328:                              ;   in Loop: Header=BB6_327 Depth=4
	s_trap 2
	ds_read_b64 v[2:3], v0
	s_andn2_b64 s[72:73], s[72:73], exec
	s_mov_b32 s76, 0
	s_mov_b64 s[74:75], -1
	s_waitcnt lgkmcnt(0)
	flat_load_dword v1, v[2:3] glc
	s_waitcnt vmcnt(0) lgkmcnt(0)
	buffer_invl2
	buffer_wbinvl1_vol
	v_cmp_eq_u32_e32 vcc, 0, v1
	s_and_b64 vcc, vcc, exec
	s_or_b64 s[72:73], s[72:73], vcc
.LBB6_329:                              ;   in Loop: Header=BB6_327 Depth=4
	s_andn2_b64 s[70:71], s[70:71], exec
	s_and_b64 s[74:75], s[74:75], exec
	s_mov_b64 vcc, -1
	s_or_b64 s[70:71], s[70:71], s[74:75]
	s_and_saveexec_b64 s[74:75], s[72:73]
	s_cbranch_execz .LBB6_326
; %bb.330:                              ;   in Loop: Header=BB6_327 Depth=4
	s_sleep 1
	s_trap 2
	ds_read_b64 v[2:3], v0
	v_accvgpr_read_b32 v4, a28
	v_accvgpr_read_b32 v5, a29
	s_andn2_b64 s[70:71], s[70:71], exec
	s_waitcnt lgkmcnt(0)
	v_cmp_ge_u64_e32 vcc, v[2:3], v[4:5]
	s_orn2_b64 vcc, vcc, exec
	s_branch .LBB6_326
.LBB6_331:                              ;   in Loop: Header=BB6_274 Depth=3
	s_or_b64 exec, exec, s[66:67]
	s_and_saveexec_b64 vcc, s[68:69]
	s_xor_b64 vcc, exec, vcc
	s_cbranch_execz .LBB6_333
; %bb.332:                              ;   in Loop: Header=BB6_274 Depth=3
	v_mov_b32_e32 v1, 1
	ds_write_b32 v0, v1
	s_trap 2
.LBB6_333:                              ;   in Loop: Header=BB6_274 Depth=3
	s_or_b64 exec, exec, s[64:65]
	;;#ASMSTART
	s_wakeup
	;;#ASMEND
.LBB6_334:                              ;   in Loop: Header=BB6_274 Depth=3
	s_or_b64 exec, exec, s[34:35]
.LBB6_335:                              ;   in Loop: Header=BB6_274 Depth=3
	s_andn2_saveexec_b64 vcc, s[30:31]
	s_cbranch_execz .LBB6_337
; %bb.336:                              ;   in Loop: Header=BB6_274 Depth=3
	s_waitcnt vmcnt(0) lgkmcnt(0)
	buffer_wbinvl1_vol
	s_barrier
.LBB6_337:                              ;   in Loop: Header=BB6_274 Depth=3
	s_or_b64 exec, exec, vcc
.LBB6_338:                              ;   in Loop: Header=BB6_274 Depth=3
	s_or_b64 exec, exec, s[28:29]
	s_trap 2
	s_waitcnt lgkmcnt(0)
	ds_read_b64 v[2:3], v0
	v_mov_b32_e32 v47, 0
	s_waitcnt lgkmcnt(0)
	v_readfirstlane_b32 s28, v2
	v_readfirstlane_b32 s29, v3
	s_cmp_eq_u64 s[28:29], 0
	s_cselect_b64 s[28:29], -1, 0
	s_or_b64 s[28:29], s[28:29], s[28:29]
	s_and_b64 vcc, exec, s[28:29]
	s_cbranch_vccnz .LBB6_1180
; %bb.339:                              ;   in Loop: Header=BB6_274 Depth=3
	s_trap 2
	ds_read_b64 v[2:3], v0
	s_mov_b64 s[30:31], -1
	s_waitcnt lgkmcnt(0)
	v_readfirstlane_b32 s76, v2
	s_and_saveexec_b64 s[28:29], s[22:23]
	s_cbranch_execz .LBB6_341
; %bb.340:                              ;   in Loop: Header=BB6_274 Depth=3
	ds_read_b32 v1, v0 offset:720
	s_waitcnt lgkmcnt(0)
	v_and_b32_e32 v1, 15, v1
	v_cmp_eq_u32_e32 vcc, 0, v1
	s_orn2_b64 s[30:31], vcc, exec
.LBB6_341:                              ;   in Loop: Header=BB6_274 Depth=3
	s_or_b64 exec, exec, s[28:29]
	s_and_saveexec_b64 s[28:29], s[20:21]
	s_cbranch_execz .LBB6_343
; %bb.342:                              ;   in Loop: Header=BB6_274 Depth=3
	ds_read_b32 v1, v0 offset:784
	s_waitcnt lgkmcnt(0)
	v_and_b32_e32 v1, 15, v1
	v_cmp_eq_u32_e32 vcc, 0, v1
	s_and_b64 vcc, s[30:31], vcc
	s_andn2_b64 s[30:31], s[30:31], exec
	s_and_b64 vcc, vcc, exec
	s_or_b64 s[30:31], s[30:31], vcc
.LBB6_343:                              ;   in Loop: Header=BB6_274 Depth=3
	s_or_b64 exec, exec, s[28:29]
	v_cmp_eq_u32_e32 vcc, 0, v0
	v_cndmask_b32_e32 v47, 0, v56, vcc
	s_xor_b64 vcc, s[30:31], -1
	v_cndmask_b32_e64 v0, 0, 1, vcc
	;;#ASMSTART
	;;#ASMEND
	v_mov_b32_e32 v9, 0
	s_mov_b64 s[28:29], -1
	v_cmp_ne_u32_e32 vcc, 0, v0
	v_mov_b32_e32 v3, v47
	v_mov_b32_e32 v2, v45
	v_accvgpr_read_b32 v0, a37
	s_cbranch_vccz .LBB6_1185
; %bb.344:                              ;   in Loop: Header=BB6_274 Depth=3
	s_and_saveexec_b64 s[64:65], s[28:29]
	s_cbranch_execz .LBB6_3560
.LBB6_345:                              ;   in Loop: Header=BB6_274 Depth=3
	v_ashrrev_i32_e32 v1, 31, v3
	v_lshrrev_b32_e32 v1, 22, v1
	v_add_u32_e32 v1, v3, v1
	v_ashrrev_i32_e32 v4, 10, v1
	v_sub_u32_e32 v60, v4, v0
	v_ashrrev_i32_e32 v1, 31, v2
	v_accvgpr_write_b32 a61, v47
	v_cmp_lt_i32_e32 vcc, 0, v60
	v_lshrrev_b32_e32 v1, 26, v1
	s_and_saveexec_b64 s[34:35], vcc
	s_cbranch_execz .LBB6_2725
; %bb.346:                              ;   in Loop: Header=BB6_274 Depth=3
	v_accvgpr_write_b32 a32, v4
	s_trap 2
	ds_read_b128 v[4:7], v0
	v_accvgpr_write_b32 a9, v1
	v_add_u32_e32 v1, v2, v1
	v_and_b32_e32 v1, 0xffffffc0, v1
	v_sub_u32_e32 v1, v2, v1
	v_lshlrev_b32_e32 v0, 10, v0
	v_accvgpr_write_b32 a8, v2
	v_add3_u32 v2, v9, v1, v0
	ds_read_b64 v[0:1], v0
	v_accvgpr_write_b32 a7, v3
	v_ashrrev_i32_e32 v3, 31, v2
	s_waitcnt lgkmcnt(0)
	v_add_co_u32_e32 v4, vcc, v4, v2
	v_addc_co_u32_e32 v5, vcc, v5, v3, vcc
	v_add_co_u32_e32 v8, vcc, v6, v2
	v_accvgpr_write_b32 a6, v9
	v_addc_co_u32_e32 v9, vcc, v7, v3, vcc
	v_add_co_u32_e32 v0, vcc, 0x3c0, v0
	v_addc_co_u32_e32 v1, vcc, 0, v1, vcc
	v_accvgpr_write_b32 a14, v58
	s_bitcmp1_b32 s76, 0
	v_add_co_u32_e32 v10, vcc, v0, v2
	v_accvgpr_write_b32 a11, v44
	v_accvgpr_write_b32 a10, v56
	;; [unrolled: 1-line block ×5, first 2 shown]
	s_cselect_b64 s[66:67], -1, 0
	v_addc_co_u32_e32 v11, vcc, v1, v3, vcc
	s_mov_b64 s[68:69], 0
	s_branch .LBB6_348
.LBB6_347:                              ;   in Loop: Header=BB6_348 Depth=4
	s_or_b64 exec, exec, s[28:29]
	v_add_co_u32_e32 v22, vcc, 0xfffffc40, v10
	v_addc_co_u32_e32 v23, vcc, -1, v11, vcc
	flat_store_byte v[22:23], v41 glc slc
	v_add_co_u32_e32 v22, vcc, 0xfffffc80, v10
	v_addc_co_u32_e32 v23, vcc, -1, v11, vcc
	flat_store_byte v[22:23], v32 glc slc
	v_add_co_u32_e32 v22, vcc, 0xfffffcc0, v10
	v_addc_co_u32_e32 v23, vcc, -1, v11, vcc
	flat_store_byte v[22:23], v15 glc slc
	v_add_co_u32_e32 v22, vcc, 0xfffffd00, v10
	v_addc_co_u32_e32 v23, vcc, -1, v11, vcc
	flat_store_byte v[22:23], v13 glc slc
	v_add_co_u32_e32 v22, vcc, 0xfffffd40, v10
	v_addc_co_u32_e32 v23, vcc, -1, v11, vcc
	flat_store_byte v[22:23], v12 glc slc
	v_add_co_u32_e32 v12, vcc, 0xfffffd80, v10
	v_addc_co_u32_e32 v13, vcc, -1, v11, vcc
	flat_store_byte v[12:13], v14 glc slc
	v_add_co_u32_e32 v12, vcc, 0xfffffdc0, v10
	v_addc_co_u32_e32 v13, vcc, -1, v11, vcc
	flat_store_byte v[12:13], v16 glc slc
	v_add_co_u32_e32 v12, vcc, 0xfffffe00, v10
	v_addc_co_u32_e32 v13, vcc, -1, v11, vcc
	flat_store_byte v[12:13], v3 glc slc
	v_add_co_u32_e32 v12, vcc, 0xfffffe40, v10
	v_addc_co_u32_e32 v13, vcc, -1, v11, vcc
	flat_store_byte v[12:13], v2 glc slc
	v_add_co_u32_e32 v2, vcc, 0xfffffe80, v10
	v_addc_co_u32_e32 v3, vcc, -1, v11, vcc
	flat_store_byte v[2:3], v6 glc slc
	v_add_co_u32_e32 v2, vcc, 0xfffffec0, v10
	v_addc_co_u32_e32 v3, vcc, -1, v11, vcc
	flat_store_byte v[2:3], v7 glc slc
	v_add_co_u32_e32 v2, vcc, 0xffffff00, v10
	v_addc_co_u32_e32 v3, vcc, -1, v11, vcc
	flat_store_byte v[2:3], v17 glc slc
	v_add_co_u32_e32 v2, vcc, 0xffffff40, v10
	v_addc_co_u32_e32 v3, vcc, -1, v11, vcc
	flat_store_byte v[2:3], v18 glc slc
	v_add_co_u32_e32 v2, vcc, s94, v10
	v_addc_co_u32_e32 v3, vcc, -1, v11, vcc
	flat_store_byte v[2:3], v19 glc slc
	v_add_co_u32_e32 v2, vcc, s80, v10
	v_addc_co_u32_e32 v3, vcc, -1, v11, vcc
	v_accvgpr_read_b32 v0, a47
	flat_store_byte v[2:3], v20 glc slc
	flat_store_byte v[10:11], v1 glc slc
	v_add_co_u32_e32 v4, vcc, v4, v0
	v_accvgpr_read_b32 v1, a48
	v_addc_co_u32_e32 v5, vcc, v5, v1, vcc
	v_add_co_u32_e32 v8, vcc, v8, v0
	v_addc_co_u32_e32 v9, vcc, v9, v1, vcc
	v_sub_u32_e32 v60, v60, v40
	v_cmp_gt_i32_e32 vcc, 1, v60
	s_or_b64 s[68:69], vcc, s[68:69]
	v_add_co_u32_e32 v10, vcc, v10, v0
	v_addc_co_u32_e32 v11, vcc, v11, v1, vcc
	s_andn2_b64 exec, exec, s[68:69]
	s_cbranch_execz .LBB6_2724
.LBB6_348:                              ;   Parent Loop BB6_47 Depth=1
                                        ;     Parent Loop BB6_271 Depth=2
                                        ;       Parent Loop BB6_274 Depth=3
                                        ; =>      This Inner Loop Header: Depth=4
	flat_load_ubyte v3, v[4:5] glc slc
	flat_load_sbyte v32, v[4:5] offset:64 glc slc
	flat_load_sbyte v48, v[4:5] offset:128 glc slc
	;; [unrolled: 1-line block ×15, first 2 shown]
	flat_load_sbyte v14, v[8:9] glc slc
	flat_load_sbyte v34, v[8:9] offset:64 glc slc
	flat_load_sbyte v52, v[8:9] offset:128 glc slc
	;; [unrolled: 1-line block ×15, first 2 shown]
	s_and_b64 vcc, exec, s[66:67]
	s_waitcnt vmcnt(0) lgkmcnt(0)
	v_bfe_i32 v50, v3, 0, 8
	v_and_b32_e32 v1, 0xffff, v3
	v_cmp_ne_u16_e64 s[28:29], 0, v3
	s_cbranch_vccz .LBB6_366
; %bb.349:                              ;   in Loop: Header=BB6_348 Depth=4
	v_mov_b32_e32 v7, 0
	v_mov_b32_e32 v3, 0
	s_and_saveexec_b64 s[30:31], s[28:29]
	s_cbranch_execz .LBB6_357
; %bb.350:                              ;   in Loop: Header=BB6_348 Depth=4
	v_cmp_ne_u16_e32 vcc, s94, v50
	v_bfrev_b32_e32 v3, 1
	s_and_saveexec_b64 s[70:71], vcc
	s_cbranch_execz .LBB6_356
; %bb.351:                              ;   in Loop: Header=BB6_348 Depth=4
	v_and_b32_e32 v3, 0x7c, v1
	v_and_b32_e32 v13, 3, v1
	v_cmp_ne_u32_e32 vcc, s95, v3
                                        ; implicit-def: $vgpr3
	s_and_saveexec_b64 s[72:73], vcc
	s_xor_b64 s[72:73], exec, s[72:73]
	s_cbranch_execz .LBB6_353
; %bb.352:                              ;   in Loop: Header=BB6_348 Depth=4
	v_ffbh_u32_e32 v17, v13
	v_bfe_u32 v3, v1, 2, 5
	v_min_u32_e32 v17, 32, v17
	v_subrev_u32_e32 v19, 29, v17
	v_sub_u32_e32 v17, 30, v17
	v_cmp_eq_u32_e32 vcc, 0, v3
	v_lshlrev_b64 v[40:41], v19, v[50:51]
	v_cndmask_b32_e32 v3, v3, v17, vcc
	v_bfrev_b32_e32 v17, 28
	v_bfe_i32 v15, v50, 0, 16
	v_and_b32_e32 v19, 3, v40
	v_lshl_add_u32 v3, v3, 23, v17
	v_cndmask_b32_e32 v13, v13, v19, vcc
	v_and_or_b32 v3, v15, s96, v3
	v_accvgpr_read_b32 v40, a30
	v_lshl_or_b32 v3, v13, 21, v3
                                        ; implicit-def: $vgpr13
.LBB6_353:                              ;   in Loop: Header=BB6_348 Depth=4
	s_andn2_saveexec_b64 s[72:73], s[72:73]
; %bb.354:                              ;   in Loop: Header=BB6_348 Depth=4
	v_cmp_lt_i16_e32 vcc, -1, v50
	v_mov_b32_e32 v3, 0xc7600000
	v_mov_b32_e32 v15, 0x47600000
	v_cndmask_b32_e32 v3, v3, v15, vcc
	v_cmp_eq_u32_e32 vcc, 0, v13
	v_mov_b32_e32 v13, 0x7f800001
	v_cndmask_b32_e32 v3, v13, v3, vcc
; %bb.355:                              ;   in Loop: Header=BB6_348 Depth=4
	s_or_b64 exec, exec, s[72:73]
.LBB6_356:                              ;   in Loop: Header=BB6_348 Depth=4
	s_or_b64 exec, exec, s[70:71]
.LBB6_357:                              ;   in Loop: Header=BB6_348 Depth=4
	s_or_b64 exec, exec, s[30:31]
	v_cmp_ne_u16_e32 vcc, 0, v14
	s_and_saveexec_b64 s[30:31], vcc
	s_cbranch_execz .LBB6_365
; %bb.358:                              ;   in Loop: Header=BB6_348 Depth=4
	v_cmp_ne_u16_e32 vcc, s94, v14
	v_bfrev_b32_e32 v7, 1
	s_and_saveexec_b64 s[70:71], vcc
	s_cbranch_execz .LBB6_364
; %bb.359:                              ;   in Loop: Header=BB6_348 Depth=4
	v_and_b32_e32 v7, 0x7c, v14
	v_and_b32_e32 v13, 3, v14
	v_cmp_ne_u32_e32 vcc, s95, v7
                                        ; implicit-def: $vgpr7
	s_and_saveexec_b64 s[72:73], vcc
	s_xor_b64 s[72:73], exec, s[72:73]
	s_cbranch_execz .LBB6_361
; %bb.360:                              ;   in Loop: Header=BB6_348 Depth=4
	v_ffbh_u32_e32 v19, v13
	v_and_b32_e32 v7, 0xff, v14
	v_min_u32_e32 v19, 32, v19
	v_mov_b32_e32 v15, v51
	v_bfe_u32 v7, v7, 2, 5
	v_subrev_u32_e32 v21, 29, v19
	v_lshlrev_b64 v[40:41], v21, v[14:15]
	v_sub_u32_e32 v15, 30, v19
	v_cmp_eq_u32_e32 vcc, 0, v7
	v_cndmask_b32_e32 v7, v7, v15, vcc
	v_bfrev_b32_e32 v15, 28
	v_bfe_i32 v17, v14, 0, 16
	v_and_b32_e32 v19, 3, v40
	v_lshl_add_u32 v7, v7, 23, v15
	v_cndmask_b32_e32 v13, v13, v19, vcc
	v_and_or_b32 v7, v17, s96, v7
	v_accvgpr_read_b32 v40, a30
	v_lshl_or_b32 v7, v13, 21, v7
                                        ; implicit-def: $vgpr13
.LBB6_361:                              ;   in Loop: Header=BB6_348 Depth=4
	s_andn2_saveexec_b64 s[72:73], s[72:73]
; %bb.362:                              ;   in Loop: Header=BB6_348 Depth=4
	v_cmp_lt_i16_e32 vcc, -1, v14
	v_mov_b32_e32 v7, 0xc7600000
	v_mov_b32_e32 v15, 0x47600000
	v_cndmask_b32_e32 v7, v7, v15, vcc
	v_cmp_eq_u32_e32 vcc, 0, v13
	v_mov_b32_e32 v13, 0x7f800001
	v_cndmask_b32_e32 v7, v13, v7, vcc
; %bb.363:                              ;   in Loop: Header=BB6_348 Depth=4
	s_or_b64 exec, exec, s[72:73]
.LBB6_364:                              ;   in Loop: Header=BB6_348 Depth=4
	s_or_b64 exec, exec, s[70:71]
.LBB6_365:                              ;   in Loop: Header=BB6_348 Depth=4
	s_or_b64 exec, exec, s[30:31]
	v_max_f32_e32 v7, v7, v7
	v_max_f32_e32 v3, v3, v3
	;; [unrolled: 1-line block ×3, first 2 shown]
	s_branch .LBB6_384
.LBB6_366:                              ;   in Loop: Header=BB6_348 Depth=4
                                        ; implicit-def: $vgpr3
	s_cbranch_execz .LBB6_384
; %bb.367:                              ;   in Loop: Header=BB6_348 Depth=4
	v_mov_b32_e32 v7, 0
	v_mov_b32_e32 v3, 0
	s_and_saveexec_b64 s[30:31], s[28:29]
	s_cbranch_execz .LBB6_375
; %bb.368:                              ;   in Loop: Header=BB6_348 Depth=4
	v_cmp_ne_u16_e32 vcc, s94, v50
	v_bfrev_b32_e32 v3, 1
	s_and_saveexec_b64 s[28:29], vcc
	s_cbranch_execz .LBB6_374
; %bb.369:                              ;   in Loop: Header=BB6_348 Depth=4
	v_and_b32_e32 v3, 0x7c, v1
	v_and_b32_e32 v13, 3, v1
	v_cmp_ne_u32_e32 vcc, s95, v3
                                        ; implicit-def: $vgpr3
	s_and_saveexec_b64 s[70:71], vcc
	s_xor_b64 s[70:71], exec, s[70:71]
	s_cbranch_execz .LBB6_371
; %bb.370:                              ;   in Loop: Header=BB6_348 Depth=4
	v_ffbh_u32_e32 v15, v13
	v_bfe_u32 v1, v1, 2, 5
	v_min_u32_e32 v15, 32, v15
	v_subrev_u32_e32 v17, 29, v15
	v_sub_u32_e32 v15, 30, v15
	v_cmp_eq_u32_e32 vcc, 0, v1
	v_lshlrev_b64 v[40:41], v17, v[50:51]
	v_cndmask_b32_e32 v1, v1, v15, vcc
	v_bfrev_b32_e32 v15, 28
	v_bfe_i32 v3, v50, 0, 16
	v_and_b32_e32 v17, 3, v40
	v_lshl_add_u32 v1, v1, 23, v15
	v_cndmask_b32_e32 v13, v13, v17, vcc
	v_and_or_b32 v1, v3, s96, v1
	v_accvgpr_read_b32 v40, a30
	v_lshl_or_b32 v3, v13, 21, v1
                                        ; implicit-def: $vgpr13
.LBB6_371:                              ;   in Loop: Header=BB6_348 Depth=4
	s_andn2_saveexec_b64 s[70:71], s[70:71]
; %bb.372:                              ;   in Loop: Header=BB6_348 Depth=4
	v_cmp_lt_i16_e32 vcc, -1, v50
	v_mov_b32_e32 v1, 0xc7600000
	v_mov_b32_e32 v3, 0x47600000
	v_cndmask_b32_e32 v1, v1, v3, vcc
	v_cmp_eq_u32_e32 vcc, 0, v13
	v_mov_b32_e32 v3, 0x7f800001
	v_cndmask_b32_e32 v3, v3, v1, vcc
; %bb.373:                              ;   in Loop: Header=BB6_348 Depth=4
	s_or_b64 exec, exec, s[70:71]
.LBB6_374:                              ;   in Loop: Header=BB6_348 Depth=4
	s_or_b64 exec, exec, s[28:29]
.LBB6_375:                              ;   in Loop: Header=BB6_348 Depth=4
	s_or_b64 exec, exec, s[30:31]
	v_cmp_ne_u16_e32 vcc, 0, v14
	s_and_saveexec_b64 s[28:29], vcc
	s_cbranch_execz .LBB6_383
; %bb.376:                              ;   in Loop: Header=BB6_348 Depth=4
	v_cmp_ne_u16_e32 vcc, s94, v14
	v_bfrev_b32_e32 v7, 1
	s_and_saveexec_b64 s[30:31], vcc
	s_cbranch_execz .LBB6_382
; %bb.377:                              ;   in Loop: Header=BB6_348 Depth=4
	v_and_b32_e32 v7, 0x7c, v14
	v_and_b32_e32 v1, 3, v14
	v_cmp_ne_u32_e32 vcc, s95, v7
                                        ; implicit-def: $vgpr7
	s_and_saveexec_b64 s[70:71], vcc
	s_xor_b64 s[70:71], exec, s[70:71]
	s_cbranch_execz .LBB6_379
; %bb.378:                              ;   in Loop: Header=BB6_348 Depth=4
	v_ffbh_u32_e32 v17, v1
	v_min_u32_e32 v17, 32, v17
	v_and_b32_e32 v7, 0xff, v14
	v_mov_b32_e32 v15, v51
	v_subrev_u32_e32 v19, 29, v17
	v_bfe_u32 v7, v7, 2, 5
	v_bfe_i32 v13, v14, 0, 16
	v_lshlrev_b64 v[14:15], v19, v[14:15]
	v_sub_u32_e32 v15, 30, v17
	v_and_b32_e32 v14, 3, v14
	v_cmp_eq_u32_e32 vcc, 0, v7
	v_cndmask_b32_e32 v7, v7, v15, vcc
	v_cndmask_b32_e32 v1, v1, v14, vcc
	v_bfrev_b32_e32 v14, 28
	v_lshl_add_u32 v7, v7, 23, v14
	v_and_or_b32 v7, v13, s96, v7
	v_lshl_or_b32 v7, v1, 21, v7
                                        ; implicit-def: $vgpr1
                                        ; implicit-def: $vgpr14
.LBB6_379:                              ;   in Loop: Header=BB6_348 Depth=4
	s_andn2_saveexec_b64 s[70:71], s[70:71]
; %bb.380:                              ;   in Loop: Header=BB6_348 Depth=4
	v_cmp_lt_i16_e32 vcc, -1, v14
	v_mov_b32_e32 v7, 0xc7600000
	v_mov_b32_e32 v13, 0x47600000
	v_cndmask_b32_e32 v7, v7, v13, vcc
	v_cmp_eq_u32_e32 vcc, 0, v1
	v_mov_b32_e32 v1, 0x7f800001
	v_cndmask_b32_e32 v7, v1, v7, vcc
; %bb.381:                              ;   in Loop: Header=BB6_348 Depth=4
	s_or_b64 exec, exec, s[70:71]
.LBB6_382:                              ;   in Loop: Header=BB6_348 Depth=4
	s_or_b64 exec, exec, s[30:31]
.LBB6_383:                              ;   in Loop: Header=BB6_348 Depth=4
	s_or_b64 exec, exec, s[28:29]
	v_max_f32_e32 v1, v7, v7
	v_max_f32_e32 v3, v3, v3
	v_min_f32_e32 v3, v3, v1
.LBB6_384:                              ;   in Loop: Header=BB6_348 Depth=4
	v_and_b32_sdwa v1, v3, s97 dst_sel:DWORD dst_unused:UNUSED_PAD src0_sel:BYTE_3 src1_sel:DWORD
	v_and_b32_e32 v14, 0x7f800000, v3
	v_mov_b32_e32 v15, v51
	v_and_b32_e32 v50, 0x7fffff, v3
	v_or_b32_e32 v41, 0x7b, v1
	v_cmp_ne_u64_e32 vcc, s[52:53], v[14:15]
	s_and_saveexec_b64 s[28:29], vcc
	s_xor_b64 s[30:31], exec, s[28:29]
	s_cbranch_execz .LBB6_398
; %bb.385:                              ;   in Loop: Header=BB6_348 Depth=4
	v_and_b32_e32 v14, 0x7fffffff, v3
	v_mov_b32_e32 v15, v51
	v_cmp_gt_u64_e32 vcc, s[54:55], v[14:15]
	s_and_saveexec_b64 s[28:29], vcc
	s_xor_b64 s[70:71], exec, s[28:29]
	s_cbranch_execz .LBB6_397
; %bb.386:                              ;   in Loop: Header=BB6_348 Depth=4
	v_cmp_ne_u32_e32 vcc, 0, v3
	v_mov_b32_e32 v41, 0
	s_and_saveexec_b64 s[72:73], vcc
	s_cbranch_execz .LBB6_396
; %bb.387:                              ;   in Loop: Header=BB6_348 Depth=4
	v_bfe_u32 v3, v3, 23, 8
	v_cmp_eq_u32_e32 vcc, 0, v3
	v_add_u32_e32 v7, 0xffffff81, v3
	v_cmp_gt_u32_e64 s[28:29], s38, v3
	v_sub_u32_e32 v3, 0x71, v3
	v_mov_b32_e32 v14, 0xffffff82
	v_cndmask_b32_e64 v3, 0, v3, s[28:29]
	v_cndmask_b32_e32 v7, v7, v14, vcc
	v_mov_b32_e32 v14, 0x70
	v_or_b32_e32 v13, 0x800000, v50
	v_cndmask_b32_e32 v3, v3, v14, vcc
	v_cndmask_b32_e32 v50, v13, v50, vcc
	v_add_u32_e32 v13, 21, v3
	v_lshlrev_b64 v[14:15], v13, -1
	v_not_b32_e32 v13, v15
	v_not_b32_e32 v14, v14
	v_and_b32_e32 v15, 0, v13
	v_add_u32_e32 v13, 20, v3
	v_and_b32_e32 v14, v50, v14
	v_lshlrev_b64 v[40:41], v13, 1
	v_cmp_eq_u64_e32 vcc, v[14:15], v[40:41]
	v_lshrrev_b64 v[14:15], v3, v[50:51]
	v_lshrrev_b32_e32 v13, 23, v14
	v_add3_u32 v13, v3, v7, v13
	v_bfe_u32 v3, v14, 21, 1
	v_add_u32_e32 v3, -1, v3
	v_cndmask_b32_e32 v3, 0, v3, vcc
	v_add_u32_e32 v3, v3, v14
	v_and_b32_e32 v3, 0x1fffff, v3
	v_add_co_u32_e32 v14, vcc, v3, v14
	v_add_u32_e32 v7, 14, v13
	v_addc_co_u32_e32 v15, vcc, 0, v15, vcc
	v_cmp_ne_u32_e32 vcc, 0, v7
                                        ; implicit-def: $vgpr3
	s_and_saveexec_b64 s[28:29], vcc
	s_xor_b64 s[28:29], exec, s[28:29]
; %bb.388:                              ;   in Loop: Header=BB6_348 Depth=4
	v_add_u32_e32 v3, 15, v13
	v_cmp_lt_u64_e32 vcc, s[56:57], v[14:15]
	v_cndmask_b32_e32 v3, v7, v3, vcc
	v_cndmask_b32_e64 v7, 0, 1, vcc
	v_lshrrev_b64 v[14:15], v7, v[14:15]
; %bb.389:                              ;   in Loop: Header=BB6_348 Depth=4
	s_andn2_saveexec_b64 s[28:29], s[28:29]
; %bb.390:                              ;   in Loop: Header=BB6_348 Depth=4
	v_bfe_u32 v3, v14, 23, 1
; %bb.391:                              ;   in Loop: Header=BB6_348 Depth=4
	s_or_b64 exec, exec, s[28:29]
	v_lshrrev_b64 v[14:15], 21, v[14:15]
	v_cmp_gt_i32_e32 vcc, 32, v3
	v_cndmask_b32_e32 v15, 0, v15, vcc
	v_cndmask_b32_e32 v14, 3, v14, vcc
	v_cmp_ne_u32_e32 vcc, 0, v3
	v_cmp_ne_u64_e64 s[28:29], 0, v[14:15]
	s_or_b64 s[28:29], vcc, s[28:29]
                                        ; implicit-def: $vgpr41
	s_mov_b64 vcc, exec
	s_and_b64 s[74:75], vcc, s[28:29]
	s_xor_b64 s[28:29], s[74:75], vcc
	v_accvgpr_read_b32 v40, a30
	s_mov_b64 exec, s[74:75]
; %bb.392:                              ;   in Loop: Header=BB6_348 Depth=4
	v_min_i32_e32 v3, 31, v3
	v_lshl_or_b32 v1, v3, 2, v1
	v_and_or_b32 v41, v14, 3, v1
                                        ; implicit-def: $vgpr1
; %bb.393:                              ;   in Loop: Header=BB6_348 Depth=4
	s_andn2_saveexec_b64 s[28:29], s[28:29]
; %bb.394:                              ;   in Loop: Header=BB6_348 Depth=4
	v_mov_b32_e32 v41, v1
; %bb.395:                              ;   in Loop: Header=BB6_348 Depth=4
	s_or_b64 exec, exec, s[28:29]
.LBB6_396:                              ;   in Loop: Header=BB6_348 Depth=4
	s_or_b64 exec, exec, s[72:73]
.LBB6_397:                              ;   in Loop: Header=BB6_348 Depth=4
	s_andn2_saveexec_b64 s[28:29], s[70:71]
	s_or_b64 exec, exec, s[28:29]
                                        ; implicit-def: $vgpr3
.LBB6_398:                              ;   in Loop: Header=BB6_348 Depth=4
	s_andn2_saveexec_b64 s[28:29], s[30:31]
; %bb.399:                              ;   in Loop: Header=BB6_348 Depth=4
	v_or_b32_sdwa v1, v3, s39 dst_sel:DWORD dst_unused:UNUSED_PAD src0_sel:BYTE_3 src1_sel:DWORD
	v_cmp_eq_u64_e32 vcc, 0, v[50:51]
	v_cndmask_b32_e32 v41, v1, v41, vcc
; %bb.400:                              ;   in Loop: Header=BB6_348 Depth=4
	s_or_b64 exec, exec, s[28:29]
	v_cndmask_b32_e64 v3, 0, 1, s[66:67]
	v_and_b32_e32 v1, 0xff, v32
	v_cmp_ne_u32_e64 s[28:29], 1, v3
	s_andn2_b64 vcc, exec, s[66:67]
	v_cmp_ne_u16_e64 s[30:31], 0, v32
	s_cbranch_vccnz .LBB6_418
; %bb.401:                              ;   in Loop: Header=BB6_348 Depth=4
	v_mov_b32_e32 v7, 0
	v_mov_b32_e32 v3, 0
	s_and_saveexec_b64 s[70:71], s[30:31]
	s_cbranch_execz .LBB6_409
; %bb.402:                              ;   in Loop: Header=BB6_348 Depth=4
	v_cmp_ne_u16_e32 vcc, s94, v32
	v_bfrev_b32_e32 v3, 1
	s_and_saveexec_b64 s[72:73], vcc
	s_cbranch_execz .LBB6_408
; %bb.403:                              ;   in Loop: Header=BB6_348 Depth=4
	v_and_b32_e32 v3, 0x7c, v1
	v_and_b32_e32 v13, 3, v1
	v_cmp_ne_u32_e32 vcc, s95, v3
                                        ; implicit-def: $vgpr3
	s_and_saveexec_b64 s[74:75], vcc
	s_xor_b64 s[74:75], exec, s[74:75]
	s_cbranch_execz .LBB6_405
; %bb.404:                              ;   in Loop: Header=BB6_348 Depth=4
	v_ffbh_u32_e32 v14, v13
	v_min_u32_e32 v19, 32, v14
	v_mov_b32_e32 v33, v51
	v_subrev_u32_e32 v14, 29, v19
	v_bfe_u32 v3, v1, 2, 5
	v_lshlrev_b64 v[14:15], v14, v[32:33]
	v_sub_u32_e32 v15, 30, v19
	v_and_b32_e32 v14, 3, v14
	v_cmp_eq_u32_e32 vcc, 0, v3
	v_cndmask_b32_e32 v3, v3, v15, vcc
	v_cndmask_b32_e32 v13, v13, v14, vcc
	v_bfrev_b32_e32 v14, 28
	v_bfe_i32 v17, v32, 0, 16
	v_lshl_add_u32 v3, v3, 23, v14
	v_and_or_b32 v3, v17, s96, v3
	v_lshl_or_b32 v3, v13, 21, v3
                                        ; implicit-def: $vgpr13
.LBB6_405:                              ;   in Loop: Header=BB6_348 Depth=4
	s_andn2_saveexec_b64 s[74:75], s[74:75]
; %bb.406:                              ;   in Loop: Header=BB6_348 Depth=4
	v_cmp_lt_i16_e32 vcc, -1, v32
	v_mov_b32_e32 v3, 0xc7600000
	v_mov_b32_e32 v14, 0x47600000
	v_cndmask_b32_e32 v3, v3, v14, vcc
	v_cmp_eq_u32_e32 vcc, 0, v13
	v_mov_b32_e32 v13, 0x7f800001
	v_cndmask_b32_e32 v3, v13, v3, vcc
; %bb.407:                              ;   in Loop: Header=BB6_348 Depth=4
	s_or_b64 exec, exec, s[74:75]
.LBB6_408:                              ;   in Loop: Header=BB6_348 Depth=4
	s_or_b64 exec, exec, s[72:73]
.LBB6_409:                              ;   in Loop: Header=BB6_348 Depth=4
	s_or_b64 exec, exec, s[70:71]
	v_cmp_ne_u16_e32 vcc, 0, v34
	s_and_saveexec_b64 s[70:71], vcc
	s_cbranch_execz .LBB6_417
; %bb.410:                              ;   in Loop: Header=BB6_348 Depth=4
	v_cmp_ne_u16_e32 vcc, s94, v34
	v_bfrev_b32_e32 v7, 1
	s_and_saveexec_b64 s[72:73], vcc
	s_cbranch_execz .LBB6_416
; %bb.411:                              ;   in Loop: Header=BB6_348 Depth=4
	v_and_b32_e32 v7, 0x7c, v34
	v_and_b32_e32 v13, 3, v34
	v_cmp_ne_u32_e32 vcc, s95, v7
                                        ; implicit-def: $vgpr7
	s_and_saveexec_b64 s[74:75], vcc
	s_xor_b64 s[74:75], exec, s[74:75]
	s_cbranch_execz .LBB6_413
; %bb.412:                              ;   in Loop: Header=BB6_348 Depth=4
	v_ffbh_u32_e32 v14, v13
	v_min_u32_e32 v19, 32, v14
	v_and_b32_e32 v7, 0xff, v34
	v_mov_b32_e32 v35, v51
	v_subrev_u32_e32 v14, 29, v19
	v_bfe_u32 v7, v7, 2, 5
	v_lshlrev_b64 v[14:15], v14, v[34:35]
	v_sub_u32_e32 v15, 30, v19
	v_and_b32_e32 v14, 3, v14
	v_cmp_eq_u32_e32 vcc, 0, v7
	v_cndmask_b32_e32 v7, v7, v15, vcc
	v_cndmask_b32_e32 v13, v13, v14, vcc
	v_bfrev_b32_e32 v14, 28
	v_bfe_i32 v17, v34, 0, 16
	v_lshl_add_u32 v7, v7, 23, v14
	v_and_or_b32 v7, v17, s96, v7
	v_lshl_or_b32 v7, v13, 21, v7
                                        ; implicit-def: $vgpr13
.LBB6_413:                              ;   in Loop: Header=BB6_348 Depth=4
	s_andn2_saveexec_b64 s[74:75], s[74:75]
; %bb.414:                              ;   in Loop: Header=BB6_348 Depth=4
	v_cmp_lt_i16_e32 vcc, -1, v34
	v_mov_b32_e32 v7, 0xc7600000
	v_mov_b32_e32 v14, 0x47600000
	v_cndmask_b32_e32 v7, v7, v14, vcc
	v_cmp_eq_u32_e32 vcc, 0, v13
	v_mov_b32_e32 v13, 0x7f800001
	v_cndmask_b32_e32 v7, v13, v7, vcc
; %bb.415:                              ;   in Loop: Header=BB6_348 Depth=4
	s_or_b64 exec, exec, s[74:75]
.LBB6_416:                              ;   in Loop: Header=BB6_348 Depth=4
	s_or_b64 exec, exec, s[72:73]
.LBB6_417:                              ;   in Loop: Header=BB6_348 Depth=4
	s_or_b64 exec, exec, s[70:71]
	v_max_f32_e32 v7, v7, v7
	v_max_f32_e32 v3, v3, v3
	v_max_f32_e32 v3, v3, v7
	s_branch .LBB6_436
.LBB6_418:                              ;   in Loop: Header=BB6_348 Depth=4
                                        ; implicit-def: $vgpr3
	s_cbranch_execz .LBB6_436
; %bb.419:                              ;   in Loop: Header=BB6_348 Depth=4
	v_mov_b32_e32 v7, 0
	v_mov_b32_e32 v3, 0
	s_and_saveexec_b64 s[70:71], s[30:31]
	s_cbranch_execz .LBB6_427
; %bb.420:                              ;   in Loop: Header=BB6_348 Depth=4
	v_cmp_ne_u16_e32 vcc, s94, v32
	v_bfrev_b32_e32 v3, 1
	s_and_saveexec_b64 s[30:31], vcc
	s_cbranch_execz .LBB6_426
; %bb.421:                              ;   in Loop: Header=BB6_348 Depth=4
	v_and_b32_e32 v3, 0x7c, v1
	v_and_b32_e32 v13, 3, v1
	v_cmp_ne_u32_e32 vcc, s95, v3
                                        ; implicit-def: $vgpr3
	s_and_saveexec_b64 s[72:73], vcc
	s_xor_b64 s[72:73], exec, s[72:73]
	s_cbranch_execz .LBB6_423
; %bb.422:                              ;   in Loop: Header=BB6_348 Depth=4
	v_ffbh_u32_e32 v14, v13
	v_min_u32_e32 v17, 32, v14
	v_mov_b32_e32 v33, v51
	v_subrev_u32_e32 v14, 29, v17
	v_bfe_u32 v1, v1, 2, 5
	v_lshlrev_b64 v[14:15], v14, v[32:33]
	v_sub_u32_e32 v15, 30, v17
	v_and_b32_e32 v14, 3, v14
	v_cmp_eq_u32_e32 vcc, 0, v1
	v_cndmask_b32_e32 v1, v1, v15, vcc
	v_cndmask_b32_e32 v13, v13, v14, vcc
	v_bfrev_b32_e32 v14, 28
	v_bfe_i32 v3, v32, 0, 16
	v_lshl_add_u32 v1, v1, 23, v14
	v_and_or_b32 v1, v3, s96, v1
	v_lshl_or_b32 v3, v13, 21, v1
                                        ; implicit-def: $vgpr13
                                        ; implicit-def: $vgpr32
.LBB6_423:                              ;   in Loop: Header=BB6_348 Depth=4
	s_andn2_saveexec_b64 s[72:73], s[72:73]
; %bb.424:                              ;   in Loop: Header=BB6_348 Depth=4
	v_cmp_lt_i16_e32 vcc, -1, v32
	v_mov_b32_e32 v1, 0xc7600000
	v_mov_b32_e32 v3, 0x47600000
	v_cndmask_b32_e32 v1, v1, v3, vcc
	v_cmp_eq_u32_e32 vcc, 0, v13
	v_mov_b32_e32 v3, 0x7f800001
	v_cndmask_b32_e32 v3, v3, v1, vcc
; %bb.425:                              ;   in Loop: Header=BB6_348 Depth=4
	s_or_b64 exec, exec, s[72:73]
.LBB6_426:                              ;   in Loop: Header=BB6_348 Depth=4
	s_or_b64 exec, exec, s[30:31]
.LBB6_427:                              ;   in Loop: Header=BB6_348 Depth=4
	s_or_b64 exec, exec, s[70:71]
	v_cmp_ne_u16_e32 vcc, 0, v34
	s_and_saveexec_b64 s[30:31], vcc
	s_cbranch_execz .LBB6_435
; %bb.428:                              ;   in Loop: Header=BB6_348 Depth=4
	v_cmp_ne_u16_e32 vcc, s94, v34
	v_bfrev_b32_e32 v7, 1
	s_and_saveexec_b64 s[70:71], vcc
	s_cbranch_execz .LBB6_434
; %bb.429:                              ;   in Loop: Header=BB6_348 Depth=4
	v_and_b32_e32 v7, 0x7c, v34
	v_and_b32_e32 v1, 3, v34
	v_cmp_ne_u32_e32 vcc, s95, v7
                                        ; implicit-def: $vgpr7
	s_and_saveexec_b64 s[72:73], vcc
	s_xor_b64 s[72:73], exec, s[72:73]
	s_cbranch_execz .LBB6_431
; %bb.430:                              ;   in Loop: Header=BB6_348 Depth=4
	v_ffbh_u32_e32 v14, v1
	v_min_u32_e32 v17, 32, v14
	v_and_b32_e32 v7, 0xff, v34
	v_mov_b32_e32 v35, v51
	v_subrev_u32_e32 v14, 29, v17
	v_bfe_u32 v7, v7, 2, 5
	v_lshlrev_b64 v[14:15], v14, v[34:35]
	v_sub_u32_e32 v15, 30, v17
	v_and_b32_e32 v14, 3, v14
	v_cmp_eq_u32_e32 vcc, 0, v7
	v_cndmask_b32_e32 v7, v7, v15, vcc
	v_cndmask_b32_e32 v1, v1, v14, vcc
	v_bfrev_b32_e32 v14, 28
	v_bfe_i32 v13, v34, 0, 16
	v_lshl_add_u32 v7, v7, 23, v14
	v_and_or_b32 v7, v13, s96, v7
	v_lshl_or_b32 v7, v1, 21, v7
                                        ; implicit-def: $vgpr1
                                        ; implicit-def: $vgpr34
.LBB6_431:                              ;   in Loop: Header=BB6_348 Depth=4
	s_andn2_saveexec_b64 s[72:73], s[72:73]
; %bb.432:                              ;   in Loop: Header=BB6_348 Depth=4
	v_cmp_lt_i16_e32 vcc, -1, v34
	v_mov_b32_e32 v7, 0xc7600000
	v_mov_b32_e32 v13, 0x47600000
	v_cndmask_b32_e32 v7, v7, v13, vcc
	v_cmp_eq_u32_e32 vcc, 0, v1
	v_mov_b32_e32 v1, 0x7f800001
	v_cndmask_b32_e32 v7, v1, v7, vcc
; %bb.433:                              ;   in Loop: Header=BB6_348 Depth=4
	s_or_b64 exec, exec, s[72:73]
.LBB6_434:                              ;   in Loop: Header=BB6_348 Depth=4
	s_or_b64 exec, exec, s[70:71]
.LBB6_435:                              ;   in Loop: Header=BB6_348 Depth=4
	s_or_b64 exec, exec, s[30:31]
	v_max_f32_e32 v1, v7, v7
	v_max_f32_e32 v3, v3, v3
	v_min_f32_e32 v3, v3, v1
.LBB6_436:                              ;   in Loop: Header=BB6_348 Depth=4
	v_and_b32_sdwa v1, v3, s97 dst_sel:DWORD dst_unused:UNUSED_PAD src0_sel:BYTE_3 src1_sel:DWORD
	v_and_b32_e32 v14, 0x7f800000, v3
	v_mov_b32_e32 v15, v51
	v_and_b32_e32 v50, 0x7fffff, v3
	v_or_b32_e32 v32, 0x7b, v1
	v_cmp_ne_u64_e32 vcc, s[52:53], v[14:15]
	s_and_saveexec_b64 s[30:31], vcc
	s_xor_b64 s[70:71], exec, s[30:31]
	s_cbranch_execz .LBB6_450
; %bb.437:                              ;   in Loop: Header=BB6_348 Depth=4
	v_and_b32_e32 v14, 0x7fffffff, v3
	v_mov_b32_e32 v15, v51
	v_cmp_gt_u64_e32 vcc, s[54:55], v[14:15]
	s_and_saveexec_b64 s[30:31], vcc
	s_xor_b64 s[72:73], exec, s[30:31]
	s_cbranch_execz .LBB6_449
; %bb.438:                              ;   in Loop: Header=BB6_348 Depth=4
	v_cmp_ne_u32_e32 vcc, 0, v3
	v_mov_b32_e32 v32, 0
	s_and_saveexec_b64 s[74:75], vcc
	s_cbranch_execz .LBB6_448
; %bb.439:                              ;   in Loop: Header=BB6_348 Depth=4
	v_bfe_u32 v3, v3, 23, 8
	v_cmp_eq_u32_e32 vcc, 0, v3
	v_add_u32_e32 v7, 0xffffff81, v3
	v_cmp_gt_u32_e64 s[30:31], s38, v3
	v_sub_u32_e32 v3, 0x71, v3
	v_mov_b32_e32 v14, 0xffffff82
	v_cndmask_b32_e64 v3, 0, v3, s[30:31]
	v_cndmask_b32_e32 v7, v7, v14, vcc
	v_mov_b32_e32 v14, 0x70
	v_or_b32_e32 v13, 0x800000, v50
	v_cndmask_b32_e32 v3, v3, v14, vcc
	v_cndmask_b32_e32 v50, v13, v50, vcc
	v_add_u32_e32 v13, 21, v3
	v_lshlrev_b64 v[14:15], v13, -1
	v_not_b32_e32 v13, v15
	v_not_b32_e32 v14, v14
	v_and_b32_e32 v15, 0, v13
	v_add_u32_e32 v13, 20, v3
	v_and_b32_e32 v14, v50, v14
	v_lshlrev_b64 v[32:33], v13, 1
	v_cmp_eq_u64_e32 vcc, v[14:15], v[32:33]
	v_lshrrev_b64 v[14:15], v3, v[50:51]
	v_lshrrev_b32_e32 v13, 23, v14
	v_add3_u32 v13, v3, v7, v13
	v_bfe_u32 v3, v14, 21, 1
	v_add_u32_e32 v3, -1, v3
	v_cndmask_b32_e32 v3, 0, v3, vcc
	v_add_u32_e32 v3, v3, v14
	v_and_b32_e32 v3, 0x1fffff, v3
	v_add_co_u32_e32 v14, vcc, v3, v14
	v_add_u32_e32 v7, 14, v13
	v_addc_co_u32_e32 v15, vcc, 0, v15, vcc
	v_cmp_ne_u32_e32 vcc, 0, v7
                                        ; implicit-def: $vgpr3
	s_and_saveexec_b64 s[30:31], vcc
	s_xor_b64 s[30:31], exec, s[30:31]
; %bb.440:                              ;   in Loop: Header=BB6_348 Depth=4
	v_add_u32_e32 v3, 15, v13
	v_cmp_lt_u64_e32 vcc, s[56:57], v[14:15]
	v_cndmask_b32_e32 v3, v7, v3, vcc
	v_cndmask_b32_e64 v7, 0, 1, vcc
	v_lshrrev_b64 v[14:15], v7, v[14:15]
; %bb.441:                              ;   in Loop: Header=BB6_348 Depth=4
	s_andn2_saveexec_b64 vcc, s[30:31]
; %bb.442:                              ;   in Loop: Header=BB6_348 Depth=4
	v_bfe_u32 v3, v14, 23, 1
; %bb.443:                              ;   in Loop: Header=BB6_348 Depth=4
	s_or_b64 exec, exec, vcc
	v_lshrrev_b64 v[14:15], 21, v[14:15]
	v_cmp_gt_i32_e32 vcc, 32, v3
	v_cndmask_b32_e32 v15, 0, v15, vcc
	v_cndmask_b32_e32 v14, 3, v14, vcc
	v_cmp_ne_u32_e32 vcc, 0, v3
	v_cmp_ne_u64_e64 s[30:31], 0, v[14:15]
	s_or_b64 vcc, vcc, s[30:31]
                                        ; implicit-def: $vgpr32
	s_and_saveexec_b64 s[30:31], vcc
	s_xor_b64 vcc, exec, s[30:31]
; %bb.444:                              ;   in Loop: Header=BB6_348 Depth=4
	v_min_i32_e32 v3, 31, v3
	v_lshl_or_b32 v1, v3, 2, v1
	v_and_or_b32 v32, v14, 3, v1
                                        ; implicit-def: $vgpr1
; %bb.445:                              ;   in Loop: Header=BB6_348 Depth=4
	s_andn2_saveexec_b64 vcc, vcc
; %bb.446:                              ;   in Loop: Header=BB6_348 Depth=4
	v_mov_b32_e32 v32, v1
; %bb.447:                              ;   in Loop: Header=BB6_348 Depth=4
	s_or_b64 exec, exec, vcc
.LBB6_448:                              ;   in Loop: Header=BB6_348 Depth=4
	s_or_b64 exec, exec, s[74:75]
.LBB6_449:                              ;   in Loop: Header=BB6_348 Depth=4
	s_andn2_saveexec_b64 vcc, s[72:73]
	s_or_b64 exec, exec, vcc
                                        ; implicit-def: $vgpr3
.LBB6_450:                              ;   in Loop: Header=BB6_348 Depth=4
	s_andn2_saveexec_b64 s[30:31], s[70:71]
; %bb.451:                              ;   in Loop: Header=BB6_348 Depth=4
	v_or_b32_sdwa v1, v3, s39 dst_sel:DWORD dst_unused:UNUSED_PAD src0_sel:BYTE_3 src1_sel:DWORD
	v_cmp_eq_u64_e32 vcc, 0, v[50:51]
	v_cndmask_b32_e32 v32, v1, v32, vcc
; %bb.452:                              ;   in Loop: Header=BB6_348 Depth=4
	s_or_b64 exec, exec, s[30:31]
	v_and_b32_e32 v1, 0xff, v48
	s_and_b64 vcc, exec, s[28:29]
	v_cmp_ne_u16_e64 s[30:31], 0, v48
	s_cbranch_vccnz .LBB6_470
; %bb.453:                              ;   in Loop: Header=BB6_348 Depth=4
	v_mov_b32_e32 v7, 0
	v_mov_b32_e32 v3, 0
	s_and_saveexec_b64 s[70:71], s[30:31]
	s_cbranch_execz .LBB6_461
; %bb.454:                              ;   in Loop: Header=BB6_348 Depth=4
	v_cmp_ne_u16_e32 vcc, s94, v48
	v_bfrev_b32_e32 v3, 1
	s_and_saveexec_b64 s[72:73], vcc
	s_cbranch_execz .LBB6_460
; %bb.455:                              ;   in Loop: Header=BB6_348 Depth=4
	v_and_b32_e32 v3, 0x7c, v1
	v_and_b32_e32 v13, 3, v1
	v_cmp_ne_u32_e32 vcc, s95, v3
                                        ; implicit-def: $vgpr3
	s_and_saveexec_b64 s[50:51], vcc
	s_xor_b64 s[74:75], exec, s[50:51]
	s_cbranch_execz .LBB6_457
; %bb.456:                              ;   in Loop: Header=BB6_348 Depth=4
	v_ffbh_u32_e32 v14, v13
	v_min_u32_e32 v19, 32, v14
	v_mov_b32_e32 v49, v51
	v_subrev_u32_e32 v14, 29, v19
	v_bfe_u32 v3, v1, 2, 5
	v_lshlrev_b64 v[14:15], v14, v[48:49]
	v_sub_u32_e32 v15, 30, v19
	v_and_b32_e32 v14, 3, v14
	v_cmp_eq_u32_e32 vcc, 0, v3
	v_cndmask_b32_e32 v3, v3, v15, vcc
	v_cndmask_b32_e32 v13, v13, v14, vcc
	v_bfrev_b32_e32 v14, 28
	v_bfe_i32 v17, v48, 0, 16
	v_lshl_add_u32 v3, v3, 23, v14
	v_and_or_b32 v3, v17, s96, v3
	v_lshl_or_b32 v3, v13, 21, v3
                                        ; implicit-def: $vgpr13
.LBB6_457:                              ;   in Loop: Header=BB6_348 Depth=4
	s_andn2_saveexec_b64 s[74:75], s[74:75]
; %bb.458:                              ;   in Loop: Header=BB6_348 Depth=4
	v_cmp_lt_i16_e32 vcc, -1, v48
	v_mov_b32_e32 v3, 0xc7600000
	v_mov_b32_e32 v14, 0x47600000
	v_cndmask_b32_e32 v3, v3, v14, vcc
	v_cmp_eq_u32_e32 vcc, 0, v13
	v_mov_b32_e32 v13, 0x7f800001
	v_cndmask_b32_e32 v3, v13, v3, vcc
; %bb.459:                              ;   in Loop: Header=BB6_348 Depth=4
	s_or_b64 exec, exec, s[74:75]
.LBB6_460:                              ;   in Loop: Header=BB6_348 Depth=4
	s_or_b64 exec, exec, s[72:73]
.LBB6_461:                              ;   in Loop: Header=BB6_348 Depth=4
	s_or_b64 exec, exec, s[70:71]
	v_cmp_ne_u16_e32 vcc, 0, v52
	s_and_saveexec_b64 s[70:71], vcc
	s_cbranch_execz .LBB6_469
; %bb.462:                              ;   in Loop: Header=BB6_348 Depth=4
	v_cmp_ne_u16_e32 vcc, s94, v52
	v_bfrev_b32_e32 v7, 1
	s_and_saveexec_b64 s[72:73], vcc
	s_cbranch_execz .LBB6_468
; %bb.463:                              ;   in Loop: Header=BB6_348 Depth=4
	v_and_b32_e32 v7, 0x7c, v52
	v_and_b32_e32 v13, 3, v52
	v_cmp_ne_u32_e32 vcc, s95, v7
                                        ; implicit-def: $vgpr7
	s_and_saveexec_b64 s[50:51], vcc
	s_xor_b64 s[74:75], exec, s[50:51]
	s_cbranch_execz .LBB6_465
; %bb.464:                              ;   in Loop: Header=BB6_348 Depth=4
	v_ffbh_u32_e32 v14, v13
	v_min_u32_e32 v19, 32, v14
	v_and_b32_e32 v7, 0xff, v52
	v_mov_b32_e32 v53, v51
	v_subrev_u32_e32 v14, 29, v19
	v_bfe_u32 v7, v7, 2, 5
	v_lshlrev_b64 v[14:15], v14, v[52:53]
	v_sub_u32_e32 v15, 30, v19
	v_and_b32_e32 v14, 3, v14
	v_cmp_eq_u32_e32 vcc, 0, v7
	v_cndmask_b32_e32 v7, v7, v15, vcc
	v_cndmask_b32_e32 v13, v13, v14, vcc
	v_bfrev_b32_e32 v14, 28
	v_bfe_i32 v17, v52, 0, 16
	v_lshl_add_u32 v7, v7, 23, v14
	v_and_or_b32 v7, v17, s96, v7
	v_lshl_or_b32 v7, v13, 21, v7
                                        ; implicit-def: $vgpr13
.LBB6_465:                              ;   in Loop: Header=BB6_348 Depth=4
	s_andn2_saveexec_b64 s[74:75], s[74:75]
; %bb.466:                              ;   in Loop: Header=BB6_348 Depth=4
	v_cmp_lt_i16_e32 vcc, -1, v52
	v_mov_b32_e32 v7, 0xc7600000
	v_mov_b32_e32 v14, 0x47600000
	v_cndmask_b32_e32 v7, v7, v14, vcc
	v_cmp_eq_u32_e32 vcc, 0, v13
	v_mov_b32_e32 v13, 0x7f800001
	v_cndmask_b32_e32 v7, v13, v7, vcc
; %bb.467:                              ;   in Loop: Header=BB6_348 Depth=4
	s_or_b64 exec, exec, s[74:75]
.LBB6_468:                              ;   in Loop: Header=BB6_348 Depth=4
	s_or_b64 exec, exec, s[72:73]
.LBB6_469:                              ;   in Loop: Header=BB6_348 Depth=4
	s_or_b64 exec, exec, s[70:71]
	v_max_f32_e32 v7, v7, v7
	v_max_f32_e32 v3, v3, v3
	;; [unrolled: 1-line block ×3, first 2 shown]
	s_branch .LBB6_488
.LBB6_470:                              ;   in Loop: Header=BB6_348 Depth=4
                                        ; implicit-def: $vgpr3
	s_cbranch_execz .LBB6_488
; %bb.471:                              ;   in Loop: Header=BB6_348 Depth=4
	v_mov_b32_e32 v7, 0
	v_mov_b32_e32 v3, 0
	s_and_saveexec_b64 s[70:71], s[30:31]
	s_cbranch_execz .LBB6_479
; %bb.472:                              ;   in Loop: Header=BB6_348 Depth=4
	v_cmp_ne_u16_e32 vcc, s94, v48
	v_bfrev_b32_e32 v3, 1
	s_and_saveexec_b64 s[30:31], vcc
	s_cbranch_execz .LBB6_478
; %bb.473:                              ;   in Loop: Header=BB6_348 Depth=4
	v_and_b32_e32 v3, 0x7c, v1
	v_and_b32_e32 v13, 3, v1
	v_cmp_ne_u32_e32 vcc, s95, v3
                                        ; implicit-def: $vgpr3
	s_and_saveexec_b64 s[50:51], vcc
	s_xor_b64 s[72:73], exec, s[50:51]
	s_cbranch_execz .LBB6_475
; %bb.474:                              ;   in Loop: Header=BB6_348 Depth=4
	v_ffbh_u32_e32 v14, v13
	v_min_u32_e32 v17, 32, v14
	v_mov_b32_e32 v49, v51
	v_subrev_u32_e32 v14, 29, v17
	v_bfe_u32 v1, v1, 2, 5
	v_lshlrev_b64 v[14:15], v14, v[48:49]
	v_sub_u32_e32 v15, 30, v17
	v_and_b32_e32 v14, 3, v14
	v_cmp_eq_u32_e32 vcc, 0, v1
	v_cndmask_b32_e32 v1, v1, v15, vcc
	v_cndmask_b32_e32 v13, v13, v14, vcc
	v_bfrev_b32_e32 v14, 28
	v_bfe_i32 v3, v48, 0, 16
	v_lshl_add_u32 v1, v1, 23, v14
	v_and_or_b32 v1, v3, s96, v1
	v_lshl_or_b32 v3, v13, 21, v1
                                        ; implicit-def: $vgpr13
                                        ; implicit-def: $vgpr48
.LBB6_475:                              ;   in Loop: Header=BB6_348 Depth=4
	s_andn2_saveexec_b64 s[72:73], s[72:73]
; %bb.476:                              ;   in Loop: Header=BB6_348 Depth=4
	v_cmp_lt_i16_e32 vcc, -1, v48
	v_mov_b32_e32 v1, 0xc7600000
	v_mov_b32_e32 v3, 0x47600000
	v_cndmask_b32_e32 v1, v1, v3, vcc
	v_cmp_eq_u32_e32 vcc, 0, v13
	v_mov_b32_e32 v3, 0x7f800001
	v_cndmask_b32_e32 v3, v3, v1, vcc
; %bb.477:                              ;   in Loop: Header=BB6_348 Depth=4
	s_or_b64 exec, exec, s[72:73]
.LBB6_478:                              ;   in Loop: Header=BB6_348 Depth=4
	s_or_b64 exec, exec, s[30:31]
.LBB6_479:                              ;   in Loop: Header=BB6_348 Depth=4
	s_or_b64 exec, exec, s[70:71]
	v_cmp_ne_u16_e32 vcc, 0, v52
	s_and_saveexec_b64 s[30:31], vcc
	s_cbranch_execz .LBB6_487
; %bb.480:                              ;   in Loop: Header=BB6_348 Depth=4
	v_cmp_ne_u16_e32 vcc, s94, v52
	v_bfrev_b32_e32 v7, 1
	s_and_saveexec_b64 s[70:71], vcc
	s_cbranch_execz .LBB6_486
; %bb.481:                              ;   in Loop: Header=BB6_348 Depth=4
	v_and_b32_e32 v7, 0x7c, v52
	v_and_b32_e32 v1, 3, v52
	v_cmp_ne_u32_e32 vcc, s95, v7
                                        ; implicit-def: $vgpr7
	s_and_saveexec_b64 s[50:51], vcc
	s_xor_b64 s[72:73], exec, s[50:51]
	s_cbranch_execz .LBB6_483
; %bb.482:                              ;   in Loop: Header=BB6_348 Depth=4
	v_ffbh_u32_e32 v14, v1
	v_min_u32_e32 v17, 32, v14
	v_and_b32_e32 v7, 0xff, v52
	v_mov_b32_e32 v53, v51
	v_subrev_u32_e32 v14, 29, v17
	v_bfe_u32 v7, v7, 2, 5
	v_lshlrev_b64 v[14:15], v14, v[52:53]
	v_sub_u32_e32 v15, 30, v17
	v_and_b32_e32 v14, 3, v14
	v_cmp_eq_u32_e32 vcc, 0, v7
	v_cndmask_b32_e32 v7, v7, v15, vcc
	v_cndmask_b32_e32 v1, v1, v14, vcc
	v_bfrev_b32_e32 v14, 28
	v_bfe_i32 v13, v52, 0, 16
	v_lshl_add_u32 v7, v7, 23, v14
	v_and_or_b32 v7, v13, s96, v7
	v_lshl_or_b32 v7, v1, 21, v7
                                        ; implicit-def: $vgpr1
                                        ; implicit-def: $vgpr52
.LBB6_483:                              ;   in Loop: Header=BB6_348 Depth=4
	s_andn2_saveexec_b64 s[72:73], s[72:73]
; %bb.484:                              ;   in Loop: Header=BB6_348 Depth=4
	v_cmp_lt_i16_e32 vcc, -1, v52
	v_mov_b32_e32 v7, 0xc7600000
	v_mov_b32_e32 v13, 0x47600000
	v_cndmask_b32_e32 v7, v7, v13, vcc
	v_cmp_eq_u32_e32 vcc, 0, v1
	v_mov_b32_e32 v1, 0x7f800001
	v_cndmask_b32_e32 v7, v1, v7, vcc
; %bb.485:                              ;   in Loop: Header=BB6_348 Depth=4
	s_or_b64 exec, exec, s[72:73]
.LBB6_486:                              ;   in Loop: Header=BB6_348 Depth=4
	s_or_b64 exec, exec, s[70:71]
.LBB6_487:                              ;   in Loop: Header=BB6_348 Depth=4
	s_or_b64 exec, exec, s[30:31]
	v_max_f32_e32 v1, v7, v7
	v_max_f32_e32 v3, v3, v3
	v_min_f32_e32 v3, v3, v1
.LBB6_488:                              ;   in Loop: Header=BB6_348 Depth=4
	v_and_b32_sdwa v1, v3, s97 dst_sel:DWORD dst_unused:UNUSED_PAD src0_sel:BYTE_3 src1_sel:DWORD
	v_and_b32_e32 v50, 0x7fffff, v3
	v_or_b32_e32 v15, 0x7b, v1
	v_and_b32_e32 v34, 0x7f800000, v3
	v_mov_b32_e32 v35, v51
	v_cmp_ne_u64_e32 vcc, s[52:53], v[34:35]
	s_mov_b64 s[30:31], exec
	s_and_b64 vcc, s[30:31], vcc
	s_xor_b64 s[70:71], vcc, s[30:31]
	v_accvgpr_read_b32 v48, a58
	s_mov_b64 exec, vcc
	s_cbranch_execz .LBB6_502
; %bb.489:                              ;   in Loop: Header=BB6_348 Depth=4
	v_and_b32_e32 v34, 0x7fffffff, v3
	v_mov_b32_e32 v35, v51
	v_cmp_gt_u64_e32 vcc, s[54:55], v[34:35]
	s_and_saveexec_b64 s[30:31], vcc
	s_xor_b64 s[72:73], exec, s[30:31]
	s_cbranch_execz .LBB6_501
; %bb.490:                              ;   in Loop: Header=BB6_348 Depth=4
	v_cmp_ne_u32_e32 vcc, 0, v3
	v_mov_b32_e32 v15, 0
	s_and_saveexec_b64 s[74:75], vcc
	s_cbranch_execz .LBB6_500
; %bb.491:                              ;   in Loop: Header=BB6_348 Depth=4
	v_bfe_u32 v3, v3, 23, 8
	v_cmp_eq_u32_e32 vcc, 0, v3
	v_add_u32_e32 v7, 0xffffff81, v3
	v_cmp_gt_u32_e64 s[30:31], s38, v3
	v_sub_u32_e32 v3, 0x71, v3
	v_mov_b32_e32 v14, 0xffffff82
	v_cndmask_b32_e64 v3, 0, v3, s[30:31]
	v_cndmask_b32_e32 v7, v7, v14, vcc
	v_mov_b32_e32 v14, 0x70
	v_or_b32_e32 v13, 0x800000, v50
	v_cndmask_b32_e32 v3, v3, v14, vcc
	v_cndmask_b32_e32 v50, v13, v50, vcc
	v_add_u32_e32 v13, 21, v3
	v_lshlrev_b64 v[14:15], v13, -1
	v_not_b32_e32 v13, v15
	v_not_b32_e32 v14, v14
	v_and_b32_e32 v15, 0, v13
	v_add_u32_e32 v13, 20, v3
	v_and_b32_e32 v14, v50, v14
	v_lshlrev_b64 v[34:35], v13, 1
	v_cmp_eq_u64_e32 vcc, v[14:15], v[34:35]
	v_lshrrev_b64 v[14:15], v3, v[50:51]
	v_lshrrev_b32_e32 v13, 23, v14
	v_add3_u32 v13, v3, v7, v13
	v_bfe_u32 v3, v14, 21, 1
	v_add_u32_e32 v3, -1, v3
	v_cndmask_b32_e32 v3, 0, v3, vcc
	v_add_u32_e32 v3, v3, v14
	v_and_b32_e32 v3, 0x1fffff, v3
	v_add_co_u32_e32 v14, vcc, v3, v14
	v_add_u32_e32 v7, 14, v13
	v_addc_co_u32_e32 v15, vcc, 0, v15, vcc
	v_cmp_ne_u32_e32 vcc, 0, v7
                                        ; implicit-def: $vgpr3
	s_and_saveexec_b64 s[30:31], vcc
	s_xor_b64 s[30:31], exec, s[30:31]
; %bb.492:                              ;   in Loop: Header=BB6_348 Depth=4
	v_add_u32_e32 v3, 15, v13
	v_cmp_lt_u64_e32 vcc, s[56:57], v[14:15]
	v_cndmask_b32_e32 v3, v7, v3, vcc
	v_cndmask_b32_e64 v7, 0, 1, vcc
	v_lshrrev_b64 v[14:15], v7, v[14:15]
; %bb.493:                              ;   in Loop: Header=BB6_348 Depth=4
	s_andn2_saveexec_b64 vcc, s[30:31]
; %bb.494:                              ;   in Loop: Header=BB6_348 Depth=4
	v_bfe_u32 v3, v14, 23, 1
; %bb.495:                              ;   in Loop: Header=BB6_348 Depth=4
	s_or_b64 exec, exec, vcc
	v_lshrrev_b64 v[14:15], 21, v[14:15]
	v_cmp_gt_i32_e32 vcc, 32, v3
	v_cndmask_b32_e32 v15, 0, v15, vcc
	v_cndmask_b32_e32 v14, 3, v14, vcc
	v_cmp_ne_u32_e32 vcc, 0, v3
	v_cmp_ne_u64_e64 s[30:31], 0, v[14:15]
	s_or_b64 vcc, vcc, s[30:31]
                                        ; implicit-def: $vgpr15
	s_and_saveexec_b64 s[30:31], vcc
	s_xor_b64 vcc, exec, s[30:31]
; %bb.496:                              ;   in Loop: Header=BB6_348 Depth=4
	v_min_i32_e32 v3, 31, v3
	v_lshl_or_b32 v1, v3, 2, v1
	v_and_or_b32 v15, v14, 3, v1
                                        ; implicit-def: $vgpr1
; %bb.497:                              ;   in Loop: Header=BB6_348 Depth=4
	s_andn2_saveexec_b64 vcc, vcc
; %bb.498:                              ;   in Loop: Header=BB6_348 Depth=4
	v_mov_b32_e32 v15, v1
; %bb.499:                              ;   in Loop: Header=BB6_348 Depth=4
	s_or_b64 exec, exec, vcc
.LBB6_500:                              ;   in Loop: Header=BB6_348 Depth=4
	s_or_b64 exec, exec, s[74:75]
.LBB6_501:                              ;   in Loop: Header=BB6_348 Depth=4
	s_andn2_saveexec_b64 vcc, s[72:73]
	s_or_b64 exec, exec, vcc
                                        ; implicit-def: $vgpr3
.LBB6_502:                              ;   in Loop: Header=BB6_348 Depth=4
	s_andn2_saveexec_b64 s[30:31], s[70:71]
; %bb.503:                              ;   in Loop: Header=BB6_348 Depth=4
	v_or_b32_sdwa v1, v3, s39 dst_sel:DWORD dst_unused:UNUSED_PAD src0_sel:BYTE_3 src1_sel:DWORD
	v_cmp_eq_u64_e32 vcc, 0, v[50:51]
	v_cndmask_b32_e32 v15, v1, v15, vcc
; %bb.504:                              ;   in Loop: Header=BB6_348 Depth=4
	s_or_b64 exec, exec, s[30:31]
	v_and_b32_e32 v1, 0xff, v12
	s_and_b64 vcc, exec, s[28:29]
	v_cmp_ne_u16_e64 s[30:31], 0, v12
	s_cbranch_vccnz .LBB6_522
; %bb.505:                              ;   in Loop: Header=BB6_348 Depth=4
	v_mov_b32_e32 v7, 0
	v_mov_b32_e32 v3, 0
	s_and_saveexec_b64 s[70:71], s[30:31]
	s_cbranch_execz .LBB6_513
; %bb.506:                              ;   in Loop: Header=BB6_348 Depth=4
	v_cmp_ne_u16_e32 vcc, s94, v12
	v_bfrev_b32_e32 v3, 1
	s_and_saveexec_b64 s[72:73], vcc
	s_cbranch_execz .LBB6_512
; %bb.507:                              ;   in Loop: Header=BB6_348 Depth=4
	v_and_b32_e32 v3, 0x7c, v1
	v_and_b32_e32 v14, 3, v1
	v_cmp_ne_u32_e32 vcc, s95, v3
                                        ; implicit-def: $vgpr3
	s_and_saveexec_b64 s[50:51], vcc
	s_xor_b64 s[74:75], exec, s[50:51]
	s_cbranch_execz .LBB6_509
; %bb.508:                              ;   in Loop: Header=BB6_348 Depth=4
	v_ffbh_u32_e32 v19, v14
	v_min_u32_e32 v19, 32, v19
	v_mov_b32_e32 v13, v51
	v_subrev_u32_e32 v21, 29, v19
	v_bfe_u32 v3, v1, 2, 5
	v_lshlrev_b64 v[34:35], v21, v[12:13]
	v_sub_u32_e32 v13, 30, v19
	v_and_b32_e32 v19, 3, v34
	v_cmp_eq_u32_e32 vcc, 0, v3
	v_cndmask_b32_e32 v3, v3, v13, vcc
	v_cndmask_b32_e32 v13, v14, v19, vcc
	v_bfrev_b32_e32 v14, 28
	v_bfe_i32 v17, v12, 0, 16
	v_lshl_add_u32 v3, v3, 23, v14
	v_and_or_b32 v3, v17, s96, v3
	v_lshl_or_b32 v3, v13, 21, v3
                                        ; implicit-def: $vgpr14
.LBB6_509:                              ;   in Loop: Header=BB6_348 Depth=4
	s_andn2_saveexec_b64 s[74:75], s[74:75]
; %bb.510:                              ;   in Loop: Header=BB6_348 Depth=4
	v_cmp_lt_i16_e32 vcc, -1, v12
	v_mov_b32_e32 v3, 0xc7600000
	v_mov_b32_e32 v13, 0x47600000
	v_cndmask_b32_e32 v3, v3, v13, vcc
	v_cmp_eq_u32_e32 vcc, 0, v14
	v_mov_b32_e32 v13, 0x7f800001
	v_cndmask_b32_e32 v3, v13, v3, vcc
; %bb.511:                              ;   in Loop: Header=BB6_348 Depth=4
	s_or_b64 exec, exec, s[74:75]
.LBB6_512:                              ;   in Loop: Header=BB6_348 Depth=4
	s_or_b64 exec, exec, s[72:73]
.LBB6_513:                              ;   in Loop: Header=BB6_348 Depth=4
	s_or_b64 exec, exec, s[70:71]
	v_cmp_ne_u16_e32 vcc, 0, v16
	s_and_saveexec_b64 s[70:71], vcc
	s_cbranch_execz .LBB6_521
; %bb.514:                              ;   in Loop: Header=BB6_348 Depth=4
	v_cmp_ne_u16_e32 vcc, s94, v16
	v_bfrev_b32_e32 v7, 1
	s_and_saveexec_b64 s[72:73], vcc
	s_cbranch_execz .LBB6_520
; %bb.515:                              ;   in Loop: Header=BB6_348 Depth=4
	v_and_b32_e32 v7, 0x7c, v16
	v_and_b32_e32 v13, 3, v16
	v_cmp_ne_u32_e32 vcc, s95, v7
                                        ; implicit-def: $vgpr7
	s_and_saveexec_b64 s[50:51], vcc
	s_xor_b64 s[74:75], exec, s[50:51]
	s_cbranch_execz .LBB6_517
; %bb.516:                              ;   in Loop: Header=BB6_348 Depth=4
	v_ffbh_u32_e32 v19, v13
	v_and_b32_e32 v7, 0xff, v16
	v_min_u32_e32 v19, 32, v19
	v_mov_b32_e32 v17, v51
	v_bfe_u32 v7, v7, 2, 5
	v_subrev_u32_e32 v21, 29, v19
	v_lshlrev_b64 v[34:35], v21, v[16:17]
	v_sub_u32_e32 v17, 30, v19
	v_cmp_eq_u32_e32 vcc, 0, v7
	v_cndmask_b32_e32 v7, v7, v17, vcc
	v_bfrev_b32_e32 v17, 28
	v_bfe_i32 v14, v16, 0, 16
	v_and_b32_e32 v19, 3, v34
	v_lshl_add_u32 v7, v7, 23, v17
	v_cndmask_b32_e32 v13, v13, v19, vcc
	v_and_or_b32 v7, v14, s96, v7
	v_lshl_or_b32 v7, v13, 21, v7
                                        ; implicit-def: $vgpr13
.LBB6_517:                              ;   in Loop: Header=BB6_348 Depth=4
	s_andn2_saveexec_b64 s[74:75], s[74:75]
; %bb.518:                              ;   in Loop: Header=BB6_348 Depth=4
	v_cmp_lt_i16_e32 vcc, -1, v16
	v_mov_b32_e32 v7, 0xc7600000
	v_mov_b32_e32 v14, 0x47600000
	v_cndmask_b32_e32 v7, v7, v14, vcc
	v_cmp_eq_u32_e32 vcc, 0, v13
	v_mov_b32_e32 v13, 0x7f800001
	v_cndmask_b32_e32 v7, v13, v7, vcc
; %bb.519:                              ;   in Loop: Header=BB6_348 Depth=4
	s_or_b64 exec, exec, s[74:75]
.LBB6_520:                              ;   in Loop: Header=BB6_348 Depth=4
	s_or_b64 exec, exec, s[72:73]
.LBB6_521:                              ;   in Loop: Header=BB6_348 Depth=4
	s_or_b64 exec, exec, s[70:71]
	v_max_f32_e32 v7, v7, v7
	v_max_f32_e32 v3, v3, v3
	;; [unrolled: 1-line block ×3, first 2 shown]
	s_branch .LBB6_540
.LBB6_522:                              ;   in Loop: Header=BB6_348 Depth=4
                                        ; implicit-def: $vgpr3
	s_cbranch_execz .LBB6_540
; %bb.523:                              ;   in Loop: Header=BB6_348 Depth=4
	v_mov_b32_e32 v7, 0
	v_mov_b32_e32 v3, 0
	s_and_saveexec_b64 s[70:71], s[30:31]
	s_cbranch_execz .LBB6_531
; %bb.524:                              ;   in Loop: Header=BB6_348 Depth=4
	v_cmp_ne_u16_e32 vcc, s94, v12
	v_bfrev_b32_e32 v3, 1
	s_and_saveexec_b64 s[30:31], vcc
	s_cbranch_execz .LBB6_530
; %bb.525:                              ;   in Loop: Header=BB6_348 Depth=4
	v_and_b32_e32 v3, 0x7c, v1
	v_and_b32_e32 v14, 3, v1
	v_cmp_ne_u32_e32 vcc, s95, v3
                                        ; implicit-def: $vgpr3
	s_and_saveexec_b64 s[50:51], vcc
	s_xor_b64 s[72:73], exec, s[50:51]
	s_cbranch_execz .LBB6_527
; %bb.526:                              ;   in Loop: Header=BB6_348 Depth=4
	v_ffbh_u32_e32 v17, v14
	v_min_u32_e32 v17, 32, v17
	v_mov_b32_e32 v13, v51
	v_subrev_u32_e32 v19, 29, v17
	v_bfe_u32 v1, v1, 2, 5
	v_bfe_i32 v3, v12, 0, 16
	v_lshlrev_b64 v[12:13], v19, v[12:13]
	v_sub_u32_e32 v13, 30, v17
	v_cmp_eq_u32_e32 vcc, 0, v1
	v_cndmask_b32_e32 v1, v1, v13, vcc
	v_bfrev_b32_e32 v13, 28
	v_and_b32_e32 v12, 3, v12
	v_lshl_add_u32 v1, v1, 23, v13
	v_cndmask_b32_e32 v12, v14, v12, vcc
	v_and_or_b32 v1, v3, s96, v1
	v_lshl_or_b32 v3, v12, 21, v1
                                        ; implicit-def: $vgpr14
                                        ; implicit-def: $vgpr12
.LBB6_527:                              ;   in Loop: Header=BB6_348 Depth=4
	s_andn2_saveexec_b64 s[72:73], s[72:73]
; %bb.528:                              ;   in Loop: Header=BB6_348 Depth=4
	v_cmp_lt_i16_e32 vcc, -1, v12
	v_mov_b32_e32 v1, 0xc7600000
	v_mov_b32_e32 v3, 0x47600000
	v_cndmask_b32_e32 v1, v1, v3, vcc
	v_cmp_eq_u32_e32 vcc, 0, v14
	v_mov_b32_e32 v3, 0x7f800001
	v_cndmask_b32_e32 v3, v3, v1, vcc
; %bb.529:                              ;   in Loop: Header=BB6_348 Depth=4
	s_or_b64 exec, exec, s[72:73]
.LBB6_530:                              ;   in Loop: Header=BB6_348 Depth=4
	s_or_b64 exec, exec, s[30:31]
.LBB6_531:                              ;   in Loop: Header=BB6_348 Depth=4
	s_or_b64 exec, exec, s[70:71]
	v_cmp_ne_u16_e32 vcc, 0, v16
	s_and_saveexec_b64 s[30:31], vcc
	s_cbranch_execz .LBB6_539
; %bb.532:                              ;   in Loop: Header=BB6_348 Depth=4
	v_cmp_ne_u16_e32 vcc, s94, v16
	v_bfrev_b32_e32 v7, 1
	s_and_saveexec_b64 s[70:71], vcc
	s_cbranch_execz .LBB6_538
; %bb.533:                              ;   in Loop: Header=BB6_348 Depth=4
	v_and_b32_e32 v7, 0x7c, v16
	v_and_b32_e32 v1, 3, v16
	v_cmp_ne_u32_e32 vcc, s95, v7
                                        ; implicit-def: $vgpr7
	s_and_saveexec_b64 s[50:51], vcc
	s_xor_b64 s[72:73], exec, s[50:51]
	s_cbranch_execz .LBB6_535
; %bb.534:                              ;   in Loop: Header=BB6_348 Depth=4
	v_ffbh_u32_e32 v12, v1
	v_min_u32_e32 v19, 32, v12
	v_and_b32_e32 v7, 0xff, v16
	v_mov_b32_e32 v17, v51
	v_subrev_u32_e32 v12, 29, v19
	v_bfe_u32 v7, v7, 2, 5
	v_lshlrev_b64 v[12:13], v12, v[16:17]
	v_sub_u32_e32 v13, 30, v19
	v_and_b32_e32 v12, 3, v12
	v_cmp_eq_u32_e32 vcc, 0, v7
	v_cndmask_b32_e32 v7, v7, v13, vcc
	v_cndmask_b32_e32 v1, v1, v12, vcc
	v_bfrev_b32_e32 v12, 28
	v_bfe_i32 v14, v16, 0, 16
	v_lshl_add_u32 v7, v7, 23, v12
	v_and_or_b32 v7, v14, s96, v7
	v_lshl_or_b32 v7, v1, 21, v7
                                        ; implicit-def: $vgpr1
                                        ; implicit-def: $vgpr16
.LBB6_535:                              ;   in Loop: Header=BB6_348 Depth=4
	s_andn2_saveexec_b64 s[72:73], s[72:73]
; %bb.536:                              ;   in Loop: Header=BB6_348 Depth=4
	v_cmp_lt_i16_e32 vcc, -1, v16
	v_mov_b32_e32 v7, 0xc7600000
	v_mov_b32_e32 v12, 0x47600000
	v_cndmask_b32_e32 v7, v7, v12, vcc
	v_cmp_eq_u32_e32 vcc, 0, v1
	v_mov_b32_e32 v1, 0x7f800001
	v_cndmask_b32_e32 v7, v1, v7, vcc
; %bb.537:                              ;   in Loop: Header=BB6_348 Depth=4
	s_or_b64 exec, exec, s[72:73]
.LBB6_538:                              ;   in Loop: Header=BB6_348 Depth=4
	s_or_b64 exec, exec, s[70:71]
.LBB6_539:                              ;   in Loop: Header=BB6_348 Depth=4
	s_or_b64 exec, exec, s[30:31]
	v_max_f32_e32 v1, v7, v7
	v_max_f32_e32 v3, v3, v3
	v_min_f32_e32 v3, v3, v1
.LBB6_540:                              ;   in Loop: Header=BB6_348 Depth=4
	v_and_b32_sdwa v1, v3, s97 dst_sel:DWORD dst_unused:UNUSED_PAD src0_sel:BYTE_3 src1_sel:DWORD
	v_and_b32_e32 v16, 0x7f800000, v3
	v_mov_b32_e32 v17, v51
	v_and_b32_e32 v50, 0x7fffff, v3
	v_or_b32_e32 v13, 0x7b, v1
	v_cmp_ne_u64_e32 vcc, s[52:53], v[16:17]
	s_and_saveexec_b64 s[30:31], vcc
	s_xor_b64 s[70:71], exec, s[30:31]
	s_cbranch_execz .LBB6_554
; %bb.541:                              ;   in Loop: Header=BB6_348 Depth=4
	v_and_b32_e32 v16, 0x7fffffff, v3
	v_mov_b32_e32 v17, v51
	v_cmp_gt_u64_e32 vcc, s[54:55], v[16:17]
	s_and_saveexec_b64 s[30:31], vcc
	s_xor_b64 s[72:73], exec, s[30:31]
	s_cbranch_execz .LBB6_553
; %bb.542:                              ;   in Loop: Header=BB6_348 Depth=4
	v_cmp_ne_u32_e32 vcc, 0, v3
	v_mov_b32_e32 v13, 0
	s_and_saveexec_b64 s[74:75], vcc
	s_cbranch_execz .LBB6_552
; %bb.543:                              ;   in Loop: Header=BB6_348 Depth=4
	v_bfe_u32 v3, v3, 23, 8
	v_cmp_eq_u32_e32 vcc, 0, v3
	v_add_u32_e32 v7, 0xffffff81, v3
	v_cmp_gt_u32_e64 s[30:31], s38, v3
	v_sub_u32_e32 v3, 0x71, v3
	v_mov_b32_e32 v13, 0xffffff82
	v_cndmask_b32_e64 v3, 0, v3, s[30:31]
	v_cndmask_b32_e32 v7, v7, v13, vcc
	v_mov_b32_e32 v13, 0x70
	v_or_b32_e32 v12, 0x800000, v50
	v_cndmask_b32_e32 v3, v3, v13, vcc
	v_cndmask_b32_e32 v50, v12, v50, vcc
	v_add_u32_e32 v12, 21, v3
	v_lshlrev_b64 v[12:13], v12, -1
	v_not_b32_e32 v13, v13
	v_not_b32_e32 v12, v12
	v_add_u32_e32 v14, 20, v3
	v_and_b32_e32 v13, 0, v13
	v_and_b32_e32 v12, v50, v12
	v_lshlrev_b64 v[16:17], v14, 1
	v_cmp_eq_u64_e32 vcc, v[12:13], v[16:17]
	v_lshrrev_b64 v[12:13], v3, v[50:51]
	v_lshrrev_b32_e32 v14, 23, v12
	v_add3_u32 v14, v3, v7, v14
	v_bfe_u32 v3, v12, 21, 1
	v_add_u32_e32 v3, -1, v3
	v_cndmask_b32_e32 v3, 0, v3, vcc
	v_add_u32_e32 v3, v3, v12
	v_and_b32_e32 v3, 0x1fffff, v3
	v_add_co_u32_e32 v12, vcc, v3, v12
	v_add_u32_e32 v7, 14, v14
	v_addc_co_u32_e32 v13, vcc, 0, v13, vcc
	v_cmp_ne_u32_e32 vcc, 0, v7
                                        ; implicit-def: $vgpr3
	s_and_saveexec_b64 s[30:31], vcc
	s_xor_b64 s[30:31], exec, s[30:31]
; %bb.544:                              ;   in Loop: Header=BB6_348 Depth=4
	v_add_u32_e32 v3, 15, v14
	v_cmp_lt_u64_e32 vcc, s[56:57], v[12:13]
	v_cndmask_b32_e32 v3, v7, v3, vcc
	v_cndmask_b32_e64 v7, 0, 1, vcc
	v_lshrrev_b64 v[12:13], v7, v[12:13]
; %bb.545:                              ;   in Loop: Header=BB6_348 Depth=4
	s_andn2_saveexec_b64 vcc, s[30:31]
; %bb.546:                              ;   in Loop: Header=BB6_348 Depth=4
	v_bfe_u32 v3, v12, 23, 1
; %bb.547:                              ;   in Loop: Header=BB6_348 Depth=4
	s_or_b64 exec, exec, vcc
	v_lshrrev_b64 v[12:13], 21, v[12:13]
	v_cmp_gt_i32_e32 vcc, 32, v3
	v_cndmask_b32_e32 v13, 0, v13, vcc
	v_cndmask_b32_e32 v12, 3, v12, vcc
	v_cmp_ne_u32_e32 vcc, 0, v3
	v_cmp_ne_u64_e64 s[30:31], 0, v[12:13]
	s_or_b64 vcc, vcc, s[30:31]
                                        ; implicit-def: $vgpr13
	s_and_saveexec_b64 s[30:31], vcc
	s_xor_b64 vcc, exec, s[30:31]
; %bb.548:                              ;   in Loop: Header=BB6_348 Depth=4
	v_min_i32_e32 v3, 31, v3
	v_lshl_or_b32 v1, v3, 2, v1
	v_and_or_b32 v13, v12, 3, v1
                                        ; implicit-def: $vgpr1
; %bb.549:                              ;   in Loop: Header=BB6_348 Depth=4
	s_andn2_saveexec_b64 vcc, vcc
; %bb.550:                              ;   in Loop: Header=BB6_348 Depth=4
	v_mov_b32_e32 v13, v1
; %bb.551:                              ;   in Loop: Header=BB6_348 Depth=4
	s_or_b64 exec, exec, vcc
.LBB6_552:                              ;   in Loop: Header=BB6_348 Depth=4
	s_or_b64 exec, exec, s[74:75]
.LBB6_553:                              ;   in Loop: Header=BB6_348 Depth=4
	s_andn2_saveexec_b64 vcc, s[72:73]
	s_or_b64 exec, exec, vcc
                                        ; implicit-def: $vgpr3
.LBB6_554:                              ;   in Loop: Header=BB6_348 Depth=4
	s_andn2_saveexec_b64 s[30:31], s[70:71]
; %bb.555:                              ;   in Loop: Header=BB6_348 Depth=4
	v_or_b32_sdwa v1, v3, s39 dst_sel:DWORD dst_unused:UNUSED_PAD src0_sel:BYTE_3 src1_sel:DWORD
	v_cmp_eq_u64_e32 vcc, 0, v[50:51]
	v_cndmask_b32_e32 v13, v1, v13, vcc
; %bb.556:                              ;   in Loop: Header=BB6_348 Depth=4
	s_or_b64 exec, exec, s[30:31]
	v_and_b32_e32 v1, 0xff, v2
	s_and_b64 vcc, exec, s[28:29]
	v_cmp_ne_u16_e64 s[30:31], 0, v2
	s_cbranch_vccnz .LBB6_574
; %bb.557:                              ;   in Loop: Header=BB6_348 Depth=4
	v_mov_b32_e32 v7, 0
	v_mov_b32_e32 v3, 0
	s_and_saveexec_b64 s[70:71], s[30:31]
	s_cbranch_execz .LBB6_565
; %bb.558:                              ;   in Loop: Header=BB6_348 Depth=4
	v_cmp_ne_u16_e32 vcc, s94, v2
	v_bfrev_b32_e32 v3, 1
	s_and_saveexec_b64 s[72:73], vcc
	s_cbranch_execz .LBB6_564
; %bb.559:                              ;   in Loop: Header=BB6_348 Depth=4
	v_and_b32_e32 v3, 0x7c, v1
	v_and_b32_e32 v12, 3, v1
	v_cmp_ne_u32_e32 vcc, s95, v3
                                        ; implicit-def: $vgpr3
	s_and_saveexec_b64 s[50:51], vcc
	s_xor_b64 s[74:75], exec, s[50:51]
	s_cbranch_execz .LBB6_561
; %bb.560:                              ;   in Loop: Header=BB6_348 Depth=4
	v_ffbh_u32_e32 v16, v12
	v_min_u32_e32 v21, 32, v16
	v_mov_b32_e32 v3, v51
	v_bfe_u32 v14, v1, 2, 5
	v_subrev_u32_e32 v16, 29, v21
	v_lshlrev_b64 v[16:17], v16, v[2:3]
	v_sub_u32_e32 v3, 30, v21
	v_cmp_eq_u32_e32 vcc, 0, v14
	v_cndmask_b32_e32 v3, v14, v3, vcc
	v_bfrev_b32_e32 v14, 28
	v_bfe_i32 v19, v2, 0, 16
	v_and_b32_e32 v16, 3, v16
	v_lshl_add_u32 v3, v3, 23, v14
	v_cndmask_b32_e32 v12, v12, v16, vcc
	v_and_or_b32 v3, v19, s96, v3
	v_lshl_or_b32 v3, v12, 21, v3
                                        ; implicit-def: $vgpr12
.LBB6_561:                              ;   in Loop: Header=BB6_348 Depth=4
	s_andn2_saveexec_b64 s[74:75], s[74:75]
; %bb.562:                              ;   in Loop: Header=BB6_348 Depth=4
	v_cmp_lt_i16_e32 vcc, -1, v2
	v_mov_b32_e32 v3, 0xc7600000
	v_mov_b32_e32 v14, 0x47600000
	v_cndmask_b32_e32 v3, v3, v14, vcc
	v_cmp_eq_u32_e32 vcc, 0, v12
	v_mov_b32_e32 v12, 0x7f800001
	v_cndmask_b32_e32 v3, v12, v3, vcc
; %bb.563:                              ;   in Loop: Header=BB6_348 Depth=4
	s_or_b64 exec, exec, s[74:75]
.LBB6_564:                              ;   in Loop: Header=BB6_348 Depth=4
	s_or_b64 exec, exec, s[72:73]
.LBB6_565:                              ;   in Loop: Header=BB6_348 Depth=4
	s_or_b64 exec, exec, s[70:71]
	v_cmp_ne_u16_e32 vcc, 0, v20
	s_and_saveexec_b64 s[70:71], vcc
	s_cbranch_execz .LBB6_573
; %bb.566:                              ;   in Loop: Header=BB6_348 Depth=4
	v_cmp_ne_u16_e32 vcc, s94, v20
	v_bfrev_b32_e32 v7, 1
	s_and_saveexec_b64 s[72:73], vcc
	s_cbranch_execz .LBB6_572
; %bb.567:                              ;   in Loop: Header=BB6_348 Depth=4
	v_and_b32_e32 v7, 0x7c, v20
	v_and_b32_e32 v12, 3, v20
	v_cmp_ne_u32_e32 vcc, s95, v7
                                        ; implicit-def: $vgpr7
	s_and_saveexec_b64 s[50:51], vcc
	s_xor_b64 s[74:75], exec, s[50:51]
	s_cbranch_execz .LBB6_569
; %bb.568:                              ;   in Loop: Header=BB6_348 Depth=4
	v_ffbh_u32_e32 v16, v12
	v_min_u32_e32 v19, 32, v16
	v_and_b32_e32 v7, 0xff, v20
	v_mov_b32_e32 v21, v51
	v_subrev_u32_e32 v16, 29, v19
	v_bfe_u32 v7, v7, 2, 5
	v_lshlrev_b64 v[16:17], v16, v[20:21]
	v_sub_u32_e32 v17, 30, v19
	v_and_b32_e32 v16, 3, v16
	v_cmp_eq_u32_e32 vcc, 0, v7
	v_cndmask_b32_e32 v7, v7, v17, vcc
	v_cndmask_b32_e32 v12, v12, v16, vcc
	v_bfrev_b32_e32 v16, 28
	v_bfe_i32 v14, v20, 0, 16
	v_lshl_add_u32 v7, v7, 23, v16
	v_and_or_b32 v7, v14, s96, v7
	v_lshl_or_b32 v7, v12, 21, v7
                                        ; implicit-def: $vgpr12
.LBB6_569:                              ;   in Loop: Header=BB6_348 Depth=4
	s_andn2_saveexec_b64 s[74:75], s[74:75]
; %bb.570:                              ;   in Loop: Header=BB6_348 Depth=4
	v_cmp_lt_i16_e32 vcc, -1, v20
	v_mov_b32_e32 v7, 0xc7600000
	v_mov_b32_e32 v14, 0x47600000
	v_cndmask_b32_e32 v7, v7, v14, vcc
	v_cmp_eq_u32_e32 vcc, 0, v12
	v_mov_b32_e32 v12, 0x7f800001
	v_cndmask_b32_e32 v7, v12, v7, vcc
; %bb.571:                              ;   in Loop: Header=BB6_348 Depth=4
	s_or_b64 exec, exec, s[74:75]
.LBB6_572:                              ;   in Loop: Header=BB6_348 Depth=4
	s_or_b64 exec, exec, s[72:73]
.LBB6_573:                              ;   in Loop: Header=BB6_348 Depth=4
	s_or_b64 exec, exec, s[70:71]
	v_max_f32_e32 v7, v7, v7
	v_max_f32_e32 v3, v3, v3
	;; [unrolled: 1-line block ×3, first 2 shown]
	s_branch .LBB6_592
.LBB6_574:                              ;   in Loop: Header=BB6_348 Depth=4
                                        ; implicit-def: $vgpr3
	s_cbranch_execz .LBB6_592
; %bb.575:                              ;   in Loop: Header=BB6_348 Depth=4
	v_mov_b32_e32 v7, 0
	v_mov_b32_e32 v3, 0
	s_and_saveexec_b64 s[70:71], s[30:31]
	s_cbranch_execz .LBB6_583
; %bb.576:                              ;   in Loop: Header=BB6_348 Depth=4
	v_cmp_ne_u16_e32 vcc, s94, v2
	v_bfrev_b32_e32 v3, 1
	s_and_saveexec_b64 s[30:31], vcc
	s_cbranch_execz .LBB6_582
; %bb.577:                              ;   in Loop: Header=BB6_348 Depth=4
	v_and_b32_e32 v3, 0x7c, v1
	v_and_b32_e32 v12, 3, v1
	v_cmp_ne_u32_e32 vcc, s95, v3
                                        ; implicit-def: $vgpr3
	s_and_saveexec_b64 s[50:51], vcc
	s_xor_b64 s[72:73], exec, s[50:51]
	s_cbranch_execz .LBB6_579
; %bb.578:                              ;   in Loop: Header=BB6_348 Depth=4
	v_ffbh_u32_e32 v16, v12
	v_min_u32_e32 v16, 32, v16
	v_mov_b32_e32 v3, v51
	v_subrev_u32_e32 v17, 29, v16
	v_bfe_u32 v1, v1, 2, 5
	v_bfe_i32 v14, v2, 0, 16
	v_lshlrev_b64 v[2:3], v17, v[2:3]
	v_sub_u32_e32 v3, 30, v16
	v_cmp_eq_u32_e32 vcc, 0, v1
	v_cndmask_b32_e32 v1, v1, v3, vcc
	v_bfrev_b32_e32 v3, 28
	v_and_b32_e32 v2, 3, v2
	v_lshl_add_u32 v1, v1, 23, v3
	v_cndmask_b32_e32 v2, v12, v2, vcc
	v_and_or_b32 v1, v14, s96, v1
	v_lshl_or_b32 v3, v2, 21, v1
                                        ; implicit-def: $vgpr12
                                        ; implicit-def: $vgpr2
.LBB6_579:                              ;   in Loop: Header=BB6_348 Depth=4
	s_andn2_saveexec_b64 s[72:73], s[72:73]
; %bb.580:                              ;   in Loop: Header=BB6_348 Depth=4
	v_cmp_lt_i16_e32 vcc, -1, v2
	v_mov_b32_e32 v1, 0xc7600000
	v_mov_b32_e32 v2, 0x47600000
	v_cndmask_b32_e32 v1, v1, v2, vcc
	v_cmp_eq_u32_e32 vcc, 0, v12
	v_mov_b32_e32 v2, 0x7f800001
	v_cndmask_b32_e32 v3, v2, v1, vcc
; %bb.581:                              ;   in Loop: Header=BB6_348 Depth=4
	s_or_b64 exec, exec, s[72:73]
.LBB6_582:                              ;   in Loop: Header=BB6_348 Depth=4
	s_or_b64 exec, exec, s[30:31]
.LBB6_583:                              ;   in Loop: Header=BB6_348 Depth=4
	s_or_b64 exec, exec, s[70:71]
	v_cmp_ne_u16_e32 vcc, 0, v20
	s_and_saveexec_b64 s[30:31], vcc
	s_cbranch_execz .LBB6_591
; %bb.584:                              ;   in Loop: Header=BB6_348 Depth=4
	v_cmp_ne_u16_e32 vcc, s94, v20
	v_bfrev_b32_e32 v7, 1
	s_and_saveexec_b64 s[70:71], vcc
	s_cbranch_execz .LBB6_590
; %bb.585:                              ;   in Loop: Header=BB6_348 Depth=4
	v_and_b32_e32 v2, 0x7c, v20
	v_and_b32_e32 v1, 3, v20
	v_cmp_ne_u32_e32 vcc, s95, v2
                                        ; implicit-def: $vgpr7
	s_and_saveexec_b64 s[50:51], vcc
	s_xor_b64 s[72:73], exec, s[50:51]
	s_cbranch_execz .LBB6_587
; %bb.586:                              ;   in Loop: Header=BB6_348 Depth=4
	v_and_b32_e32 v2, 0xff, v20
	v_ffbh_u32_e32 v12, v1
	v_bfe_u32 v2, v2, 2, 5
	v_min_u32_e32 v12, 32, v12
	v_mov_b32_e32 v21, v51
	v_subrev_u32_e32 v14, 29, v12
	v_sub_u32_e32 v12, 30, v12
	v_cmp_eq_u32_e32 vcc, 0, v2
	v_lshlrev_b64 v[16:17], v14, v[20:21]
	v_cndmask_b32_e32 v2, v2, v12, vcc
	v_bfrev_b32_e32 v12, 28
	v_bfe_i32 v7, v20, 0, 16
	v_and_b32_e32 v14, 3, v16
	v_lshl_add_u32 v2, v2, 23, v12
	v_cndmask_b32_e32 v1, v1, v14, vcc
	v_and_or_b32 v2, v7, s96, v2
	v_lshl_or_b32 v7, v1, 21, v2
                                        ; implicit-def: $vgpr1
                                        ; implicit-def: $vgpr20
.LBB6_587:                              ;   in Loop: Header=BB6_348 Depth=4
	s_andn2_saveexec_b64 s[72:73], s[72:73]
; %bb.588:                              ;   in Loop: Header=BB6_348 Depth=4
	v_cmp_lt_i16_e32 vcc, -1, v20
	v_mov_b32_e32 v2, 0xc7600000
	v_mov_b32_e32 v7, 0x47600000
	v_cndmask_b32_e32 v2, v2, v7, vcc
	v_cmp_eq_u32_e32 vcc, 0, v1
	v_mov_b32_e32 v1, 0x7f800001
	v_cndmask_b32_e32 v7, v1, v2, vcc
; %bb.589:                              ;   in Loop: Header=BB6_348 Depth=4
	s_or_b64 exec, exec, s[72:73]
.LBB6_590:                              ;   in Loop: Header=BB6_348 Depth=4
	s_or_b64 exec, exec, s[70:71]
.LBB6_591:                              ;   in Loop: Header=BB6_348 Depth=4
	s_or_b64 exec, exec, s[30:31]
	v_max_f32_e32 v1, v7, v7
	v_max_f32_e32 v2, v3, v3
	v_min_f32_e32 v3, v2, v1
.LBB6_592:                              ;   in Loop: Header=BB6_348 Depth=4
	v_and_b32_sdwa v1, v3, s97 dst_sel:DWORD dst_unused:UNUSED_PAD src0_sel:BYTE_3 src1_sel:DWORD
	v_and_b32_e32 v16, 0x7f800000, v3
	v_mov_b32_e32 v17, v51
	v_and_b32_e32 v50, 0x7fffff, v3
	v_or_b32_e32 v12, 0x7b, v1
	v_cmp_ne_u64_e32 vcc, s[52:53], v[16:17]
	s_and_saveexec_b64 s[30:31], vcc
	s_xor_b64 s[70:71], exec, s[30:31]
	s_cbranch_execz .LBB6_606
; %bb.593:                              ;   in Loop: Header=BB6_348 Depth=4
	v_and_b32_e32 v16, 0x7fffffff, v3
	v_mov_b32_e32 v17, v51
	v_cmp_gt_u64_e32 vcc, s[54:55], v[16:17]
	s_and_saveexec_b64 s[30:31], vcc
	s_xor_b64 s[72:73], exec, s[30:31]
	s_cbranch_execz .LBB6_605
; %bb.594:                              ;   in Loop: Header=BB6_348 Depth=4
	v_cmp_ne_u32_e32 vcc, 0, v3
	v_mov_b32_e32 v12, 0
	s_and_saveexec_b64 s[74:75], vcc
	s_cbranch_execz .LBB6_604
; %bb.595:                              ;   in Loop: Header=BB6_348 Depth=4
	v_bfe_u32 v2, v3, 23, 8
	v_cmp_eq_u32_e32 vcc, 0, v2
	v_add_u32_e32 v3, 0xffffff81, v2
	v_cmp_gt_u32_e64 s[30:31], s38, v2
	v_sub_u32_e32 v2, 0x71, v2
	v_mov_b32_e32 v12, 0xffffff82
	v_cndmask_b32_e64 v2, 0, v2, s[30:31]
	v_cndmask_b32_e32 v12, v3, v12, vcc
	v_mov_b32_e32 v3, 0x70
	v_cndmask_b32_e32 v14, v2, v3, vcc
	v_add_u32_e32 v2, 21, v14
	v_or_b32_e32 v7, 0x800000, v50
	v_lshlrev_b64 v[2:3], v2, -1
	v_cndmask_b32_e32 v50, v7, v50, vcc
	v_not_b32_e32 v3, v3
	v_not_b32_e32 v2, v2
	v_add_u32_e32 v7, 20, v14
	v_and_b32_e32 v3, 0, v3
	v_and_b32_e32 v2, v50, v2
	v_lshlrev_b64 v[16:17], v7, 1
	v_cmp_eq_u64_e32 vcc, v[2:3], v[16:17]
	v_lshrrev_b64 v[2:3], v14, v[50:51]
	v_lshrrev_b32_e32 v7, 23, v2
	v_add3_u32 v14, v14, v12, v7
	v_bfe_u32 v7, v2, 21, 1
	v_add_u32_e32 v7, -1, v7
	v_cndmask_b32_e32 v7, 0, v7, vcc
	v_add_u32_e32 v7, v7, v2
	v_and_b32_e32 v7, 0x1fffff, v7
	v_add_co_u32_e32 v2, vcc, v7, v2
	v_add_u32_e32 v12, 14, v14
	v_addc_co_u32_e32 v3, vcc, 0, v3, vcc
	v_cmp_ne_u32_e32 vcc, 0, v12
                                        ; implicit-def: $vgpr7
	s_and_saveexec_b64 s[30:31], vcc
	s_xor_b64 s[30:31], exec, s[30:31]
; %bb.596:                              ;   in Loop: Header=BB6_348 Depth=4
	v_add_u32_e32 v7, 15, v14
	v_cmp_lt_u64_e32 vcc, s[56:57], v[2:3]
	v_cndmask_b32_e32 v7, v12, v7, vcc
	v_cndmask_b32_e64 v12, 0, 1, vcc
	v_lshrrev_b64 v[2:3], v12, v[2:3]
; %bb.597:                              ;   in Loop: Header=BB6_348 Depth=4
	s_andn2_saveexec_b64 vcc, s[30:31]
; %bb.598:                              ;   in Loop: Header=BB6_348 Depth=4
	v_bfe_u32 v7, v2, 23, 1
; %bb.599:                              ;   in Loop: Header=BB6_348 Depth=4
	s_or_b64 exec, exec, vcc
	v_lshrrev_b64 v[2:3], 21, v[2:3]
	v_cmp_gt_i32_e32 vcc, 32, v7
	v_cndmask_b32_e32 v3, 0, v3, vcc
	v_cndmask_b32_e32 v2, 3, v2, vcc
	v_cmp_ne_u32_e32 vcc, 0, v7
	v_cmp_ne_u64_e64 s[30:31], 0, v[2:3]
	s_or_b64 vcc, vcc, s[30:31]
                                        ; implicit-def: $vgpr12
	s_and_saveexec_b64 s[30:31], vcc
	s_xor_b64 vcc, exec, s[30:31]
; %bb.600:                              ;   in Loop: Header=BB6_348 Depth=4
	v_min_i32_e32 v3, 31, v7
	v_lshl_or_b32 v1, v3, 2, v1
	v_and_or_b32 v12, v2, 3, v1
                                        ; implicit-def: $vgpr1
; %bb.601:                              ;   in Loop: Header=BB6_348 Depth=4
	s_andn2_saveexec_b64 vcc, vcc
; %bb.602:                              ;   in Loop: Header=BB6_348 Depth=4
	v_mov_b32_e32 v12, v1
; %bb.603:                              ;   in Loop: Header=BB6_348 Depth=4
	s_or_b64 exec, exec, vcc
.LBB6_604:                              ;   in Loop: Header=BB6_348 Depth=4
	s_or_b64 exec, exec, s[74:75]
.LBB6_605:                              ;   in Loop: Header=BB6_348 Depth=4
	s_andn2_saveexec_b64 vcc, s[72:73]
	s_or_b64 exec, exec, vcc
                                        ; implicit-def: $vgpr3
.LBB6_606:                              ;   in Loop: Header=BB6_348 Depth=4
	s_andn2_saveexec_b64 s[30:31], s[70:71]
; %bb.607:                              ;   in Loop: Header=BB6_348 Depth=4
	v_or_b32_sdwa v1, v3, s39 dst_sel:DWORD dst_unused:UNUSED_PAD src0_sel:BYTE_3 src1_sel:DWORD
	v_cmp_eq_u64_e32 vcc, 0, v[50:51]
	v_cndmask_b32_e32 v12, v1, v12, vcc
; %bb.608:                              ;   in Loop: Header=BB6_348 Depth=4
	s_or_b64 exec, exec, s[30:31]
	v_and_b32_e32 v1, 0xff, v18
	s_and_b64 vcc, exec, s[28:29]
	v_cmp_ne_u16_e64 s[30:31], 0, v18
	s_cbranch_vccnz .LBB6_626
; %bb.609:                              ;   in Loop: Header=BB6_348 Depth=4
	v_mov_b32_e32 v3, 0
	v_mov_b32_e32 v2, 0
	s_and_saveexec_b64 s[70:71], s[30:31]
	s_cbranch_execz .LBB6_617
; %bb.610:                              ;   in Loop: Header=BB6_348 Depth=4
	v_cmp_ne_u16_e32 vcc, s94, v18
	v_bfrev_b32_e32 v2, 1
	s_and_saveexec_b64 s[72:73], vcc
	s_cbranch_execz .LBB6_616
; %bb.611:                              ;   in Loop: Header=BB6_348 Depth=4
	v_and_b32_e32 v2, 0x7c, v1
	v_and_b32_e32 v7, 3, v1
	v_cmp_ne_u32_e32 vcc, s95, v2
                                        ; implicit-def: $vgpr2
	s_and_saveexec_b64 s[50:51], vcc
	s_xor_b64 s[74:75], exec, s[50:51]
	s_cbranch_execz .LBB6_613
; %bb.612:                              ;   in Loop: Header=BB6_348 Depth=4
	v_ffbh_u32_e32 v16, v7
	v_min_u32_e32 v20, 32, v16
	v_mov_b32_e32 v19, v51
	v_subrev_u32_e32 v16, 29, v20
	v_bfe_u32 v2, v1, 2, 5
	v_lshlrev_b64 v[16:17], v16, v[18:19]
	v_sub_u32_e32 v17, 30, v20
	v_and_b32_e32 v16, 3, v16
	v_cmp_eq_u32_e32 vcc, 0, v2
	v_cndmask_b32_e32 v2, v2, v17, vcc
	v_cndmask_b32_e32 v7, v7, v16, vcc
	v_bfrev_b32_e32 v16, 28
	v_bfe_i32 v14, v18, 0, 16
	v_lshl_add_u32 v2, v2, 23, v16
	v_and_or_b32 v2, v14, s96, v2
	v_lshl_or_b32 v2, v7, 21, v2
                                        ; implicit-def: $vgpr7
.LBB6_613:                              ;   in Loop: Header=BB6_348 Depth=4
	s_andn2_saveexec_b64 s[74:75], s[74:75]
; %bb.614:                              ;   in Loop: Header=BB6_348 Depth=4
	v_cmp_lt_i16_e32 vcc, -1, v18
	v_mov_b32_e32 v2, 0xc7600000
	v_mov_b32_e32 v14, 0x47600000
	v_cndmask_b32_e32 v2, v2, v14, vcc
	v_cmp_eq_u32_e32 vcc, 0, v7
	v_mov_b32_e32 v7, 0x7f800001
	v_cndmask_b32_e32 v2, v7, v2, vcc
; %bb.615:                              ;   in Loop: Header=BB6_348 Depth=4
	s_or_b64 exec, exec, s[74:75]
.LBB6_616:                              ;   in Loop: Header=BB6_348 Depth=4
	s_or_b64 exec, exec, s[72:73]
.LBB6_617:                              ;   in Loop: Header=BB6_348 Depth=4
	s_or_b64 exec, exec, s[70:71]
	v_cmp_ne_u16_e32 vcc, 0, v54
	s_and_saveexec_b64 s[70:71], vcc
	s_cbranch_execz .LBB6_625
; %bb.618:                              ;   in Loop: Header=BB6_348 Depth=4
	v_cmp_ne_u16_e32 vcc, s94, v54
	v_bfrev_b32_e32 v3, 1
	s_and_saveexec_b64 s[72:73], vcc
	s_cbranch_execz .LBB6_624
; %bb.619:                              ;   in Loop: Header=BB6_348 Depth=4
	v_and_b32_e32 v3, 0x7c, v54
	v_and_b32_e32 v7, 3, v54
	v_cmp_ne_u32_e32 vcc, s95, v3
                                        ; implicit-def: $vgpr3
	s_and_saveexec_b64 s[50:51], vcc
	s_xor_b64 s[74:75], exec, s[50:51]
	s_cbranch_execz .LBB6_621
; %bb.620:                              ;   in Loop: Header=BB6_348 Depth=4
	v_ffbh_u32_e32 v16, v7
	v_min_u32_e32 v19, 32, v16
	v_and_b32_e32 v3, 0xff, v54
	v_mov_b32_e32 v55, v51
	v_subrev_u32_e32 v16, 29, v19
	v_bfe_u32 v3, v3, 2, 5
	v_lshlrev_b64 v[16:17], v16, v[54:55]
	v_sub_u32_e32 v17, 30, v19
	v_and_b32_e32 v16, 3, v16
	v_cmp_eq_u32_e32 vcc, 0, v3
	v_cndmask_b32_e32 v3, v3, v17, vcc
	v_cndmask_b32_e32 v7, v7, v16, vcc
	v_bfrev_b32_e32 v16, 28
	v_bfe_i32 v14, v54, 0, 16
	v_lshl_add_u32 v3, v3, 23, v16
	v_and_or_b32 v3, v14, s96, v3
	v_lshl_or_b32 v3, v7, 21, v3
                                        ; implicit-def: $vgpr7
.LBB6_621:                              ;   in Loop: Header=BB6_348 Depth=4
	s_andn2_saveexec_b64 s[74:75], s[74:75]
; %bb.622:                              ;   in Loop: Header=BB6_348 Depth=4
	v_cmp_lt_i16_e32 vcc, -1, v54
	v_mov_b32_e32 v3, 0xc7600000
	v_mov_b32_e32 v14, 0x47600000
	v_cndmask_b32_e32 v3, v3, v14, vcc
	v_cmp_eq_u32_e32 vcc, 0, v7
	v_mov_b32_e32 v7, 0x7f800001
	v_cndmask_b32_e32 v3, v7, v3, vcc
; %bb.623:                              ;   in Loop: Header=BB6_348 Depth=4
	s_or_b64 exec, exec, s[74:75]
.LBB6_624:                              ;   in Loop: Header=BB6_348 Depth=4
	s_or_b64 exec, exec, s[72:73]
.LBB6_625:                              ;   in Loop: Header=BB6_348 Depth=4
	s_or_b64 exec, exec, s[70:71]
	v_max_f32_e32 v3, v3, v3
	v_max_f32_e32 v2, v2, v2
	;; [unrolled: 1-line block ×3, first 2 shown]
	s_branch .LBB6_644
.LBB6_626:                              ;   in Loop: Header=BB6_348 Depth=4
                                        ; implicit-def: $vgpr2
	s_cbranch_execz .LBB6_644
; %bb.627:                              ;   in Loop: Header=BB6_348 Depth=4
	v_mov_b32_e32 v3, 0
	v_mov_b32_e32 v2, 0
	s_and_saveexec_b64 s[70:71], s[30:31]
	s_cbranch_execz .LBB6_635
; %bb.628:                              ;   in Loop: Header=BB6_348 Depth=4
	v_cmp_ne_u16_e32 vcc, s94, v18
	v_bfrev_b32_e32 v2, 1
	s_and_saveexec_b64 s[30:31], vcc
	s_cbranch_execz .LBB6_634
; %bb.629:                              ;   in Loop: Header=BB6_348 Depth=4
	v_and_b32_e32 v2, 0x7c, v1
	v_and_b32_e32 v7, 3, v1
	v_cmp_ne_u32_e32 vcc, s95, v2
                                        ; implicit-def: $vgpr2
	s_and_saveexec_b64 s[50:51], vcc
	s_xor_b64 s[72:73], exec, s[50:51]
	s_cbranch_execz .LBB6_631
; %bb.630:                              ;   in Loop: Header=BB6_348 Depth=4
	v_ffbh_u32_e32 v14, v7
	v_bfe_u32 v1, v1, 2, 5
	v_min_u32_e32 v14, 32, v14
	v_mov_b32_e32 v19, v51
	v_subrev_u32_e32 v16, 29, v14
	v_sub_u32_e32 v14, 30, v14
	v_cmp_eq_u32_e32 vcc, 0, v1
	v_lshlrev_b64 v[16:17], v16, v[18:19]
	v_cndmask_b32_e32 v1, v1, v14, vcc
	v_bfrev_b32_e32 v14, 28
	v_bfe_i32 v2, v18, 0, 16
	v_and_b32_e32 v16, 3, v16
	v_lshl_add_u32 v1, v1, 23, v14
	v_cndmask_b32_e32 v7, v7, v16, vcc
	v_and_or_b32 v1, v2, s96, v1
	v_lshl_or_b32 v2, v7, 21, v1
                                        ; implicit-def: $vgpr7
                                        ; implicit-def: $vgpr18
.LBB6_631:                              ;   in Loop: Header=BB6_348 Depth=4
	s_andn2_saveexec_b64 s[72:73], s[72:73]
; %bb.632:                              ;   in Loop: Header=BB6_348 Depth=4
	v_cmp_lt_i16_e32 vcc, -1, v18
	v_mov_b32_e32 v1, 0xc7600000
	v_mov_b32_e32 v2, 0x47600000
	v_cndmask_b32_e32 v1, v1, v2, vcc
	v_cmp_eq_u32_e32 vcc, 0, v7
	v_mov_b32_e32 v2, 0x7f800001
	v_cndmask_b32_e32 v2, v2, v1, vcc
; %bb.633:                              ;   in Loop: Header=BB6_348 Depth=4
	s_or_b64 exec, exec, s[72:73]
.LBB6_634:                              ;   in Loop: Header=BB6_348 Depth=4
	s_or_b64 exec, exec, s[30:31]
.LBB6_635:                              ;   in Loop: Header=BB6_348 Depth=4
	s_or_b64 exec, exec, s[70:71]
	v_cmp_ne_u16_e32 vcc, 0, v54
	s_and_saveexec_b64 s[30:31], vcc
	s_cbranch_execz .LBB6_643
; %bb.636:                              ;   in Loop: Header=BB6_348 Depth=4
	v_cmp_ne_u16_e32 vcc, s94, v54
	v_bfrev_b32_e32 v3, 1
	s_and_saveexec_b64 s[70:71], vcc
	s_cbranch_execz .LBB6_642
; %bb.637:                              ;   in Loop: Header=BB6_348 Depth=4
	v_and_b32_e32 v3, 0x7c, v54
	v_and_b32_e32 v1, 3, v54
	v_cmp_ne_u32_e32 vcc, s95, v3
                                        ; implicit-def: $vgpr3
	s_and_saveexec_b64 s[50:51], vcc
	s_xor_b64 s[72:73], exec, s[50:51]
	s_cbranch_execz .LBB6_639
; %bb.638:                              ;   in Loop: Header=BB6_348 Depth=4
	v_and_b32_e32 v3, 0xff, v54
	v_ffbh_u32_e32 v14, v1
	v_bfe_u32 v3, v3, 2, 5
	v_min_u32_e32 v14, 32, v14
	v_mov_b32_e32 v55, v51
	v_subrev_u32_e32 v16, 29, v14
	v_sub_u32_e32 v14, 30, v14
	v_cmp_eq_u32_e32 vcc, 0, v3
	v_lshlrev_b64 v[16:17], v16, v[54:55]
	v_cndmask_b32_e32 v3, v3, v14, vcc
	v_bfrev_b32_e32 v14, 28
	v_bfe_i32 v7, v54, 0, 16
	v_and_b32_e32 v16, 3, v16
	v_lshl_add_u32 v3, v3, 23, v14
	v_cndmask_b32_e32 v1, v1, v16, vcc
	v_and_or_b32 v3, v7, s96, v3
	v_lshl_or_b32 v3, v1, 21, v3
                                        ; implicit-def: $vgpr1
                                        ; implicit-def: $vgpr54
.LBB6_639:                              ;   in Loop: Header=BB6_348 Depth=4
	s_andn2_saveexec_b64 s[72:73], s[72:73]
; %bb.640:                              ;   in Loop: Header=BB6_348 Depth=4
	v_cmp_lt_i16_e32 vcc, -1, v54
	v_mov_b32_e32 v3, 0xc7600000
	v_mov_b32_e32 v7, 0x47600000
	v_cndmask_b32_e32 v3, v3, v7, vcc
	v_cmp_eq_u32_e32 vcc, 0, v1
	v_mov_b32_e32 v1, 0x7f800001
	v_cndmask_b32_e32 v3, v1, v3, vcc
; %bb.641:                              ;   in Loop: Header=BB6_348 Depth=4
	s_or_b64 exec, exec, s[72:73]
.LBB6_642:                              ;   in Loop: Header=BB6_348 Depth=4
	s_or_b64 exec, exec, s[70:71]
.LBB6_643:                              ;   in Loop: Header=BB6_348 Depth=4
	s_or_b64 exec, exec, s[30:31]
	v_max_f32_e32 v1, v3, v3
	v_max_f32_e32 v2, v2, v2
	v_min_f32_e32 v2, v2, v1
.LBB6_644:                              ;   in Loop: Header=BB6_348 Depth=4
	v_and_b32_sdwa v1, v2, s97 dst_sel:DWORD dst_unused:UNUSED_PAD src0_sel:BYTE_3 src1_sel:DWORD
	v_and_b32_e32 v16, 0x7f800000, v2
	v_mov_b32_e32 v17, v51
	v_and_b32_e32 v50, 0x7fffff, v2
	v_or_b32_e32 v14, 0x7b, v1
	v_cmp_ne_u64_e32 vcc, s[52:53], v[16:17]
	s_and_saveexec_b64 s[30:31], vcc
	s_xor_b64 s[70:71], exec, s[30:31]
	s_cbranch_execz .LBB6_658
; %bb.645:                              ;   in Loop: Header=BB6_348 Depth=4
	v_and_b32_e32 v16, 0x7fffffff, v2
	v_mov_b32_e32 v17, v51
	v_cmp_gt_u64_e32 vcc, s[54:55], v[16:17]
	s_and_saveexec_b64 s[30:31], vcc
	s_xor_b64 s[72:73], exec, s[30:31]
	s_cbranch_execz .LBB6_657
; %bb.646:                              ;   in Loop: Header=BB6_348 Depth=4
	v_cmp_ne_u32_e32 vcc, 0, v2
	v_mov_b32_e32 v14, 0
	s_and_saveexec_b64 s[74:75], vcc
	s_cbranch_execz .LBB6_656
; %bb.647:                              ;   in Loop: Header=BB6_348 Depth=4
	v_bfe_u32 v2, v2, 23, 8
	v_cmp_eq_u32_e32 vcc, 0, v2
	v_add_u32_e32 v3, 0xffffff81, v2
	v_cmp_gt_u32_e64 s[30:31], s38, v2
	v_sub_u32_e32 v2, 0x71, v2
	v_mov_b32_e32 v14, 0xffffff82
	v_cndmask_b32_e64 v2, 0, v2, s[30:31]
	v_cndmask_b32_e32 v14, v3, v14, vcc
	v_mov_b32_e32 v3, 0x70
	v_cndmask_b32_e32 v18, v2, v3, vcc
	v_add_u32_e32 v2, 21, v18
	v_or_b32_e32 v7, 0x800000, v50
	v_lshlrev_b64 v[2:3], v2, -1
	v_cndmask_b32_e32 v50, v7, v50, vcc
	v_not_b32_e32 v3, v3
	v_not_b32_e32 v2, v2
	v_add_u32_e32 v7, 20, v18
	v_and_b32_e32 v3, 0, v3
	v_and_b32_e32 v2, v50, v2
	v_lshlrev_b64 v[16:17], v7, 1
	v_cmp_eq_u64_e32 vcc, v[2:3], v[16:17]
	v_lshrrev_b64 v[2:3], v18, v[50:51]
	v_lshrrev_b32_e32 v7, 23, v2
	v_add3_u32 v16, v18, v14, v7
	v_bfe_u32 v7, v2, 21, 1
	v_add_u32_e32 v7, -1, v7
	v_cndmask_b32_e32 v7, 0, v7, vcc
	v_add_u32_e32 v7, v7, v2
	v_and_b32_e32 v7, 0x1fffff, v7
	v_add_co_u32_e32 v2, vcc, v7, v2
	v_add_u32_e32 v14, 14, v16
	v_addc_co_u32_e32 v3, vcc, 0, v3, vcc
	v_cmp_ne_u32_e32 vcc, 0, v14
                                        ; implicit-def: $vgpr7
	s_and_saveexec_b64 s[30:31], vcc
	s_xor_b64 s[30:31], exec, s[30:31]
; %bb.648:                              ;   in Loop: Header=BB6_348 Depth=4
	v_add_u32_e32 v7, 15, v16
	v_cmp_lt_u64_e32 vcc, s[56:57], v[2:3]
	v_cndmask_b32_e32 v7, v14, v7, vcc
	v_cndmask_b32_e64 v14, 0, 1, vcc
	v_lshrrev_b64 v[2:3], v14, v[2:3]
; %bb.649:                              ;   in Loop: Header=BB6_348 Depth=4
	s_andn2_saveexec_b64 vcc, s[30:31]
; %bb.650:                              ;   in Loop: Header=BB6_348 Depth=4
	v_bfe_u32 v7, v2, 23, 1
; %bb.651:                              ;   in Loop: Header=BB6_348 Depth=4
	s_or_b64 exec, exec, vcc
	v_lshrrev_b64 v[2:3], 21, v[2:3]
	v_cmp_gt_i32_e32 vcc, 32, v7
	v_cndmask_b32_e32 v3, 0, v3, vcc
	v_cndmask_b32_e32 v2, 3, v2, vcc
	v_cmp_ne_u32_e32 vcc, 0, v7
	v_cmp_ne_u64_e64 s[30:31], 0, v[2:3]
	s_or_b64 vcc, vcc, s[30:31]
                                        ; implicit-def: $vgpr14
	s_and_saveexec_b64 s[30:31], vcc
	s_xor_b64 vcc, exec, s[30:31]
; %bb.652:                              ;   in Loop: Header=BB6_348 Depth=4
	v_min_i32_e32 v3, 31, v7
	v_lshl_or_b32 v1, v3, 2, v1
	v_and_or_b32 v14, v2, 3, v1
                                        ; implicit-def: $vgpr1
; %bb.653:                              ;   in Loop: Header=BB6_348 Depth=4
	s_andn2_saveexec_b64 vcc, vcc
; %bb.654:                              ;   in Loop: Header=BB6_348 Depth=4
	v_mov_b32_e32 v14, v1
; %bb.655:                              ;   in Loop: Header=BB6_348 Depth=4
	s_or_b64 exec, exec, vcc
.LBB6_656:                              ;   in Loop: Header=BB6_348 Depth=4
	s_or_b64 exec, exec, s[74:75]
.LBB6_657:                              ;   in Loop: Header=BB6_348 Depth=4
	s_andn2_saveexec_b64 vcc, s[72:73]
	s_or_b64 exec, exec, vcc
                                        ; implicit-def: $vgpr2
.LBB6_658:                              ;   in Loop: Header=BB6_348 Depth=4
	s_andn2_saveexec_b64 s[30:31], s[70:71]
; %bb.659:                              ;   in Loop: Header=BB6_348 Depth=4
	v_or_b32_sdwa v1, v2, s39 dst_sel:DWORD dst_unused:UNUSED_PAD src0_sel:BYTE_3 src1_sel:DWORD
	v_cmp_eq_u64_e32 vcc, 0, v[50:51]
	v_cndmask_b32_e32 v14, v1, v14, vcc
; %bb.660:                              ;   in Loop: Header=BB6_348 Depth=4
	s_or_b64 exec, exec, s[30:31]
	v_and_b32_e32 v1, 0xff, v36
	s_and_b64 vcc, exec, s[28:29]
	v_cmp_ne_u16_e64 s[30:31], 0, v36
	s_cbranch_vccnz .LBB6_678
; %bb.661:                              ;   in Loop: Header=BB6_348 Depth=4
	v_mov_b32_e32 v3, 0
	v_mov_b32_e32 v2, 0
	s_and_saveexec_b64 s[70:71], s[30:31]
	s_cbranch_execz .LBB6_669
; %bb.662:                              ;   in Loop: Header=BB6_348 Depth=4
	v_cmp_ne_u16_e32 vcc, s94, v36
	v_bfrev_b32_e32 v2, 1
	s_and_saveexec_b64 s[72:73], vcc
	s_cbranch_execz .LBB6_668
; %bb.663:                              ;   in Loop: Header=BB6_348 Depth=4
	v_and_b32_e32 v2, 0x7c, v1
	v_and_b32_e32 v7, 3, v1
	v_cmp_ne_u32_e32 vcc, s95, v2
                                        ; implicit-def: $vgpr2
	s_and_saveexec_b64 s[50:51], vcc
	s_xor_b64 s[74:75], exec, s[50:51]
	s_cbranch_execz .LBB6_665
; %bb.664:                              ;   in Loop: Header=BB6_348 Depth=4
	v_ffbh_u32_e32 v16, v7
	v_min_u32_e32 v19, 32, v16
	v_mov_b32_e32 v37, v51
	v_subrev_u32_e32 v16, 29, v19
	v_bfe_u32 v2, v1, 2, 5
	v_lshlrev_b64 v[16:17], v16, v[36:37]
	v_sub_u32_e32 v17, 30, v19
	v_and_b32_e32 v16, 3, v16
	v_cmp_eq_u32_e32 vcc, 0, v2
	v_cndmask_b32_e32 v2, v2, v17, vcc
	v_cndmask_b32_e32 v7, v7, v16, vcc
	v_bfrev_b32_e32 v16, 28
	v_bfe_i32 v18, v36, 0, 16
	v_lshl_add_u32 v2, v2, 23, v16
	v_and_or_b32 v2, v18, s96, v2
	v_lshl_or_b32 v2, v7, 21, v2
                                        ; implicit-def: $vgpr7
.LBB6_665:                              ;   in Loop: Header=BB6_348 Depth=4
	s_andn2_saveexec_b64 s[74:75], s[74:75]
; %bb.666:                              ;   in Loop: Header=BB6_348 Depth=4
	v_cmp_lt_i16_e32 vcc, -1, v36
	v_mov_b32_e32 v2, 0xc7600000
	v_mov_b32_e32 v16, 0x47600000
	v_cndmask_b32_e32 v2, v2, v16, vcc
	v_cmp_eq_u32_e32 vcc, 0, v7
	v_mov_b32_e32 v7, 0x7f800001
	v_cndmask_b32_e32 v2, v7, v2, vcc
; %bb.667:                              ;   in Loop: Header=BB6_348 Depth=4
	s_or_b64 exec, exec, s[74:75]
.LBB6_668:                              ;   in Loop: Header=BB6_348 Depth=4
	s_or_b64 exec, exec, s[72:73]
.LBB6_669:                              ;   in Loop: Header=BB6_348 Depth=4
	s_or_b64 exec, exec, s[70:71]
	v_cmp_ne_u16_e32 vcc, 0, v24
	s_and_saveexec_b64 s[70:71], vcc
	s_cbranch_execz .LBB6_677
; %bb.670:                              ;   in Loop: Header=BB6_348 Depth=4
	v_cmp_ne_u16_e32 vcc, s94, v24
	v_bfrev_b32_e32 v3, 1
	s_and_saveexec_b64 s[72:73], vcc
	s_cbranch_execz .LBB6_676
; %bb.671:                              ;   in Loop: Header=BB6_348 Depth=4
	v_and_b32_e32 v3, 0x7c, v24
	v_and_b32_e32 v7, 3, v24
	v_cmp_ne_u32_e32 vcc, s95, v3
                                        ; implicit-def: $vgpr3
	s_and_saveexec_b64 s[50:51], vcc
	s_xor_b64 s[74:75], exec, s[50:51]
	s_cbranch_execz .LBB6_673
; %bb.672:                              ;   in Loop: Header=BB6_348 Depth=4
	v_ffbh_u32_e32 v16, v7
	v_min_u32_e32 v19, 32, v16
	v_and_b32_e32 v3, 0xff, v24
	v_mov_b32_e32 v25, v51
	v_subrev_u32_e32 v16, 29, v19
	v_bfe_u32 v3, v3, 2, 5
	v_lshlrev_b64 v[16:17], v16, v[24:25]
	v_sub_u32_e32 v17, 30, v19
	v_and_b32_e32 v16, 3, v16
	v_cmp_eq_u32_e32 vcc, 0, v3
	v_cndmask_b32_e32 v3, v3, v17, vcc
	v_cndmask_b32_e32 v7, v7, v16, vcc
	v_bfrev_b32_e32 v16, 28
	v_bfe_i32 v18, v24, 0, 16
	v_lshl_add_u32 v3, v3, 23, v16
	v_and_or_b32 v3, v18, s96, v3
	v_lshl_or_b32 v3, v7, 21, v3
                                        ; implicit-def: $vgpr7
.LBB6_673:                              ;   in Loop: Header=BB6_348 Depth=4
	s_andn2_saveexec_b64 s[74:75], s[74:75]
; %bb.674:                              ;   in Loop: Header=BB6_348 Depth=4
	v_cmp_lt_i16_e32 vcc, -1, v24
	v_mov_b32_e32 v3, 0xc7600000
	v_mov_b32_e32 v16, 0x47600000
	v_cndmask_b32_e32 v3, v3, v16, vcc
	v_cmp_eq_u32_e32 vcc, 0, v7
	v_mov_b32_e32 v7, 0x7f800001
	v_cndmask_b32_e32 v3, v7, v3, vcc
; %bb.675:                              ;   in Loop: Header=BB6_348 Depth=4
	s_or_b64 exec, exec, s[74:75]
.LBB6_676:                              ;   in Loop: Header=BB6_348 Depth=4
	s_or_b64 exec, exec, s[72:73]
.LBB6_677:                              ;   in Loop: Header=BB6_348 Depth=4
	s_or_b64 exec, exec, s[70:71]
	v_max_f32_e32 v3, v3, v3
	v_max_f32_e32 v2, v2, v2
	;; [unrolled: 1-line block ×3, first 2 shown]
	s_branch .LBB6_696
.LBB6_678:                              ;   in Loop: Header=BB6_348 Depth=4
                                        ; implicit-def: $vgpr2
	s_cbranch_execz .LBB6_696
; %bb.679:                              ;   in Loop: Header=BB6_348 Depth=4
	v_mov_b32_e32 v3, 0
	v_mov_b32_e32 v2, 0
	s_and_saveexec_b64 s[70:71], s[30:31]
	s_cbranch_execz .LBB6_687
; %bb.680:                              ;   in Loop: Header=BB6_348 Depth=4
	v_cmp_ne_u16_e32 vcc, s94, v36
	v_bfrev_b32_e32 v2, 1
	s_and_saveexec_b64 s[30:31], vcc
	s_cbranch_execz .LBB6_686
; %bb.681:                              ;   in Loop: Header=BB6_348 Depth=4
	v_and_b32_e32 v2, 0x7c, v1
	v_and_b32_e32 v7, 3, v1
	v_cmp_ne_u32_e32 vcc, s95, v2
                                        ; implicit-def: $vgpr2
	s_and_saveexec_b64 s[50:51], vcc
	s_xor_b64 s[72:73], exec, s[50:51]
	s_cbranch_execz .LBB6_683
; %bb.682:                              ;   in Loop: Header=BB6_348 Depth=4
	v_ffbh_u32_e32 v16, v7
	v_min_u32_e32 v18, 32, v16
	v_mov_b32_e32 v37, v51
	v_subrev_u32_e32 v16, 29, v18
	v_bfe_u32 v1, v1, 2, 5
	v_lshlrev_b64 v[16:17], v16, v[36:37]
	v_sub_u32_e32 v17, 30, v18
	v_and_b32_e32 v16, 3, v16
	v_cmp_eq_u32_e32 vcc, 0, v1
	v_cndmask_b32_e32 v1, v1, v17, vcc
	v_cndmask_b32_e32 v7, v7, v16, vcc
	v_bfrev_b32_e32 v16, 28
	v_bfe_i32 v2, v36, 0, 16
	v_lshl_add_u32 v1, v1, 23, v16
	v_and_or_b32 v1, v2, s96, v1
	v_lshl_or_b32 v2, v7, 21, v1
                                        ; implicit-def: $vgpr7
                                        ; implicit-def: $vgpr36
.LBB6_683:                              ;   in Loop: Header=BB6_348 Depth=4
	s_andn2_saveexec_b64 s[72:73], s[72:73]
; %bb.684:                              ;   in Loop: Header=BB6_348 Depth=4
	v_cmp_lt_i16_e32 vcc, -1, v36
	v_mov_b32_e32 v1, 0xc7600000
	v_mov_b32_e32 v2, 0x47600000
	v_cndmask_b32_e32 v1, v1, v2, vcc
	v_cmp_eq_u32_e32 vcc, 0, v7
	v_mov_b32_e32 v2, 0x7f800001
	v_cndmask_b32_e32 v2, v2, v1, vcc
; %bb.685:                              ;   in Loop: Header=BB6_348 Depth=4
	s_or_b64 exec, exec, s[72:73]
.LBB6_686:                              ;   in Loop: Header=BB6_348 Depth=4
	s_or_b64 exec, exec, s[30:31]
.LBB6_687:                              ;   in Loop: Header=BB6_348 Depth=4
	s_or_b64 exec, exec, s[70:71]
	v_cmp_ne_u16_e32 vcc, 0, v24
	s_and_saveexec_b64 s[30:31], vcc
	s_cbranch_execz .LBB6_695
; %bb.688:                              ;   in Loop: Header=BB6_348 Depth=4
	v_cmp_ne_u16_e32 vcc, s94, v24
	v_bfrev_b32_e32 v3, 1
	s_and_saveexec_b64 s[70:71], vcc
	s_cbranch_execz .LBB6_694
; %bb.689:                              ;   in Loop: Header=BB6_348 Depth=4
	v_and_b32_e32 v3, 0x7c, v24
	v_and_b32_e32 v1, 3, v24
	v_cmp_ne_u32_e32 vcc, s95, v3
                                        ; implicit-def: $vgpr3
	s_and_saveexec_b64 s[50:51], vcc
	s_xor_b64 s[72:73], exec, s[50:51]
	s_cbranch_execz .LBB6_691
; %bb.690:                              ;   in Loop: Header=BB6_348 Depth=4
	v_ffbh_u32_e32 v16, v1
	v_min_u32_e32 v18, 32, v16
	v_and_b32_e32 v3, 0xff, v24
	v_mov_b32_e32 v25, v51
	v_subrev_u32_e32 v16, 29, v18
	v_bfe_u32 v3, v3, 2, 5
	v_lshlrev_b64 v[16:17], v16, v[24:25]
	v_sub_u32_e32 v17, 30, v18
	v_and_b32_e32 v16, 3, v16
	v_cmp_eq_u32_e32 vcc, 0, v3
	v_cndmask_b32_e32 v3, v3, v17, vcc
	v_cndmask_b32_e32 v1, v1, v16, vcc
	v_bfrev_b32_e32 v16, 28
	v_bfe_i32 v7, v24, 0, 16
	v_lshl_add_u32 v3, v3, 23, v16
	v_and_or_b32 v3, v7, s96, v3
	v_lshl_or_b32 v3, v1, 21, v3
                                        ; implicit-def: $vgpr1
                                        ; implicit-def: $vgpr24
.LBB6_691:                              ;   in Loop: Header=BB6_348 Depth=4
	s_andn2_saveexec_b64 s[72:73], s[72:73]
; %bb.692:                              ;   in Loop: Header=BB6_348 Depth=4
	v_cmp_lt_i16_e32 vcc, -1, v24
	v_mov_b32_e32 v3, 0xc7600000
	v_mov_b32_e32 v7, 0x47600000
	v_cndmask_b32_e32 v3, v3, v7, vcc
	v_cmp_eq_u32_e32 vcc, 0, v1
	v_mov_b32_e32 v1, 0x7f800001
	v_cndmask_b32_e32 v3, v1, v3, vcc
; %bb.693:                              ;   in Loop: Header=BB6_348 Depth=4
	s_or_b64 exec, exec, s[72:73]
.LBB6_694:                              ;   in Loop: Header=BB6_348 Depth=4
	s_or_b64 exec, exec, s[70:71]
.LBB6_695:                              ;   in Loop: Header=BB6_348 Depth=4
	s_or_b64 exec, exec, s[30:31]
	v_max_f32_e32 v1, v3, v3
	v_max_f32_e32 v2, v2, v2
	v_min_f32_e32 v2, v2, v1
.LBB6_696:                              ;   in Loop: Header=BB6_348 Depth=4
	v_and_b32_sdwa v1, v2, s97 dst_sel:DWORD dst_unused:UNUSED_PAD src0_sel:BYTE_3 src1_sel:DWORD
	v_and_b32_e32 v50, 0x7fffff, v2
	v_or_b32_e32 v16, 0x7b, v1
	v_and_b32_e32 v18, 0x7f800000, v2
	v_mov_b32_e32 v19, v51
	v_cmp_ne_u64_e32 vcc, s[52:53], v[18:19]
	s_mov_b64 s[30:31], exec
	s_and_b64 vcc, s[30:31], vcc
	s_xor_b64 s[70:71], vcc, s[30:31]
	v_accvgpr_read_b32 v34, a50
	v_accvgpr_read_b32 v36, a56
	s_mov_b64 exec, vcc
	s_cbranch_execz .LBB6_710
; %bb.697:                              ;   in Loop: Header=BB6_348 Depth=4
	v_and_b32_e32 v18, 0x7fffffff, v2
	v_mov_b32_e32 v19, v51
	v_cmp_gt_u64_e32 vcc, s[54:55], v[18:19]
	s_and_saveexec_b64 s[30:31], vcc
	s_xor_b64 s[72:73], exec, s[30:31]
	s_cbranch_execz .LBB6_709
; %bb.698:                              ;   in Loop: Header=BB6_348 Depth=4
	v_cmp_ne_u32_e32 vcc, 0, v2
	v_mov_b32_e32 v16, 0
	s_and_saveexec_b64 s[74:75], vcc
	s_cbranch_execz .LBB6_708
; %bb.699:                              ;   in Loop: Header=BB6_348 Depth=4
	v_bfe_u32 v2, v2, 23, 8
	v_cmp_eq_u32_e32 vcc, 0, v2
	v_add_u32_e32 v3, 0xffffff81, v2
	v_cmp_gt_u32_e64 s[30:31], s38, v2
	v_sub_u32_e32 v2, 0x71, v2
	v_mov_b32_e32 v16, 0xffffff82
	v_cndmask_b32_e64 v2, 0, v2, s[30:31]
	v_cndmask_b32_e32 v18, v3, v16, vcc
	v_mov_b32_e32 v3, 0x70
	v_cndmask_b32_e32 v19, v2, v3, vcc
	v_add_u32_e32 v2, 21, v19
	v_or_b32_e32 v7, 0x800000, v50
	v_lshlrev_b64 v[2:3], v2, -1
	v_cndmask_b32_e32 v50, v7, v50, vcc
	v_not_b32_e32 v3, v3
	v_not_b32_e32 v2, v2
	v_add_u32_e32 v7, 20, v19
	v_and_b32_e32 v3, 0, v3
	v_and_b32_e32 v2, v50, v2
	v_lshlrev_b64 v[16:17], v7, 1
	v_cmp_eq_u64_e32 vcc, v[2:3], v[16:17]
	v_lshrrev_b64 v[2:3], v19, v[50:51]
	v_lshrrev_b32_e32 v7, 23, v2
	v_add3_u32 v17, v19, v18, v7
	v_bfe_u32 v7, v2, 21, 1
	v_add_u32_e32 v7, -1, v7
	v_cndmask_b32_e32 v7, 0, v7, vcc
	v_add_u32_e32 v7, v7, v2
	v_and_b32_e32 v7, 0x1fffff, v7
	v_add_co_u32_e32 v2, vcc, v7, v2
	v_add_u32_e32 v16, 14, v17
	v_addc_co_u32_e32 v3, vcc, 0, v3, vcc
	v_cmp_ne_u32_e32 vcc, 0, v16
                                        ; implicit-def: $vgpr7
	s_and_saveexec_b64 s[30:31], vcc
	s_xor_b64 s[30:31], exec, s[30:31]
; %bb.700:                              ;   in Loop: Header=BB6_348 Depth=4
	v_add_u32_e32 v7, 15, v17
	v_cmp_lt_u64_e32 vcc, s[56:57], v[2:3]
	v_cndmask_b32_e32 v7, v16, v7, vcc
	v_cndmask_b32_e64 v16, 0, 1, vcc
	v_lshrrev_b64 v[2:3], v16, v[2:3]
; %bb.701:                              ;   in Loop: Header=BB6_348 Depth=4
	s_andn2_saveexec_b64 vcc, s[30:31]
; %bb.702:                              ;   in Loop: Header=BB6_348 Depth=4
	v_bfe_u32 v7, v2, 23, 1
; %bb.703:                              ;   in Loop: Header=BB6_348 Depth=4
	s_or_b64 exec, exec, vcc
	v_lshrrev_b64 v[2:3], 21, v[2:3]
	v_cmp_gt_i32_e32 vcc, 32, v7
	v_cndmask_b32_e32 v3, 0, v3, vcc
	v_cndmask_b32_e32 v2, 3, v2, vcc
	v_cmp_ne_u32_e32 vcc, 0, v7
	v_cmp_ne_u64_e64 s[30:31], 0, v[2:3]
	s_or_b64 vcc, vcc, s[30:31]
                                        ; implicit-def: $vgpr16
	s_and_saveexec_b64 s[30:31], vcc
	s_xor_b64 vcc, exec, s[30:31]
; %bb.704:                              ;   in Loop: Header=BB6_348 Depth=4
	v_min_i32_e32 v3, 31, v7
	v_lshl_or_b32 v1, v3, 2, v1
	v_and_or_b32 v16, v2, 3, v1
                                        ; implicit-def: $vgpr1
; %bb.705:                              ;   in Loop: Header=BB6_348 Depth=4
	s_andn2_saveexec_b64 vcc, vcc
; %bb.706:                              ;   in Loop: Header=BB6_348 Depth=4
	v_mov_b32_e32 v16, v1
; %bb.707:                              ;   in Loop: Header=BB6_348 Depth=4
	s_or_b64 exec, exec, vcc
.LBB6_708:                              ;   in Loop: Header=BB6_348 Depth=4
	s_or_b64 exec, exec, s[74:75]
.LBB6_709:                              ;   in Loop: Header=BB6_348 Depth=4
	s_andn2_saveexec_b64 vcc, s[72:73]
	s_or_b64 exec, exec, vcc
                                        ; implicit-def: $vgpr2
.LBB6_710:                              ;   in Loop: Header=BB6_348 Depth=4
	s_andn2_saveexec_b64 s[30:31], s[70:71]
; %bb.711:                              ;   in Loop: Header=BB6_348 Depth=4
	v_or_b32_sdwa v1, v2, s39 dst_sel:DWORD dst_unused:UNUSED_PAD src0_sel:BYTE_3 src1_sel:DWORD
	v_cmp_eq_u64_e32 vcc, 0, v[50:51]
	v_cndmask_b32_e32 v16, v1, v16, vcc
; %bb.712:                              ;   in Loop: Header=BB6_348 Depth=4
	s_or_b64 exec, exec, s[30:31]
	v_and_b32_e32 v1, 0xff, v30
	s_and_b64 vcc, exec, s[28:29]
	v_cmp_ne_u16_e64 s[30:31], 0, v30
	s_cbranch_vccnz .LBB6_730
; %bb.713:                              ;   in Loop: Header=BB6_348 Depth=4
	v_mov_b32_e32 v3, 0
	v_mov_b32_e32 v2, 0
	s_and_saveexec_b64 s[70:71], s[30:31]
	s_cbranch_execz .LBB6_721
; %bb.714:                              ;   in Loop: Header=BB6_348 Depth=4
	v_cmp_ne_u16_e32 vcc, s94, v30
	v_bfrev_b32_e32 v2, 1
	s_and_saveexec_b64 s[72:73], vcc
	s_cbranch_execz .LBB6_720
; %bb.715:                              ;   in Loop: Header=BB6_348 Depth=4
	v_and_b32_e32 v2, 0x7c, v1
	v_and_b32_e32 v7, 3, v1
	v_cmp_ne_u32_e32 vcc, s95, v2
                                        ; implicit-def: $vgpr2
	s_and_saveexec_b64 s[50:51], vcc
	s_xor_b64 s[74:75], exec, s[50:51]
	s_cbranch_execz .LBB6_717
; %bb.716:                              ;   in Loop: Header=BB6_348 Depth=4
	v_ffbh_u32_e32 v18, v7
	v_min_u32_e32 v20, 32, v18
	v_mov_b32_e32 v31, v51
	v_subrev_u32_e32 v18, 29, v20
	v_bfe_u32 v2, v1, 2, 5
	v_lshlrev_b64 v[18:19], v18, v[30:31]
	v_sub_u32_e32 v19, 30, v20
	v_and_b32_e32 v18, 3, v18
	v_cmp_eq_u32_e32 vcc, 0, v2
	v_cndmask_b32_e32 v2, v2, v19, vcc
	v_cndmask_b32_e32 v7, v7, v18, vcc
	v_bfrev_b32_e32 v18, 28
	v_bfe_i32 v17, v30, 0, 16
	v_lshl_add_u32 v2, v2, 23, v18
	v_and_or_b32 v2, v17, s96, v2
	v_lshl_or_b32 v2, v7, 21, v2
                                        ; implicit-def: $vgpr7
.LBB6_717:                              ;   in Loop: Header=BB6_348 Depth=4
	s_andn2_saveexec_b64 s[74:75], s[74:75]
; %bb.718:                              ;   in Loop: Header=BB6_348 Depth=4
	v_cmp_lt_i16_e32 vcc, -1, v30
	v_mov_b32_e32 v2, 0xc7600000
	v_mov_b32_e32 v17, 0x47600000
	v_cndmask_b32_e32 v2, v2, v17, vcc
	v_cmp_eq_u32_e32 vcc, 0, v7
	v_mov_b32_e32 v7, 0x7f800001
	v_cndmask_b32_e32 v2, v7, v2, vcc
; %bb.719:                              ;   in Loop: Header=BB6_348 Depth=4
	s_or_b64 exec, exec, s[74:75]
.LBB6_720:                              ;   in Loop: Header=BB6_348 Depth=4
	s_or_b64 exec, exec, s[72:73]
.LBB6_721:                              ;   in Loop: Header=BB6_348 Depth=4
	s_or_b64 exec, exec, s[70:71]
	v_cmp_ne_u16_e32 vcc, 0, v6
	s_and_saveexec_b64 s[70:71], vcc
	s_cbranch_execz .LBB6_729
; %bb.722:                              ;   in Loop: Header=BB6_348 Depth=4
	v_cmp_ne_u16_e32 vcc, s94, v6
	v_bfrev_b32_e32 v3, 1
	s_and_saveexec_b64 s[72:73], vcc
	s_cbranch_execz .LBB6_728
; %bb.723:                              ;   in Loop: Header=BB6_348 Depth=4
	v_and_b32_e32 v3, 0x7c, v6
	v_and_b32_e32 v17, 3, v6
	v_cmp_ne_u32_e32 vcc, s95, v3
                                        ; implicit-def: $vgpr3
	s_and_saveexec_b64 s[50:51], vcc
	s_xor_b64 s[74:75], exec, s[50:51]
	s_cbranch_execz .LBB6_725
; %bb.724:                              ;   in Loop: Header=BB6_348 Depth=4
	v_ffbh_u32_e32 v18, v17
	v_min_u32_e32 v21, 32, v18
	v_and_b32_e32 v3, 0xff, v6
	v_mov_b32_e32 v7, v51
	v_subrev_u32_e32 v18, 29, v21
	v_bfe_u32 v3, v3, 2, 5
	v_lshlrev_b64 v[18:19], v18, v[6:7]
	v_sub_u32_e32 v7, 30, v21
	v_and_b32_e32 v18, 3, v18
	v_cmp_eq_u32_e32 vcc, 0, v3
	v_cndmask_b32_e32 v3, v3, v7, vcc
	v_cndmask_b32_e32 v7, v17, v18, vcc
	v_bfrev_b32_e32 v17, 28
	v_bfe_i32 v20, v6, 0, 16
	v_lshl_add_u32 v3, v3, 23, v17
	v_and_or_b32 v3, v20, s96, v3
	v_lshl_or_b32 v3, v7, 21, v3
                                        ; implicit-def: $vgpr17
.LBB6_725:                              ;   in Loop: Header=BB6_348 Depth=4
	s_andn2_saveexec_b64 s[74:75], s[74:75]
; %bb.726:                              ;   in Loop: Header=BB6_348 Depth=4
	v_cmp_lt_i16_e32 vcc, -1, v6
	v_mov_b32_e32 v3, 0xc7600000
	v_mov_b32_e32 v7, 0x47600000
	v_cndmask_b32_e32 v3, v3, v7, vcc
	v_cmp_eq_u32_e32 vcc, 0, v17
	v_mov_b32_e32 v7, 0x7f800001
	v_cndmask_b32_e32 v3, v7, v3, vcc
; %bb.727:                              ;   in Loop: Header=BB6_348 Depth=4
	s_or_b64 exec, exec, s[74:75]
.LBB6_728:                              ;   in Loop: Header=BB6_348 Depth=4
	s_or_b64 exec, exec, s[72:73]
.LBB6_729:                              ;   in Loop: Header=BB6_348 Depth=4
	s_or_b64 exec, exec, s[70:71]
	v_max_f32_e32 v3, v3, v3
	v_max_f32_e32 v2, v2, v2
	;; [unrolled: 1-line block ×3, first 2 shown]
	s_branch .LBB6_748
.LBB6_730:                              ;   in Loop: Header=BB6_348 Depth=4
                                        ; implicit-def: $vgpr2
	s_cbranch_execz .LBB6_748
; %bb.731:                              ;   in Loop: Header=BB6_348 Depth=4
	v_mov_b32_e32 v3, 0
	v_mov_b32_e32 v2, 0
	s_and_saveexec_b64 s[70:71], s[30:31]
	s_cbranch_execz .LBB6_739
; %bb.732:                              ;   in Loop: Header=BB6_348 Depth=4
	v_cmp_ne_u16_e32 vcc, s94, v30
	v_bfrev_b32_e32 v2, 1
	s_and_saveexec_b64 s[30:31], vcc
	s_cbranch_execz .LBB6_738
; %bb.733:                              ;   in Loop: Header=BB6_348 Depth=4
	v_and_b32_e32 v2, 0x7c, v1
	v_and_b32_e32 v7, 3, v1
	v_cmp_ne_u32_e32 vcc, s95, v2
                                        ; implicit-def: $vgpr2
	s_and_saveexec_b64 s[50:51], vcc
	s_xor_b64 s[72:73], exec, s[50:51]
	s_cbranch_execz .LBB6_735
; %bb.734:                              ;   in Loop: Header=BB6_348 Depth=4
	v_ffbh_u32_e32 v17, v7
	v_bfe_u32 v1, v1, 2, 5
	v_min_u32_e32 v17, 32, v17
	v_mov_b32_e32 v31, v51
	v_subrev_u32_e32 v18, 29, v17
	v_sub_u32_e32 v17, 30, v17
	v_cmp_eq_u32_e32 vcc, 0, v1
	v_lshlrev_b64 v[18:19], v18, v[30:31]
	v_cndmask_b32_e32 v1, v1, v17, vcc
	v_bfrev_b32_e32 v17, 28
	v_bfe_i32 v2, v30, 0, 16
	v_and_b32_e32 v18, 3, v18
	v_lshl_add_u32 v1, v1, 23, v17
	v_cndmask_b32_e32 v7, v7, v18, vcc
	v_and_or_b32 v1, v2, s96, v1
	v_lshl_or_b32 v2, v7, 21, v1
                                        ; implicit-def: $vgpr7
                                        ; implicit-def: $vgpr30
.LBB6_735:                              ;   in Loop: Header=BB6_348 Depth=4
	s_andn2_saveexec_b64 s[72:73], s[72:73]
; %bb.736:                              ;   in Loop: Header=BB6_348 Depth=4
	v_cmp_lt_i16_e32 vcc, -1, v30
	v_mov_b32_e32 v1, 0xc7600000
	v_mov_b32_e32 v2, 0x47600000
	v_cndmask_b32_e32 v1, v1, v2, vcc
	v_cmp_eq_u32_e32 vcc, 0, v7
	v_mov_b32_e32 v2, 0x7f800001
	v_cndmask_b32_e32 v2, v2, v1, vcc
; %bb.737:                              ;   in Loop: Header=BB6_348 Depth=4
	s_or_b64 exec, exec, s[72:73]
.LBB6_738:                              ;   in Loop: Header=BB6_348 Depth=4
	s_or_b64 exec, exec, s[30:31]
.LBB6_739:                              ;   in Loop: Header=BB6_348 Depth=4
	s_or_b64 exec, exec, s[70:71]
	v_cmp_ne_u16_e32 vcc, 0, v6
	s_and_saveexec_b64 s[30:31], vcc
	s_cbranch_execz .LBB6_747
; %bb.740:                              ;   in Loop: Header=BB6_348 Depth=4
	v_cmp_ne_u16_e32 vcc, s94, v6
	v_bfrev_b32_e32 v3, 1
	s_and_saveexec_b64 s[70:71], vcc
	s_cbranch_execz .LBB6_746
; %bb.741:                              ;   in Loop: Header=BB6_348 Depth=4
	v_and_b32_e32 v3, 0x7c, v6
	v_and_b32_e32 v1, 3, v6
	v_cmp_ne_u32_e32 vcc, s95, v3
                                        ; implicit-def: $vgpr3
	s_and_saveexec_b64 s[50:51], vcc
	s_xor_b64 s[72:73], exec, s[50:51]
	s_cbranch_execz .LBB6_743
; %bb.742:                              ;   in Loop: Header=BB6_348 Depth=4
	v_ffbh_u32_e32 v18, v1
	v_min_u32_e32 v18, 32, v18
	v_and_b32_e32 v3, 0xff, v6
	v_mov_b32_e32 v7, v51
	v_subrev_u32_e32 v19, 29, v18
	v_bfe_u32 v3, v3, 2, 5
	v_bfe_i32 v17, v6, 0, 16
	v_lshlrev_b64 v[6:7], v19, v[6:7]
	v_sub_u32_e32 v7, 30, v18
	v_and_b32_e32 v6, 3, v6
	v_cmp_eq_u32_e32 vcc, 0, v3
	v_cndmask_b32_e32 v3, v3, v7, vcc
	v_cndmask_b32_e32 v1, v1, v6, vcc
	v_bfrev_b32_e32 v6, 28
	v_lshl_add_u32 v3, v3, 23, v6
	v_and_or_b32 v3, v17, s96, v3
	v_lshl_or_b32 v3, v1, 21, v3
                                        ; implicit-def: $vgpr1
                                        ; implicit-def: $vgpr6
.LBB6_743:                              ;   in Loop: Header=BB6_348 Depth=4
	s_andn2_saveexec_b64 s[72:73], s[72:73]
; %bb.744:                              ;   in Loop: Header=BB6_348 Depth=4
	v_cmp_lt_i16_e32 vcc, -1, v6
	v_mov_b32_e32 v3, 0xc7600000
	v_mov_b32_e32 v6, 0x47600000
	v_cndmask_b32_e32 v3, v3, v6, vcc
	v_cmp_eq_u32_e32 vcc, 0, v1
	v_mov_b32_e32 v1, 0x7f800001
	v_cndmask_b32_e32 v3, v1, v3, vcc
; %bb.745:                              ;   in Loop: Header=BB6_348 Depth=4
	s_or_b64 exec, exec, s[72:73]
.LBB6_746:                              ;   in Loop: Header=BB6_348 Depth=4
	s_or_b64 exec, exec, s[70:71]
.LBB6_747:                              ;   in Loop: Header=BB6_348 Depth=4
	s_or_b64 exec, exec, s[30:31]
	v_max_f32_e32 v1, v3, v3
	v_max_f32_e32 v2, v2, v2
	v_min_f32_e32 v2, v2, v1
.LBB6_748:                              ;   in Loop: Header=BB6_348 Depth=4
	v_and_b32_sdwa v1, v2, s97 dst_sel:DWORD dst_unused:UNUSED_PAD src0_sel:BYTE_3 src1_sel:DWORD
	v_and_b32_e32 v50, 0x7fffff, v2
	v_or_b32_e32 v3, 0x7b, v1
	v_and_b32_e32 v6, 0x7f800000, v2
	v_mov_b32_e32 v7, v51
	v_cmp_ne_u64_e32 vcc, s[52:53], v[6:7]
	s_mov_b64 s[30:31], exec
	s_and_b64 vcc, s[30:31], vcc
	s_xor_b64 s[70:71], vcc, s[30:31]
	v_accvgpr_read_b32 v30, a54
	s_mov_b64 exec, vcc
	s_cbranch_execz .LBB6_762
; %bb.749:                              ;   in Loop: Header=BB6_348 Depth=4
	v_and_b32_e32 v6, 0x7fffffff, v2
	v_mov_b32_e32 v7, v51
	v_cmp_gt_u64_e32 vcc, s[54:55], v[6:7]
	s_and_saveexec_b64 s[30:31], vcc
	s_xor_b64 s[72:73], exec, s[30:31]
	s_cbranch_execz .LBB6_761
; %bb.750:                              ;   in Loop: Header=BB6_348 Depth=4
	v_cmp_ne_u32_e32 vcc, 0, v2
	v_mov_b32_e32 v3, 0
	s_and_saveexec_b64 s[74:75], vcc
	s_cbranch_execz .LBB6_760
; %bb.751:                              ;   in Loop: Header=BB6_348 Depth=4
	v_bfe_u32 v2, v2, 23, 8
	v_cmp_eq_u32_e32 vcc, 0, v2
	v_add_u32_e32 v3, 0xffffff81, v2
	v_cmp_gt_u32_e64 s[30:31], s38, v2
	v_sub_u32_e32 v2, 0x71, v2
	v_mov_b32_e32 v7, 0xffffff82
	v_cndmask_b32_e64 v2, 0, v2, s[30:31]
	v_cndmask_b32_e32 v17, v3, v7, vcc
	v_mov_b32_e32 v3, 0x70
	v_cndmask_b32_e32 v18, v2, v3, vcc
	v_add_u32_e32 v2, 21, v18
	v_or_b32_e32 v6, 0x800000, v50
	v_lshlrev_b64 v[2:3], v2, -1
	v_cndmask_b32_e32 v50, v6, v50, vcc
	v_not_b32_e32 v3, v3
	v_not_b32_e32 v2, v2
	v_add_u32_e32 v6, 20, v18
	v_and_b32_e32 v3, 0, v3
	v_and_b32_e32 v2, v50, v2
	v_lshlrev_b64 v[6:7], v6, 1
	v_cmp_eq_u64_e32 vcc, v[2:3], v[6:7]
	v_lshrrev_b64 v[2:3], v18, v[50:51]
	v_lshrrev_b32_e32 v6, 23, v2
	v_add3_u32 v17, v18, v17, v6
	v_bfe_u32 v6, v2, 21, 1
	v_add_u32_e32 v6, -1, v6
	v_cndmask_b32_e32 v6, 0, v6, vcc
	v_add_u32_e32 v6, v6, v2
	v_and_b32_e32 v6, 0x1fffff, v6
	v_add_co_u32_e32 v2, vcc, v6, v2
	v_add_u32_e32 v7, 14, v17
	v_addc_co_u32_e32 v3, vcc, 0, v3, vcc
	v_cmp_ne_u32_e32 vcc, 0, v7
                                        ; implicit-def: $vgpr6
	s_and_saveexec_b64 s[30:31], vcc
	s_xor_b64 s[30:31], exec, s[30:31]
; %bb.752:                              ;   in Loop: Header=BB6_348 Depth=4
	v_add_u32_e32 v6, 15, v17
	v_cmp_lt_u64_e32 vcc, s[56:57], v[2:3]
	v_cndmask_b32_e32 v6, v7, v6, vcc
	v_cndmask_b32_e64 v7, 0, 1, vcc
	v_lshrrev_b64 v[2:3], v7, v[2:3]
; %bb.753:                              ;   in Loop: Header=BB6_348 Depth=4
	s_andn2_saveexec_b64 vcc, s[30:31]
; %bb.754:                              ;   in Loop: Header=BB6_348 Depth=4
	v_bfe_u32 v6, v2, 23, 1
; %bb.755:                              ;   in Loop: Header=BB6_348 Depth=4
	s_or_b64 exec, exec, vcc
	v_lshrrev_b64 v[2:3], 21, v[2:3]
	v_cmp_gt_i32_e32 vcc, 32, v6
	v_cndmask_b32_e32 v3, 0, v3, vcc
	v_cndmask_b32_e32 v2, 3, v2, vcc
	v_cmp_ne_u32_e32 vcc, 0, v6
	v_cmp_ne_u64_e64 s[30:31], 0, v[2:3]
	s_or_b64 vcc, vcc, s[30:31]
                                        ; implicit-def: $vgpr3
	s_and_saveexec_b64 s[30:31], vcc
	s_xor_b64 vcc, exec, s[30:31]
; %bb.756:                              ;   in Loop: Header=BB6_348 Depth=4
	v_min_i32_e32 v3, 31, v6
	v_lshl_or_b32 v1, v3, 2, v1
	v_and_or_b32 v3, v2, 3, v1
                                        ; implicit-def: $vgpr1
; %bb.757:                              ;   in Loop: Header=BB6_348 Depth=4
	s_andn2_saveexec_b64 vcc, vcc
; %bb.758:                              ;   in Loop: Header=BB6_348 Depth=4
	v_mov_b32_e32 v3, v1
; %bb.759:                              ;   in Loop: Header=BB6_348 Depth=4
	s_or_b64 exec, exec, vcc
.LBB6_760:                              ;   in Loop: Header=BB6_348 Depth=4
	s_or_b64 exec, exec, s[74:75]
.LBB6_761:                              ;   in Loop: Header=BB6_348 Depth=4
	s_andn2_saveexec_b64 vcc, s[72:73]
	s_or_b64 exec, exec, vcc
                                        ; implicit-def: $vgpr2
.LBB6_762:                              ;   in Loop: Header=BB6_348 Depth=4
	s_andn2_saveexec_b64 s[30:31], s[70:71]
; %bb.763:                              ;   in Loop: Header=BB6_348 Depth=4
	v_or_b32_sdwa v1, v2, s39 dst_sel:DWORD dst_unused:UNUSED_PAD src0_sel:BYTE_3 src1_sel:DWORD
	v_cmp_eq_u64_e32 vcc, 0, v[50:51]
	v_cndmask_b32_e32 v3, v1, v3, vcc
; %bb.764:                              ;   in Loop: Header=BB6_348 Depth=4
	s_or_b64 exec, exec, s[30:31]
	v_and_b32_e32 v2, 0xff, v0
	s_and_b64 vcc, exec, s[28:29]
	v_cmp_ne_u16_e64 s[30:31], 0, v0
	s_cbranch_vccnz .LBB6_782
; %bb.765:                              ;   in Loop: Header=BB6_348 Depth=4
	v_mov_b32_e32 v6, 0
	v_mov_b32_e32 v1, 0
	s_and_saveexec_b64 s[70:71], s[30:31]
	s_cbranch_execz .LBB6_773
; %bb.766:                              ;   in Loop: Header=BB6_348 Depth=4
	v_cmp_ne_u16_e32 vcc, s94, v0
	v_bfrev_b32_e32 v1, 1
	s_and_saveexec_b64 s[72:73], vcc
	s_cbranch_execz .LBB6_772
; %bb.767:                              ;   in Loop: Header=BB6_348 Depth=4
	v_and_b32_e32 v1, 0x7c, v2
	v_and_b32_e32 v7, 3, v2
	v_cmp_ne_u32_e32 vcc, s95, v1
                                        ; implicit-def: $vgpr1
	s_and_saveexec_b64 s[50:51], vcc
	s_xor_b64 s[74:75], exec, s[50:51]
	s_cbranch_execz .LBB6_769
; %bb.768:                              ;   in Loop: Header=BB6_348 Depth=4
	v_ffbh_u32_e32 v18, v7
	v_min_u32_e32 v21, 32, v18
	v_mov_b32_e32 v1, v51
	v_bfe_u32 v17, v2, 2, 5
	v_subrev_u32_e32 v18, 29, v21
	v_lshlrev_b64 v[18:19], v18, v[0:1]
	v_sub_u32_e32 v1, 30, v21
	v_cmp_eq_u32_e32 vcc, 0, v17
	v_cndmask_b32_e32 v1, v17, v1, vcc
	v_bfrev_b32_e32 v17, 28
	v_bfe_i32 v20, v0, 0, 16
	v_and_b32_e32 v18, 3, v18
	v_lshl_add_u32 v1, v1, 23, v17
	v_cndmask_b32_e32 v7, v7, v18, vcc
	v_and_or_b32 v1, v20, s96, v1
	v_lshl_or_b32 v1, v7, 21, v1
                                        ; implicit-def: $vgpr7
.LBB6_769:                              ;   in Loop: Header=BB6_348 Depth=4
	s_andn2_saveexec_b64 s[74:75], s[74:75]
; %bb.770:                              ;   in Loop: Header=BB6_348 Depth=4
	v_cmp_lt_i16_e32 vcc, -1, v0
	v_mov_b32_e32 v1, 0xc7600000
	v_mov_b32_e32 v17, 0x47600000
	v_cndmask_b32_e32 v1, v1, v17, vcc
	v_cmp_eq_u32_e32 vcc, 0, v7
	v_mov_b32_e32 v7, 0x7f800001
	v_cndmask_b32_e32 v1, v7, v1, vcc
; %bb.771:                              ;   in Loop: Header=BB6_348 Depth=4
	s_or_b64 exec, exec, s[74:75]
.LBB6_772:                              ;   in Loop: Header=BB6_348 Depth=4
	s_or_b64 exec, exec, s[72:73]
.LBB6_773:                              ;   in Loop: Header=BB6_348 Depth=4
	s_or_b64 exec, exec, s[70:71]
	v_cmp_ne_u16_e32 vcc, 0, v38
	s_and_saveexec_b64 s[70:71], vcc
	s_cbranch_execz .LBB6_781
; %bb.774:                              ;   in Loop: Header=BB6_348 Depth=4
	v_cmp_ne_u16_e32 vcc, s94, v38
	v_bfrev_b32_e32 v6, 1
	s_and_saveexec_b64 s[72:73], vcc
	s_cbranch_execz .LBB6_780
; %bb.775:                              ;   in Loop: Header=BB6_348 Depth=4
	v_and_b32_e32 v6, 0x7c, v38
	v_and_b32_e32 v7, 3, v38
	v_cmp_ne_u32_e32 vcc, s95, v6
                                        ; implicit-def: $vgpr6
	s_and_saveexec_b64 s[50:51], vcc
	s_xor_b64 s[74:75], exec, s[50:51]
	s_cbranch_execz .LBB6_777
; %bb.776:                              ;   in Loop: Header=BB6_348 Depth=4
	v_ffbh_u32_e32 v18, v7
	v_min_u32_e32 v20, 32, v18
	v_and_b32_e32 v6, 0xff, v38
	v_mov_b32_e32 v39, v51
	v_subrev_u32_e32 v18, 29, v20
	v_bfe_u32 v6, v6, 2, 5
	v_lshlrev_b64 v[18:19], v18, v[38:39]
	v_sub_u32_e32 v19, 30, v20
	v_and_b32_e32 v18, 3, v18
	v_cmp_eq_u32_e32 vcc, 0, v6
	v_cndmask_b32_e32 v6, v6, v19, vcc
	v_cndmask_b32_e32 v7, v7, v18, vcc
	v_bfrev_b32_e32 v18, 28
	v_bfe_i32 v17, v38, 0, 16
	v_lshl_add_u32 v6, v6, 23, v18
	v_and_or_b32 v6, v17, s96, v6
	v_lshl_or_b32 v6, v7, 21, v6
                                        ; implicit-def: $vgpr7
.LBB6_777:                              ;   in Loop: Header=BB6_348 Depth=4
	s_andn2_saveexec_b64 s[74:75], s[74:75]
; %bb.778:                              ;   in Loop: Header=BB6_348 Depth=4
	v_cmp_lt_i16_e32 vcc, -1, v38
	v_mov_b32_e32 v6, 0xc7600000
	v_mov_b32_e32 v17, 0x47600000
	v_cndmask_b32_e32 v6, v6, v17, vcc
	v_cmp_eq_u32_e32 vcc, 0, v7
	v_mov_b32_e32 v7, 0x7f800001
	v_cndmask_b32_e32 v6, v7, v6, vcc
; %bb.779:                              ;   in Loop: Header=BB6_348 Depth=4
	s_or_b64 exec, exec, s[74:75]
.LBB6_780:                              ;   in Loop: Header=BB6_348 Depth=4
	s_or_b64 exec, exec, s[72:73]
.LBB6_781:                              ;   in Loop: Header=BB6_348 Depth=4
	s_or_b64 exec, exec, s[70:71]
	v_max_f32_e32 v6, v6, v6
	v_max_f32_e32 v1, v1, v1
	;; [unrolled: 1-line block ×3, first 2 shown]
	s_branch .LBB6_800
.LBB6_782:                              ;   in Loop: Header=BB6_348 Depth=4
                                        ; implicit-def: $vgpr1
	s_cbranch_execz .LBB6_800
; %bb.783:                              ;   in Loop: Header=BB6_348 Depth=4
	v_mov_b32_e32 v6, 0
	v_mov_b32_e32 v1, 0
	s_and_saveexec_b64 s[70:71], s[30:31]
	s_cbranch_execz .LBB6_791
; %bb.784:                              ;   in Loop: Header=BB6_348 Depth=4
	v_cmp_ne_u16_e32 vcc, s94, v0
	v_bfrev_b32_e32 v1, 1
	s_and_saveexec_b64 s[30:31], vcc
	s_cbranch_execz .LBB6_790
; %bb.785:                              ;   in Loop: Header=BB6_348 Depth=4
	v_and_b32_e32 v1, 0x7c, v2
	v_and_b32_e32 v7, 3, v2
	v_cmp_ne_u32_e32 vcc, s95, v1
                                        ; implicit-def: $vgpr1
	s_and_saveexec_b64 s[50:51], vcc
	s_xor_b64 s[72:73], exec, s[50:51]
	s_cbranch_execz .LBB6_787
; %bb.786:                              ;   in Loop: Header=BB6_348 Depth=4
	v_ffbh_u32_e32 v18, v7
	v_min_u32_e32 v18, 32, v18
	v_mov_b32_e32 v1, v51
	v_subrev_u32_e32 v19, 29, v18
	v_bfe_u32 v2, v2, 2, 5
	v_bfe_i32 v17, v0, 0, 16
	v_lshlrev_b64 v[0:1], v19, v[0:1]
	v_sub_u32_e32 v1, 30, v18
	v_cmp_eq_u32_e32 vcc, 0, v2
	v_cndmask_b32_e32 v1, v2, v1, vcc
	v_bfrev_b32_e32 v2, 28
	v_and_b32_e32 v0, 3, v0
	v_lshl_add_u32 v1, v1, 23, v2
	v_cndmask_b32_e32 v0, v7, v0, vcc
	v_and_or_b32 v1, v17, s96, v1
	v_lshl_or_b32 v1, v0, 21, v1
                                        ; implicit-def: $vgpr7
                                        ; implicit-def: $vgpr0
.LBB6_787:                              ;   in Loop: Header=BB6_348 Depth=4
	s_andn2_saveexec_b64 s[72:73], s[72:73]
; %bb.788:                              ;   in Loop: Header=BB6_348 Depth=4
	v_cmp_lt_i16_e32 vcc, -1, v0
	v_mov_b32_e32 v0, 0xc7600000
	v_mov_b32_e32 v1, 0x47600000
	v_cndmask_b32_e32 v0, v0, v1, vcc
	v_cmp_eq_u32_e32 vcc, 0, v7
	v_mov_b32_e32 v1, 0x7f800001
	v_cndmask_b32_e32 v1, v1, v0, vcc
; %bb.789:                              ;   in Loop: Header=BB6_348 Depth=4
	s_or_b64 exec, exec, s[72:73]
.LBB6_790:                              ;   in Loop: Header=BB6_348 Depth=4
	s_or_b64 exec, exec, s[30:31]
.LBB6_791:                              ;   in Loop: Header=BB6_348 Depth=4
	s_or_b64 exec, exec, s[70:71]
	v_cmp_ne_u16_e32 vcc, 0, v38
	s_and_saveexec_b64 s[30:31], vcc
	s_cbranch_execz .LBB6_799
; %bb.792:                              ;   in Loop: Header=BB6_348 Depth=4
	v_cmp_ne_u16_e32 vcc, s94, v38
	v_bfrev_b32_e32 v6, 1
	s_and_saveexec_b64 s[70:71], vcc
	s_cbranch_execz .LBB6_798
; %bb.793:                              ;   in Loop: Header=BB6_348 Depth=4
	v_and_b32_e32 v2, 0x7c, v38
	v_and_b32_e32 v0, 3, v38
	v_cmp_ne_u32_e32 vcc, s95, v2
                                        ; implicit-def: $vgpr6
	s_and_saveexec_b64 s[50:51], vcc
	s_xor_b64 s[72:73], exec, s[50:51]
	s_cbranch_execz .LBB6_795
; %bb.794:                              ;   in Loop: Header=BB6_348 Depth=4
	v_ffbh_u32_e32 v6, v0
	v_min_u32_e32 v18, 32, v6
	v_and_b32_e32 v2, 0xff, v38
	v_mov_b32_e32 v39, v51
	v_subrev_u32_e32 v6, 29, v18
	v_bfe_u32 v2, v2, 2, 5
	v_lshlrev_b64 v[6:7], v6, v[38:39]
	v_sub_u32_e32 v7, 30, v18
	v_and_b32_e32 v6, 3, v6
	v_cmp_eq_u32_e32 vcc, 0, v2
	v_cndmask_b32_e32 v2, v2, v7, vcc
	v_cndmask_b32_e32 v0, v0, v6, vcc
	v_bfrev_b32_e32 v6, 28
	v_bfe_i32 v17, v38, 0, 16
	v_lshl_add_u32 v2, v2, 23, v6
	v_and_or_b32 v2, v17, s96, v2
	v_lshl_or_b32 v6, v0, 21, v2
                                        ; implicit-def: $vgpr0
                                        ; implicit-def: $vgpr38
.LBB6_795:                              ;   in Loop: Header=BB6_348 Depth=4
	s_andn2_saveexec_b64 s[72:73], s[72:73]
; %bb.796:                              ;   in Loop: Header=BB6_348 Depth=4
	v_cmp_lt_i16_e32 vcc, -1, v38
	v_mov_b32_e32 v2, 0xc7600000
	v_mov_b32_e32 v6, 0x47600000
	v_cndmask_b32_e32 v2, v2, v6, vcc
	v_cmp_eq_u32_e32 vcc, 0, v0
	v_mov_b32_e32 v0, 0x7f800001
	v_cndmask_b32_e32 v6, v0, v2, vcc
; %bb.797:                              ;   in Loop: Header=BB6_348 Depth=4
	s_or_b64 exec, exec, s[72:73]
.LBB6_798:                              ;   in Loop: Header=BB6_348 Depth=4
	s_or_b64 exec, exec, s[70:71]
.LBB6_799:                              ;   in Loop: Header=BB6_348 Depth=4
	s_or_b64 exec, exec, s[30:31]
	v_max_f32_e32 v0, v6, v6
	v_max_f32_e32 v1, v1, v1
	v_min_f32_e32 v1, v1, v0
.LBB6_800:                              ;   in Loop: Header=BB6_348 Depth=4
	v_and_b32_sdwa v6, v1, s97 dst_sel:DWORD dst_unused:UNUSED_PAD src0_sel:BYTE_3 src1_sel:DWORD
	v_and_b32_e32 v18, 0x7f800000, v1
	v_mov_b32_e32 v19, v51
	v_and_b32_e32 v50, 0x7fffff, v1
	v_or_b32_e32 v2, 0x7b, v6
	v_cmp_ne_u64_e32 vcc, s[52:53], v[18:19]
	s_and_saveexec_b64 s[30:31], vcc
	s_xor_b64 s[70:71], exec, s[30:31]
	s_cbranch_execz .LBB6_814
; %bb.801:                              ;   in Loop: Header=BB6_348 Depth=4
	v_and_b32_e32 v18, 0x7fffffff, v1
	v_mov_b32_e32 v19, v51
	v_cmp_gt_u64_e32 vcc, s[54:55], v[18:19]
	s_and_saveexec_b64 s[30:31], vcc
	s_xor_b64 s[72:73], exec, s[30:31]
	s_cbranch_execz .LBB6_813
; %bb.802:                              ;   in Loop: Header=BB6_348 Depth=4
	v_cmp_ne_u32_e32 vcc, 0, v1
	v_mov_b32_e32 v2, 0
	s_and_saveexec_b64 s[74:75], vcc
	s_cbranch_execz .LBB6_812
; %bb.803:                              ;   in Loop: Header=BB6_348 Depth=4
	v_bfe_u32 v0, v1, 23, 8
	v_cmp_eq_u32_e32 vcc, 0, v0
	v_add_u32_e32 v1, 0xffffff81, v0
	v_cmp_gt_u32_e64 s[30:31], s38, v0
	v_sub_u32_e32 v0, 0x71, v0
	v_mov_b32_e32 v7, 0xffffff82
	v_cndmask_b32_e64 v0, 0, v0, s[30:31]
	v_cndmask_b32_e32 v7, v1, v7, vcc
	v_mov_b32_e32 v1, 0x70
	v_cndmask_b32_e32 v17, v0, v1, vcc
	v_add_u32_e32 v0, 21, v17
	v_or_b32_e32 v2, 0x800000, v50
	v_lshlrev_b64 v[0:1], v0, -1
	v_cndmask_b32_e32 v50, v2, v50, vcc
	v_not_b32_e32 v1, v1
	v_not_b32_e32 v0, v0
	v_add_u32_e32 v2, 20, v17
	v_and_b32_e32 v1, 0, v1
	v_and_b32_e32 v0, v50, v0
	v_lshlrev_b64 v[18:19], v2, 1
	v_cmp_eq_u64_e32 vcc, v[0:1], v[18:19]
	v_lshrrev_b64 v[0:1], v17, v[50:51]
	v_lshrrev_b32_e32 v2, 23, v0
	v_add3_u32 v17, v17, v7, v2
	v_bfe_u32 v7, v0, 21, 1
	v_add_u32_e32 v7, -1, v7
	v_cndmask_b32_e32 v7, 0, v7, vcc
	v_add_u32_e32 v7, v7, v0
	v_and_b32_e32 v7, 0x1fffff, v7
	v_add_co_u32_e32 v0, vcc, v7, v0
	v_add_u32_e32 v2, 14, v17
	v_addc_co_u32_e32 v1, vcc, 0, v1, vcc
	v_cmp_ne_u32_e32 vcc, 0, v2
                                        ; implicit-def: $vgpr7
	s_and_saveexec_b64 s[30:31], vcc
	s_xor_b64 s[30:31], exec, s[30:31]
; %bb.804:                              ;   in Loop: Header=BB6_348 Depth=4
	v_add_u32_e32 v7, 15, v17
	v_cmp_lt_u64_e32 vcc, s[56:57], v[0:1]
	v_cndmask_b32_e32 v7, v2, v7, vcc
	v_cndmask_b32_e64 v2, 0, 1, vcc
	v_lshrrev_b64 v[0:1], v2, v[0:1]
; %bb.805:                              ;   in Loop: Header=BB6_348 Depth=4
	s_andn2_saveexec_b64 vcc, s[30:31]
; %bb.806:                              ;   in Loop: Header=BB6_348 Depth=4
	v_bfe_u32 v7, v0, 23, 1
; %bb.807:                              ;   in Loop: Header=BB6_348 Depth=4
	s_or_b64 exec, exec, vcc
	v_lshrrev_b64 v[0:1], 21, v[0:1]
	v_cmp_gt_i32_e32 vcc, 32, v7
	v_cndmask_b32_e32 v1, 0, v1, vcc
	v_cndmask_b32_e32 v0, 3, v0, vcc
	v_cmp_ne_u32_e32 vcc, 0, v7
	v_cmp_ne_u64_e64 s[30:31], 0, v[0:1]
	s_or_b64 vcc, vcc, s[30:31]
                                        ; implicit-def: $vgpr2
	s_and_saveexec_b64 s[30:31], vcc
	s_xor_b64 vcc, exec, s[30:31]
; %bb.808:                              ;   in Loop: Header=BB6_348 Depth=4
	v_min_i32_e32 v1, 31, v7
	v_lshl_or_b32 v1, v1, 2, v6
	v_and_or_b32 v2, v0, 3, v1
                                        ; implicit-def: $vgpr6
; %bb.809:                              ;   in Loop: Header=BB6_348 Depth=4
	s_andn2_saveexec_b64 vcc, vcc
; %bb.810:                              ;   in Loop: Header=BB6_348 Depth=4
	v_mov_b32_e32 v2, v6
; %bb.811:                              ;   in Loop: Header=BB6_348 Depth=4
	s_or_b64 exec, exec, vcc
.LBB6_812:                              ;   in Loop: Header=BB6_348 Depth=4
	s_or_b64 exec, exec, s[74:75]
.LBB6_813:                              ;   in Loop: Header=BB6_348 Depth=4
	s_andn2_saveexec_b64 vcc, s[72:73]
	s_or_b64 exec, exec, vcc
                                        ; implicit-def: $vgpr1
.LBB6_814:                              ;   in Loop: Header=BB6_348 Depth=4
	s_andn2_saveexec_b64 s[30:31], s[70:71]
; %bb.815:                              ;   in Loop: Header=BB6_348 Depth=4
	v_or_b32_sdwa v0, v1, s39 dst_sel:DWORD dst_unused:UNUSED_PAD src0_sel:BYTE_3 src1_sel:DWORD
	v_cmp_eq_u64_e32 vcc, 0, v[50:51]
	v_cndmask_b32_e32 v2, v0, v2, vcc
; %bb.816:                              ;   in Loop: Header=BB6_348 Depth=4
	s_or_b64 exec, exec, s[30:31]
	v_and_b32_e32 v0, 0xff, v46
	s_and_b64 vcc, exec, s[28:29]
	v_cmp_ne_u16_e64 s[30:31], 0, v46
	s_cbranch_vccnz .LBB6_834
; %bb.817:                              ;   in Loop: Header=BB6_348 Depth=4
	v_mov_b32_e32 v6, 0
	v_mov_b32_e32 v1, 0
	s_and_saveexec_b64 s[70:71], s[30:31]
	s_cbranch_execz .LBB6_825
; %bb.818:                              ;   in Loop: Header=BB6_348 Depth=4
	v_cmp_ne_u16_e32 vcc, s94, v46
	v_bfrev_b32_e32 v1, 1
	s_and_saveexec_b64 s[72:73], vcc
	s_cbranch_execz .LBB6_824
; %bb.819:                              ;   in Loop: Header=BB6_348 Depth=4
	v_and_b32_e32 v1, 0x7c, v0
	v_and_b32_e32 v7, 3, v0
	v_cmp_ne_u32_e32 vcc, s95, v1
                                        ; implicit-def: $vgpr1
	s_and_saveexec_b64 s[50:51], vcc
	s_xor_b64 s[74:75], exec, s[50:51]
	s_cbranch_execz .LBB6_821
; %bb.820:                              ;   in Loop: Header=BB6_348 Depth=4
	v_ffbh_u32_e32 v18, v7
	v_min_u32_e32 v20, 32, v18
	v_mov_b32_e32 v47, v51
	v_subrev_u32_e32 v18, 29, v20
	v_bfe_u32 v1, v0, 2, 5
	v_lshlrev_b64 v[18:19], v18, v[46:47]
	v_sub_u32_e32 v19, 30, v20
	v_and_b32_e32 v18, 3, v18
	v_cmp_eq_u32_e32 vcc, 0, v1
	v_cndmask_b32_e32 v1, v1, v19, vcc
	v_cndmask_b32_e32 v7, v7, v18, vcc
	v_bfrev_b32_e32 v18, 28
	v_bfe_i32 v17, v46, 0, 16
	v_lshl_add_u32 v1, v1, 23, v18
	v_and_or_b32 v1, v17, s96, v1
	v_lshl_or_b32 v1, v7, 21, v1
                                        ; implicit-def: $vgpr7
.LBB6_821:                              ;   in Loop: Header=BB6_348 Depth=4
	s_andn2_saveexec_b64 s[74:75], s[74:75]
; %bb.822:                              ;   in Loop: Header=BB6_348 Depth=4
	v_cmp_lt_i16_e32 vcc, -1, v46
	v_mov_b32_e32 v1, 0xc7600000
	v_mov_b32_e32 v17, 0x47600000
	v_cndmask_b32_e32 v1, v1, v17, vcc
	v_cmp_eq_u32_e32 vcc, 0, v7
	v_mov_b32_e32 v7, 0x7f800001
	v_cndmask_b32_e32 v1, v7, v1, vcc
; %bb.823:                              ;   in Loop: Header=BB6_348 Depth=4
	s_or_b64 exec, exec, s[74:75]
.LBB6_824:                              ;   in Loop: Header=BB6_348 Depth=4
	s_or_b64 exec, exec, s[72:73]
.LBB6_825:                              ;   in Loop: Header=BB6_348 Depth=4
	s_or_b64 exec, exec, s[70:71]
	v_cmp_ne_u16_e32 vcc, 0, v42
	s_and_saveexec_b64 s[70:71], vcc
	s_cbranch_execz .LBB6_833
; %bb.826:                              ;   in Loop: Header=BB6_348 Depth=4
	v_cmp_ne_u16_e32 vcc, s94, v42
	v_bfrev_b32_e32 v6, 1
	s_and_saveexec_b64 s[72:73], vcc
	s_cbranch_execz .LBB6_832
; %bb.827:                              ;   in Loop: Header=BB6_348 Depth=4
	v_and_b32_e32 v6, 0x7c, v42
	v_and_b32_e32 v7, 3, v42
	v_cmp_ne_u32_e32 vcc, s95, v6
                                        ; implicit-def: $vgpr6
	s_and_saveexec_b64 s[50:51], vcc
	s_xor_b64 s[74:75], exec, s[50:51]
	s_cbranch_execz .LBB6_829
; %bb.828:                              ;   in Loop: Header=BB6_348 Depth=4
	v_ffbh_u32_e32 v18, v7
	v_min_u32_e32 v20, 32, v18
	v_and_b32_e32 v6, 0xff, v42
	v_mov_b32_e32 v43, v51
	v_subrev_u32_e32 v18, 29, v20
	v_bfe_u32 v6, v6, 2, 5
	v_lshlrev_b64 v[18:19], v18, v[42:43]
	v_sub_u32_e32 v19, 30, v20
	v_and_b32_e32 v18, 3, v18
	v_cmp_eq_u32_e32 vcc, 0, v6
	v_cndmask_b32_e32 v6, v6, v19, vcc
	v_cndmask_b32_e32 v7, v7, v18, vcc
	v_bfrev_b32_e32 v18, 28
	v_bfe_i32 v17, v42, 0, 16
	v_lshl_add_u32 v6, v6, 23, v18
	v_and_or_b32 v6, v17, s96, v6
	v_lshl_or_b32 v6, v7, 21, v6
                                        ; implicit-def: $vgpr7
.LBB6_829:                              ;   in Loop: Header=BB6_348 Depth=4
	s_andn2_saveexec_b64 s[74:75], s[74:75]
; %bb.830:                              ;   in Loop: Header=BB6_348 Depth=4
	v_cmp_lt_i16_e32 vcc, -1, v42
	v_mov_b32_e32 v6, 0xc7600000
	v_mov_b32_e32 v17, 0x47600000
	v_cndmask_b32_e32 v6, v6, v17, vcc
	v_cmp_eq_u32_e32 vcc, 0, v7
	v_mov_b32_e32 v7, 0x7f800001
	v_cndmask_b32_e32 v6, v7, v6, vcc
; %bb.831:                              ;   in Loop: Header=BB6_348 Depth=4
	s_or_b64 exec, exec, s[74:75]
.LBB6_832:                              ;   in Loop: Header=BB6_348 Depth=4
	s_or_b64 exec, exec, s[72:73]
.LBB6_833:                              ;   in Loop: Header=BB6_348 Depth=4
	s_or_b64 exec, exec, s[70:71]
	v_max_f32_e32 v6, v6, v6
	v_max_f32_e32 v1, v1, v1
	;; [unrolled: 1-line block ×3, first 2 shown]
	s_branch .LBB6_852
.LBB6_834:                              ;   in Loop: Header=BB6_348 Depth=4
                                        ; implicit-def: $vgpr1
	s_cbranch_execz .LBB6_852
; %bb.835:                              ;   in Loop: Header=BB6_348 Depth=4
	v_mov_b32_e32 v6, 0
	v_mov_b32_e32 v1, 0
	s_and_saveexec_b64 s[70:71], s[30:31]
	s_cbranch_execz .LBB6_843
; %bb.836:                              ;   in Loop: Header=BB6_348 Depth=4
	v_cmp_ne_u16_e32 vcc, s94, v46
	v_bfrev_b32_e32 v1, 1
	s_and_saveexec_b64 s[30:31], vcc
	s_cbranch_execz .LBB6_842
; %bb.837:                              ;   in Loop: Header=BB6_348 Depth=4
	v_and_b32_e32 v1, 0x7c, v0
	v_and_b32_e32 v7, 3, v0
	v_cmp_ne_u32_e32 vcc, s95, v1
                                        ; implicit-def: $vgpr1
	s_and_saveexec_b64 s[50:51], vcc
	s_xor_b64 s[72:73], exec, s[50:51]
	s_cbranch_execz .LBB6_839
; %bb.838:                              ;   in Loop: Header=BB6_348 Depth=4
	v_bfe_u32 v17, v0, 2, 5
	v_ffbh_u32_e32 v0, v7
	v_min_u32_e32 v19, 32, v0
	v_mov_b32_e32 v47, v51
	v_subrev_u32_e32 v0, 29, v19
	v_lshlrev_b64 v[0:1], v0, v[46:47]
	v_sub_u32_e32 v1, 30, v19
	v_and_b32_e32 v0, 3, v0
	v_cmp_eq_u32_e32 vcc, 0, v17
	v_cndmask_b32_e32 v1, v17, v1, vcc
	v_cndmask_b32_e32 v0, v7, v0, vcc
	v_bfrev_b32_e32 v7, 28
	v_bfe_i32 v18, v46, 0, 16
	v_lshl_add_u32 v1, v1, 23, v7
	v_and_or_b32 v1, v18, s96, v1
	v_lshl_or_b32 v1, v0, 21, v1
                                        ; implicit-def: $vgpr7
                                        ; implicit-def: $vgpr46
.LBB6_839:                              ;   in Loop: Header=BB6_348 Depth=4
	s_andn2_saveexec_b64 s[72:73], s[72:73]
; %bb.840:                              ;   in Loop: Header=BB6_348 Depth=4
	v_cmp_lt_i16_e32 vcc, -1, v46
	v_mov_b32_e32 v0, 0xc7600000
	v_mov_b32_e32 v1, 0x47600000
	v_cndmask_b32_e32 v0, v0, v1, vcc
	v_cmp_eq_u32_e32 vcc, 0, v7
	v_mov_b32_e32 v1, 0x7f800001
	v_cndmask_b32_e32 v1, v1, v0, vcc
; %bb.841:                              ;   in Loop: Header=BB6_348 Depth=4
	s_or_b64 exec, exec, s[72:73]
.LBB6_842:                              ;   in Loop: Header=BB6_348 Depth=4
	s_or_b64 exec, exec, s[30:31]
.LBB6_843:                              ;   in Loop: Header=BB6_348 Depth=4
	s_or_b64 exec, exec, s[70:71]
	v_cmp_ne_u16_e32 vcc, 0, v42
	s_and_saveexec_b64 s[30:31], vcc
	s_cbranch_execz .LBB6_851
; %bb.844:                              ;   in Loop: Header=BB6_348 Depth=4
	v_cmp_ne_u16_e32 vcc, s94, v42
	v_bfrev_b32_e32 v6, 1
	s_and_saveexec_b64 s[70:71], vcc
	s_cbranch_execz .LBB6_850
; %bb.845:                              ;   in Loop: Header=BB6_348 Depth=4
	v_and_b32_e32 v6, 0x7c, v42
	v_and_b32_e32 v0, 3, v42
	v_cmp_ne_u32_e32 vcc, s95, v6
                                        ; implicit-def: $vgpr6
	s_and_saveexec_b64 s[50:51], vcc
	s_xor_b64 s[72:73], exec, s[50:51]
	s_cbranch_execz .LBB6_847
; %bb.846:                              ;   in Loop: Header=BB6_348 Depth=4
	v_and_b32_e32 v6, 0xff, v42
	v_bfe_u32 v17, v6, 2, 5
	v_ffbh_u32_e32 v6, v0
	v_min_u32_e32 v19, 32, v6
	v_mov_b32_e32 v43, v51
	v_subrev_u32_e32 v6, 29, v19
	v_lshlrev_b64 v[6:7], v6, v[42:43]
	v_sub_u32_e32 v7, 30, v19
	v_and_b32_e32 v6, 3, v6
	v_cmp_eq_u32_e32 vcc, 0, v17
	v_cndmask_b32_e32 v7, v17, v7, vcc
	v_cndmask_b32_e32 v0, v0, v6, vcc
	v_bfrev_b32_e32 v6, 28
	v_bfe_i32 v18, v42, 0, 16
	v_lshl_add_u32 v6, v7, 23, v6
	v_and_or_b32 v6, v18, s96, v6
	v_lshl_or_b32 v6, v0, 21, v6
                                        ; implicit-def: $vgpr0
                                        ; implicit-def: $vgpr42
.LBB6_847:                              ;   in Loop: Header=BB6_348 Depth=4
	s_andn2_saveexec_b64 s[72:73], s[72:73]
; %bb.848:                              ;   in Loop: Header=BB6_348 Depth=4
	v_cmp_lt_i16_e32 vcc, -1, v42
	v_mov_b32_e32 v6, 0xc7600000
	v_mov_b32_e32 v7, 0x47600000
	v_cndmask_b32_e32 v6, v6, v7, vcc
	v_cmp_eq_u32_e32 vcc, 0, v0
	v_mov_b32_e32 v0, 0x7f800001
	v_cndmask_b32_e32 v6, v0, v6, vcc
; %bb.849:                              ;   in Loop: Header=BB6_348 Depth=4
	s_or_b64 exec, exec, s[72:73]
.LBB6_850:                              ;   in Loop: Header=BB6_348 Depth=4
	s_or_b64 exec, exec, s[70:71]
.LBB6_851:                              ;   in Loop: Header=BB6_348 Depth=4
	s_or_b64 exec, exec, s[30:31]
	v_max_f32_e32 v0, v6, v6
	v_max_f32_e32 v1, v1, v1
	v_min_f32_e32 v1, v1, v0
.LBB6_852:                              ;   in Loop: Header=BB6_348 Depth=4
	v_and_b32_sdwa v7, v1, s97 dst_sel:DWORD dst_unused:UNUSED_PAD src0_sel:BYTE_3 src1_sel:DWORD
	v_and_b32_e32 v18, 0x7f800000, v1
	v_mov_b32_e32 v19, v51
	v_and_b32_e32 v50, 0x7fffff, v1
	v_or_b32_e32 v6, 0x7b, v7
	v_cmp_ne_u64_e32 vcc, s[52:53], v[18:19]
	s_and_saveexec_b64 s[30:31], vcc
	s_xor_b64 s[70:71], exec, s[30:31]
	s_cbranch_execz .LBB6_866
; %bb.853:                              ;   in Loop: Header=BB6_348 Depth=4
	v_and_b32_e32 v18, 0x7fffffff, v1
	v_mov_b32_e32 v19, v51
	v_cmp_gt_u64_e32 vcc, s[54:55], v[18:19]
	s_and_saveexec_b64 s[30:31], vcc
	s_xor_b64 s[72:73], exec, s[30:31]
	s_cbranch_execz .LBB6_865
; %bb.854:                              ;   in Loop: Header=BB6_348 Depth=4
	v_cmp_ne_u32_e32 vcc, 0, v1
	v_mov_b32_e32 v6, 0
	s_and_saveexec_b64 s[74:75], vcc
	s_cbranch_execz .LBB6_864
; %bb.855:                              ;   in Loop: Header=BB6_348 Depth=4
	v_bfe_u32 v0, v1, 23, 8
	v_cmp_eq_u32_e32 vcc, 0, v0
	v_add_u32_e32 v1, 0xffffff81, v0
	v_cmp_gt_u32_e64 s[30:31], s38, v0
	v_sub_u32_e32 v0, 0x71, v0
	v_mov_b32_e32 v17, 0xffffff82
	v_cndmask_b32_e64 v0, 0, v0, s[30:31]
	v_cndmask_b32_e32 v17, v1, v17, vcc
	v_mov_b32_e32 v1, 0x70
	v_cndmask_b32_e32 v20, v0, v1, vcc
	v_add_u32_e32 v0, 21, v20
	v_or_b32_e32 v6, 0x800000, v50
	v_lshlrev_b64 v[0:1], v0, -1
	v_cndmask_b32_e32 v50, v6, v50, vcc
	v_not_b32_e32 v1, v1
	v_not_b32_e32 v0, v0
	v_add_u32_e32 v6, 20, v20
	v_and_b32_e32 v1, 0, v1
	v_and_b32_e32 v0, v50, v0
	v_lshlrev_b64 v[18:19], v6, 1
	v_cmp_eq_u64_e32 vcc, v[0:1], v[18:19]
	v_lshrrev_b64 v[0:1], v20, v[50:51]
	v_lshrrev_b32_e32 v6, 23, v0
	v_add3_u32 v18, v20, v17, v6
	v_bfe_u32 v17, v0, 21, 1
	v_add_u32_e32 v17, -1, v17
	v_cndmask_b32_e32 v17, 0, v17, vcc
	v_add_u32_e32 v17, v17, v0
	v_and_b32_e32 v17, 0x1fffff, v17
	v_add_co_u32_e32 v0, vcc, v17, v0
	v_add_u32_e32 v6, 14, v18
	v_addc_co_u32_e32 v1, vcc, 0, v1, vcc
	v_cmp_ne_u32_e32 vcc, 0, v6
                                        ; implicit-def: $vgpr17
	s_and_saveexec_b64 s[30:31], vcc
	s_xor_b64 s[30:31], exec, s[30:31]
; %bb.856:                              ;   in Loop: Header=BB6_348 Depth=4
	v_add_u32_e32 v17, 15, v18
	v_cmp_lt_u64_e32 vcc, s[56:57], v[0:1]
	v_cndmask_b32_e32 v17, v6, v17, vcc
	v_cndmask_b32_e64 v6, 0, 1, vcc
	v_lshrrev_b64 v[0:1], v6, v[0:1]
; %bb.857:                              ;   in Loop: Header=BB6_348 Depth=4
	s_andn2_saveexec_b64 vcc, s[30:31]
; %bb.858:                              ;   in Loop: Header=BB6_348 Depth=4
	v_bfe_u32 v17, v0, 23, 1
; %bb.859:                              ;   in Loop: Header=BB6_348 Depth=4
	s_or_b64 exec, exec, vcc
	v_lshrrev_b64 v[0:1], 21, v[0:1]
	v_cmp_gt_i32_e32 vcc, 32, v17
	v_cndmask_b32_e32 v1, 0, v1, vcc
	v_cndmask_b32_e32 v0, 3, v0, vcc
	v_cmp_ne_u32_e32 vcc, 0, v17
	v_cmp_ne_u64_e64 s[30:31], 0, v[0:1]
	s_or_b64 vcc, vcc, s[30:31]
                                        ; implicit-def: $vgpr6
	s_and_saveexec_b64 s[30:31], vcc
	s_xor_b64 vcc, exec, s[30:31]
; %bb.860:                              ;   in Loop: Header=BB6_348 Depth=4
	v_min_i32_e32 v1, 31, v17
	v_lshl_or_b32 v1, v1, 2, v7
	v_and_or_b32 v6, v0, 3, v1
                                        ; implicit-def: $vgpr7
; %bb.861:                              ;   in Loop: Header=BB6_348 Depth=4
	s_andn2_saveexec_b64 vcc, vcc
; %bb.862:                              ;   in Loop: Header=BB6_348 Depth=4
	v_mov_b32_e32 v6, v7
; %bb.863:                              ;   in Loop: Header=BB6_348 Depth=4
	s_or_b64 exec, exec, vcc
.LBB6_864:                              ;   in Loop: Header=BB6_348 Depth=4
	s_or_b64 exec, exec, s[74:75]
.LBB6_865:                              ;   in Loop: Header=BB6_348 Depth=4
	s_andn2_saveexec_b64 vcc, s[72:73]
	s_or_b64 exec, exec, vcc
                                        ; implicit-def: $vgpr1
.LBB6_866:                              ;   in Loop: Header=BB6_348 Depth=4
	s_andn2_saveexec_b64 s[30:31], s[70:71]
; %bb.867:                              ;   in Loop: Header=BB6_348 Depth=4
	v_or_b32_sdwa v0, v1, s39 dst_sel:DWORD dst_unused:UNUSED_PAD src0_sel:BYTE_3 src1_sel:DWORD
	v_cmp_eq_u64_e32 vcc, 0, v[50:51]
	v_cndmask_b32_e32 v6, v0, v6, vcc
; %bb.868:                              ;   in Loop: Header=BB6_348 Depth=4
	s_or_b64 exec, exec, s[30:31]
	v_and_b32_e32 v0, 0xff, v44
	s_and_b64 vcc, exec, s[28:29]
	v_cmp_ne_u16_e64 s[30:31], 0, v44
	s_cbranch_vccnz .LBB6_886
; %bb.869:                              ;   in Loop: Header=BB6_348 Depth=4
	v_mov_b32_e32 v7, 0
	v_mov_b32_e32 v1, 0
	s_and_saveexec_b64 s[70:71], s[30:31]
	s_cbranch_execz .LBB6_877
; %bb.870:                              ;   in Loop: Header=BB6_348 Depth=4
	v_cmp_ne_u16_e32 vcc, s94, v44
	v_bfrev_b32_e32 v1, 1
	s_and_saveexec_b64 s[72:73], vcc
	s_cbranch_execz .LBB6_876
; %bb.871:                              ;   in Loop: Header=BB6_348 Depth=4
	v_and_b32_e32 v1, 0x7c, v0
	v_and_b32_e32 v17, 3, v0
	v_cmp_ne_u32_e32 vcc, s95, v1
                                        ; implicit-def: $vgpr1
	s_and_saveexec_b64 s[50:51], vcc
	s_xor_b64 s[74:75], exec, s[50:51]
	s_cbranch_execz .LBB6_873
; %bb.872:                              ;   in Loop: Header=BB6_348 Depth=4
	v_ffbh_u32_e32 v18, v17
	v_min_u32_e32 v21, 32, v18
	v_mov_b32_e32 v45, v51
	v_subrev_u32_e32 v18, 29, v21
	v_bfe_u32 v1, v0, 2, 5
	v_lshlrev_b64 v[18:19], v18, v[44:45]
	v_sub_u32_e32 v19, 30, v21
	v_and_b32_e32 v18, 3, v18
	v_cmp_eq_u32_e32 vcc, 0, v1
	v_cndmask_b32_e32 v1, v1, v19, vcc
	v_cndmask_b32_e32 v17, v17, v18, vcc
	v_bfrev_b32_e32 v18, 28
	v_bfe_i32 v20, v44, 0, 16
	v_lshl_add_u32 v1, v1, 23, v18
	v_and_or_b32 v1, v20, s96, v1
	v_lshl_or_b32 v1, v17, 21, v1
                                        ; implicit-def: $vgpr17
.LBB6_873:                              ;   in Loop: Header=BB6_348 Depth=4
	s_andn2_saveexec_b64 s[74:75], s[74:75]
; %bb.874:                              ;   in Loop: Header=BB6_348 Depth=4
	v_cmp_lt_i16_e32 vcc, -1, v44
	v_mov_b32_e32 v1, 0xc7600000
	v_mov_b32_e32 v18, 0x47600000
	v_cndmask_b32_e32 v1, v1, v18, vcc
	v_cmp_eq_u32_e32 vcc, 0, v17
	v_mov_b32_e32 v17, 0x7f800001
	v_cndmask_b32_e32 v1, v17, v1, vcc
; %bb.875:                              ;   in Loop: Header=BB6_348 Depth=4
	s_or_b64 exec, exec, s[74:75]
.LBB6_876:                              ;   in Loop: Header=BB6_348 Depth=4
	s_or_b64 exec, exec, s[72:73]
.LBB6_877:                              ;   in Loop: Header=BB6_348 Depth=4
	s_or_b64 exec, exec, s[70:71]
	v_cmp_ne_u16_e32 vcc, 0, v26
	s_and_saveexec_b64 s[70:71], vcc
	s_cbranch_execz .LBB6_885
; %bb.878:                              ;   in Loop: Header=BB6_348 Depth=4
	v_cmp_ne_u16_e32 vcc, s94, v26
	v_bfrev_b32_e32 v7, 1
	s_and_saveexec_b64 s[72:73], vcc
	s_cbranch_execz .LBB6_884
; %bb.879:                              ;   in Loop: Header=BB6_348 Depth=4
	v_and_b32_e32 v7, 0x7c, v26
	v_and_b32_e32 v17, 3, v26
	v_cmp_ne_u32_e32 vcc, s95, v7
                                        ; implicit-def: $vgpr7
	s_and_saveexec_b64 s[50:51], vcc
	s_xor_b64 s[74:75], exec, s[50:51]
	s_cbranch_execz .LBB6_881
; %bb.880:                              ;   in Loop: Header=BB6_348 Depth=4
	v_ffbh_u32_e32 v18, v17
	v_min_u32_e32 v21, 32, v18
	v_and_b32_e32 v7, 0xff, v26
	v_mov_b32_e32 v27, v51
	v_subrev_u32_e32 v18, 29, v21
	v_bfe_u32 v7, v7, 2, 5
	v_lshlrev_b64 v[18:19], v18, v[26:27]
	v_sub_u32_e32 v19, 30, v21
	v_and_b32_e32 v18, 3, v18
	v_cmp_eq_u32_e32 vcc, 0, v7
	v_cndmask_b32_e32 v7, v7, v19, vcc
	v_cndmask_b32_e32 v17, v17, v18, vcc
	v_bfrev_b32_e32 v18, 28
	v_bfe_i32 v20, v26, 0, 16
	v_lshl_add_u32 v7, v7, 23, v18
	v_and_or_b32 v7, v20, s96, v7
	v_lshl_or_b32 v7, v17, 21, v7
                                        ; implicit-def: $vgpr17
.LBB6_881:                              ;   in Loop: Header=BB6_348 Depth=4
	s_andn2_saveexec_b64 s[74:75], s[74:75]
; %bb.882:                              ;   in Loop: Header=BB6_348 Depth=4
	v_cmp_lt_i16_e32 vcc, -1, v26
	v_mov_b32_e32 v7, 0xc7600000
	v_mov_b32_e32 v18, 0x47600000
	v_cndmask_b32_e32 v7, v7, v18, vcc
	v_cmp_eq_u32_e32 vcc, 0, v17
	v_mov_b32_e32 v17, 0x7f800001
	v_cndmask_b32_e32 v7, v17, v7, vcc
; %bb.883:                              ;   in Loop: Header=BB6_348 Depth=4
	s_or_b64 exec, exec, s[74:75]
.LBB6_884:                              ;   in Loop: Header=BB6_348 Depth=4
	s_or_b64 exec, exec, s[72:73]
.LBB6_885:                              ;   in Loop: Header=BB6_348 Depth=4
	s_or_b64 exec, exec, s[70:71]
	v_max_f32_e32 v7, v7, v7
	v_max_f32_e32 v1, v1, v1
	;; [unrolled: 1-line block ×3, first 2 shown]
	s_branch .LBB6_904
.LBB6_886:                              ;   in Loop: Header=BB6_348 Depth=4
                                        ; implicit-def: $vgpr1
	s_cbranch_execz .LBB6_904
; %bb.887:                              ;   in Loop: Header=BB6_348 Depth=4
	v_mov_b32_e32 v7, 0
	v_mov_b32_e32 v1, 0
	s_and_saveexec_b64 s[70:71], s[30:31]
	s_cbranch_execz .LBB6_895
; %bb.888:                              ;   in Loop: Header=BB6_348 Depth=4
	v_cmp_ne_u16_e32 vcc, s94, v44
	v_bfrev_b32_e32 v1, 1
	s_and_saveexec_b64 s[30:31], vcc
	s_cbranch_execz .LBB6_894
; %bb.889:                              ;   in Loop: Header=BB6_348 Depth=4
	v_and_b32_e32 v1, 0x7c, v0
	v_and_b32_e32 v17, 3, v0
	v_cmp_ne_u32_e32 vcc, s95, v1
                                        ; implicit-def: $vgpr1
	s_and_saveexec_b64 s[50:51], vcc
	s_xor_b64 s[72:73], exec, s[50:51]
	s_cbranch_execz .LBB6_891
; %bb.890:                              ;   in Loop: Header=BB6_348 Depth=4
	v_bfe_u32 v18, v0, 2, 5
	v_ffbh_u32_e32 v0, v17
	v_min_u32_e32 v20, 32, v0
	v_mov_b32_e32 v45, v51
	v_subrev_u32_e32 v0, 29, v20
	v_lshlrev_b64 v[0:1], v0, v[44:45]
	v_sub_u32_e32 v1, 30, v20
	v_and_b32_e32 v0, 3, v0
	v_cmp_eq_u32_e32 vcc, 0, v18
	v_cndmask_b32_e32 v1, v18, v1, vcc
	v_cndmask_b32_e32 v0, v17, v0, vcc
	v_bfrev_b32_e32 v17, 28
	v_bfe_i32 v19, v44, 0, 16
	v_lshl_add_u32 v1, v1, 23, v17
	v_and_or_b32 v1, v19, s96, v1
	v_lshl_or_b32 v1, v0, 21, v1
                                        ; implicit-def: $vgpr17
                                        ; implicit-def: $vgpr44
.LBB6_891:                              ;   in Loop: Header=BB6_348 Depth=4
	s_andn2_saveexec_b64 s[72:73], s[72:73]
; %bb.892:                              ;   in Loop: Header=BB6_348 Depth=4
	v_cmp_lt_i16_e32 vcc, -1, v44
	v_mov_b32_e32 v0, 0xc7600000
	v_mov_b32_e32 v1, 0x47600000
	v_cndmask_b32_e32 v0, v0, v1, vcc
	v_cmp_eq_u32_e32 vcc, 0, v17
	v_mov_b32_e32 v1, 0x7f800001
	v_cndmask_b32_e32 v1, v1, v0, vcc
; %bb.893:                              ;   in Loop: Header=BB6_348 Depth=4
	s_or_b64 exec, exec, s[72:73]
.LBB6_894:                              ;   in Loop: Header=BB6_348 Depth=4
	s_or_b64 exec, exec, s[30:31]
.LBB6_895:                              ;   in Loop: Header=BB6_348 Depth=4
	s_or_b64 exec, exec, s[70:71]
	v_cmp_ne_u16_e32 vcc, 0, v26
	s_and_saveexec_b64 s[30:31], vcc
	s_cbranch_execz .LBB6_903
; %bb.896:                              ;   in Loop: Header=BB6_348 Depth=4
	v_cmp_ne_u16_e32 vcc, s94, v26
	v_bfrev_b32_e32 v7, 1
	s_and_saveexec_b64 s[70:71], vcc
	s_cbranch_execz .LBB6_902
; %bb.897:                              ;   in Loop: Header=BB6_348 Depth=4
	v_and_b32_e32 v7, 0x7c, v26
	v_and_b32_e32 v0, 3, v26
	v_cmp_ne_u32_e32 vcc, s95, v7
                                        ; implicit-def: $vgpr7
	s_and_saveexec_b64 s[50:51], vcc
	s_xor_b64 s[72:73], exec, s[50:51]
	s_cbranch_execz .LBB6_899
; %bb.898:                              ;   in Loop: Header=BB6_348 Depth=4
	v_ffbh_u32_e32 v18, v0
	v_min_u32_e32 v20, 32, v18
	v_and_b32_e32 v7, 0xff, v26
	v_mov_b32_e32 v27, v51
	v_subrev_u32_e32 v18, 29, v20
	v_bfe_u32 v7, v7, 2, 5
	v_lshlrev_b64 v[18:19], v18, v[26:27]
	v_sub_u32_e32 v19, 30, v20
	v_and_b32_e32 v18, 3, v18
	v_cmp_eq_u32_e32 vcc, 0, v7
	v_cndmask_b32_e32 v7, v7, v19, vcc
	v_cndmask_b32_e32 v0, v0, v18, vcc
	v_bfrev_b32_e32 v18, 28
	v_bfe_i32 v17, v26, 0, 16
	v_lshl_add_u32 v7, v7, 23, v18
	v_and_or_b32 v7, v17, s96, v7
	v_lshl_or_b32 v7, v0, 21, v7
                                        ; implicit-def: $vgpr0
                                        ; implicit-def: $vgpr26
.LBB6_899:                              ;   in Loop: Header=BB6_348 Depth=4
	s_andn2_saveexec_b64 s[72:73], s[72:73]
; %bb.900:                              ;   in Loop: Header=BB6_348 Depth=4
	v_cmp_lt_i16_e32 vcc, -1, v26
	v_mov_b32_e32 v7, 0xc7600000
	v_mov_b32_e32 v17, 0x47600000
	v_cndmask_b32_e32 v7, v7, v17, vcc
	v_cmp_eq_u32_e32 vcc, 0, v0
	v_mov_b32_e32 v0, 0x7f800001
	v_cndmask_b32_e32 v7, v0, v7, vcc
; %bb.901:                              ;   in Loop: Header=BB6_348 Depth=4
	s_or_b64 exec, exec, s[72:73]
.LBB6_902:                              ;   in Loop: Header=BB6_348 Depth=4
	s_or_b64 exec, exec, s[70:71]
.LBB6_903:                              ;   in Loop: Header=BB6_348 Depth=4
	s_or_b64 exec, exec, s[30:31]
	v_max_f32_e32 v0, v7, v7
	v_max_f32_e32 v1, v1, v1
	v_min_f32_e32 v1, v1, v0
.LBB6_904:                              ;   in Loop: Header=BB6_348 Depth=4
	v_and_b32_sdwa v17, v1, s97 dst_sel:DWORD dst_unused:UNUSED_PAD src0_sel:BYTE_3 src1_sel:DWORD
	v_and_b32_e32 v50, 0x7fffff, v1
	v_or_b32_e32 v7, 0x7b, v17
	v_and_b32_e32 v18, 0x7f800000, v1
	v_mov_b32_e32 v19, v51
	v_cmp_ne_u64_e32 vcc, s[52:53], v[18:19]
	s_mov_b64 s[30:31], exec
	s_and_b64 vcc, s[30:31], vcc
	s_xor_b64 s[70:71], vcc, s[30:31]
	v_accvgpr_read_b32 v26, a0
	s_mov_b64 exec, vcc
	s_cbranch_execz .LBB6_918
; %bb.905:                              ;   in Loop: Header=BB6_348 Depth=4
	v_and_b32_e32 v18, 0x7fffffff, v1
	v_mov_b32_e32 v19, v51
	v_cmp_gt_u64_e32 vcc, s[54:55], v[18:19]
	s_and_saveexec_b64 s[30:31], vcc
	s_xor_b64 s[72:73], exec, s[30:31]
	s_cbranch_execz .LBB6_917
; %bb.906:                              ;   in Loop: Header=BB6_348 Depth=4
	v_cmp_ne_u32_e32 vcc, 0, v1
	v_mov_b32_e32 v7, 0
	s_and_saveexec_b64 s[74:75], vcc
	s_cbranch_execz .LBB6_916
; %bb.907:                              ;   in Loop: Header=BB6_348 Depth=4
	v_bfe_u32 v0, v1, 23, 8
	v_cmp_eq_u32_e32 vcc, 0, v0
	v_add_u32_e32 v1, 0xffffff81, v0
	v_cmp_gt_u32_e64 s[30:31], s38, v0
	v_sub_u32_e32 v0, 0x71, v0
	v_mov_b32_e32 v18, 0xffffff82
	v_cndmask_b32_e64 v0, 0, v0, s[30:31]
	v_cndmask_b32_e32 v20, v1, v18, vcc
	v_mov_b32_e32 v1, 0x70
	v_cndmask_b32_e32 v21, v0, v1, vcc
	v_add_u32_e32 v0, 21, v21
	v_or_b32_e32 v7, 0x800000, v50
	v_lshlrev_b64 v[0:1], v0, -1
	v_cndmask_b32_e32 v50, v7, v50, vcc
	v_not_b32_e32 v1, v1
	v_not_b32_e32 v0, v0
	v_add_u32_e32 v7, 20, v21
	v_and_b32_e32 v1, 0, v1
	v_and_b32_e32 v0, v50, v0
	v_lshlrev_b64 v[18:19], v7, 1
	v_cmp_eq_u64_e32 vcc, v[0:1], v[18:19]
	v_lshrrev_b64 v[0:1], v21, v[50:51]
	v_bfe_u32 v18, v0, 21, 1
	v_add_u32_e32 v18, -1, v18
	v_cndmask_b32_e32 v18, 0, v18, vcc
	v_add_u32_e32 v18, v18, v0
	v_lshrrev_b32_e32 v7, 23, v0
	v_and_b32_e32 v18, 0x1fffff, v18
	v_add3_u32 v19, v21, v20, v7
	v_add_co_u32_e32 v0, vcc, v18, v0
	v_add_u32_e32 v7, 14, v19
	v_addc_co_u32_e32 v1, vcc, 0, v1, vcc
	v_cmp_ne_u32_e32 vcc, 0, v7
                                        ; implicit-def: $vgpr18
	s_and_saveexec_b64 s[30:31], vcc
	s_xor_b64 s[30:31], exec, s[30:31]
; %bb.908:                              ;   in Loop: Header=BB6_348 Depth=4
	v_add_u32_e32 v18, 15, v19
	v_cmp_lt_u64_e32 vcc, s[56:57], v[0:1]
	v_cndmask_b32_e32 v18, v7, v18, vcc
	v_cndmask_b32_e64 v7, 0, 1, vcc
	v_lshrrev_b64 v[0:1], v7, v[0:1]
; %bb.909:                              ;   in Loop: Header=BB6_348 Depth=4
	s_andn2_saveexec_b64 vcc, s[30:31]
; %bb.910:                              ;   in Loop: Header=BB6_348 Depth=4
	v_bfe_u32 v18, v0, 23, 1
; %bb.911:                              ;   in Loop: Header=BB6_348 Depth=4
	s_or_b64 exec, exec, vcc
	v_lshrrev_b64 v[0:1], 21, v[0:1]
	v_cmp_gt_i32_e32 vcc, 32, v18
	v_cndmask_b32_e32 v1, 0, v1, vcc
	v_cndmask_b32_e32 v0, 3, v0, vcc
	v_cmp_ne_u32_e32 vcc, 0, v18
	v_cmp_ne_u64_e64 s[30:31], 0, v[0:1]
	s_or_b64 vcc, vcc, s[30:31]
                                        ; implicit-def: $vgpr7
	s_and_saveexec_b64 s[30:31], vcc
	s_xor_b64 vcc, exec, s[30:31]
; %bb.912:                              ;   in Loop: Header=BB6_348 Depth=4
	v_min_i32_e32 v1, 31, v18
	v_lshl_or_b32 v1, v1, 2, v17
	v_and_or_b32 v7, v0, 3, v1
                                        ; implicit-def: $vgpr17
; %bb.913:                              ;   in Loop: Header=BB6_348 Depth=4
	s_andn2_saveexec_b64 vcc, vcc
; %bb.914:                              ;   in Loop: Header=BB6_348 Depth=4
	v_mov_b32_e32 v7, v17
; %bb.915:                              ;   in Loop: Header=BB6_348 Depth=4
	s_or_b64 exec, exec, vcc
.LBB6_916:                              ;   in Loop: Header=BB6_348 Depth=4
	s_or_b64 exec, exec, s[74:75]
.LBB6_917:                              ;   in Loop: Header=BB6_348 Depth=4
	s_andn2_saveexec_b64 vcc, s[72:73]
	s_or_b64 exec, exec, vcc
                                        ; implicit-def: $vgpr1
.LBB6_918:                              ;   in Loop: Header=BB6_348 Depth=4
	s_andn2_saveexec_b64 s[30:31], s[70:71]
; %bb.919:                              ;   in Loop: Header=BB6_348 Depth=4
	v_or_b32_sdwa v0, v1, s39 dst_sel:DWORD dst_unused:UNUSED_PAD src0_sel:BYTE_3 src1_sel:DWORD
	v_cmp_eq_u64_e32 vcc, 0, v[50:51]
	v_cndmask_b32_e32 v7, v0, v7, vcc
; %bb.920:                              ;   in Loop: Header=BB6_348 Depth=4
	s_or_b64 exec, exec, s[30:31]
	v_and_b32_e32 v0, 0xff, v28
	s_and_b64 vcc, exec, s[28:29]
	v_cmp_ne_u16_e64 s[30:31], 0, v28
	s_cbranch_vccnz .LBB6_938
; %bb.921:                              ;   in Loop: Header=BB6_348 Depth=4
	v_mov_b32_e32 v17, 0
	v_mov_b32_e32 v1, 0
	s_and_saveexec_b64 s[70:71], s[30:31]
	s_cbranch_execz .LBB6_929
; %bb.922:                              ;   in Loop: Header=BB6_348 Depth=4
	v_cmp_ne_u16_e32 vcc, s94, v28
	v_bfrev_b32_e32 v1, 1
	s_and_saveexec_b64 s[72:73], vcc
	s_cbranch_execz .LBB6_928
; %bb.923:                              ;   in Loop: Header=BB6_348 Depth=4
	v_and_b32_e32 v1, 0x7c, v0
	v_and_b32_e32 v18, 3, v0
	v_cmp_ne_u32_e32 vcc, s95, v1
                                        ; implicit-def: $vgpr1
	s_and_saveexec_b64 s[50:51], vcc
	s_xor_b64 s[74:75], exec, s[50:51]
	s_cbranch_execz .LBB6_925
; %bb.924:                              ;   in Loop: Header=BB6_348 Depth=4
	v_ffbh_u32_e32 v20, v18
	v_min_u32_e32 v23, 32, v20
	v_mov_b32_e32 v29, v51
	v_subrev_u32_e32 v20, 29, v23
	v_bfe_u32 v1, v0, 2, 5
	v_lshlrev_b64 v[20:21], v20, v[28:29]
	v_sub_u32_e32 v21, 30, v23
	v_and_b32_e32 v20, 3, v20
	v_cmp_eq_u32_e32 vcc, 0, v1
	v_cndmask_b32_e32 v1, v1, v21, vcc
	v_cndmask_b32_e32 v18, v18, v20, vcc
	v_bfrev_b32_e32 v20, 28
	v_bfe_i32 v19, v28, 0, 16
	v_lshl_add_u32 v1, v1, 23, v20
	v_and_or_b32 v1, v19, s96, v1
	v_lshl_or_b32 v1, v18, 21, v1
                                        ; implicit-def: $vgpr18
.LBB6_925:                              ;   in Loop: Header=BB6_348 Depth=4
	s_andn2_saveexec_b64 s[74:75], s[74:75]
; %bb.926:                              ;   in Loop: Header=BB6_348 Depth=4
	v_cmp_lt_i16_e32 vcc, -1, v28
	v_mov_b32_e32 v1, 0xc7600000
	v_mov_b32_e32 v19, 0x47600000
	v_cndmask_b32_e32 v1, v1, v19, vcc
	v_cmp_eq_u32_e32 vcc, 0, v18
	v_mov_b32_e32 v18, 0x7f800001
	v_cndmask_b32_e32 v1, v18, v1, vcc
; %bb.927:                              ;   in Loop: Header=BB6_348 Depth=4
	s_or_b64 exec, exec, s[74:75]
.LBB6_928:                              ;   in Loop: Header=BB6_348 Depth=4
	s_or_b64 exec, exec, s[72:73]
.LBB6_929:                              ;   in Loop: Header=BB6_348 Depth=4
	s_or_b64 exec, exec, s[70:71]
	v_cmp_ne_u16_e32 vcc, 0, v56
	s_and_saveexec_b64 s[70:71], vcc
	s_cbranch_execz .LBB6_937
; %bb.930:                              ;   in Loop: Header=BB6_348 Depth=4
	v_cmp_ne_u16_e32 vcc, s94, v56
	v_bfrev_b32_e32 v17, 1
	s_and_saveexec_b64 s[72:73], vcc
	s_cbranch_execz .LBB6_936
; %bb.931:                              ;   in Loop: Header=BB6_348 Depth=4
	v_and_b32_e32 v17, 0x7c, v56
	v_and_b32_e32 v18, 3, v56
	v_cmp_ne_u32_e32 vcc, s95, v17
                                        ; implicit-def: $vgpr17
	s_and_saveexec_b64 s[50:51], vcc
	s_xor_b64 s[74:75], exec, s[50:51]
	s_cbranch_execz .LBB6_933
; %bb.932:                              ;   in Loop: Header=BB6_348 Depth=4
	v_ffbh_u32_e32 v20, v18
	v_min_u32_e32 v23, 32, v20
	v_and_b32_e32 v17, 0xff, v56
	v_mov_b32_e32 v57, v51
	v_subrev_u32_e32 v20, 29, v23
	v_bfe_u32 v17, v17, 2, 5
	v_lshlrev_b64 v[20:21], v20, v[56:57]
	v_sub_u32_e32 v21, 30, v23
	v_and_b32_e32 v20, 3, v20
	v_cmp_eq_u32_e32 vcc, 0, v17
	v_cndmask_b32_e32 v17, v17, v21, vcc
	v_cndmask_b32_e32 v18, v18, v20, vcc
	v_bfrev_b32_e32 v20, 28
	v_bfe_i32 v19, v56, 0, 16
	v_lshl_add_u32 v17, v17, 23, v20
	v_and_or_b32 v17, v19, s96, v17
	v_lshl_or_b32 v17, v18, 21, v17
                                        ; implicit-def: $vgpr18
.LBB6_933:                              ;   in Loop: Header=BB6_348 Depth=4
	s_andn2_saveexec_b64 s[74:75], s[74:75]
; %bb.934:                              ;   in Loop: Header=BB6_348 Depth=4
	v_cmp_lt_i16_e32 vcc, -1, v56
	v_mov_b32_e32 v17, 0xc7600000
	v_mov_b32_e32 v19, 0x47600000
	v_cndmask_b32_e32 v17, v17, v19, vcc
	v_cmp_eq_u32_e32 vcc, 0, v18
	v_mov_b32_e32 v18, 0x7f800001
	v_cndmask_b32_e32 v17, v18, v17, vcc
; %bb.935:                              ;   in Loop: Header=BB6_348 Depth=4
	s_or_b64 exec, exec, s[74:75]
.LBB6_936:                              ;   in Loop: Header=BB6_348 Depth=4
	s_or_b64 exec, exec, s[72:73]
.LBB6_937:                              ;   in Loop: Header=BB6_348 Depth=4
	s_or_b64 exec, exec, s[70:71]
	v_max_f32_e32 v17, v17, v17
	v_max_f32_e32 v1, v1, v1
	;; [unrolled: 1-line block ×3, first 2 shown]
	s_branch .LBB6_956
.LBB6_938:                              ;   in Loop: Header=BB6_348 Depth=4
                                        ; implicit-def: $vgpr1
	s_cbranch_execz .LBB6_956
; %bb.939:                              ;   in Loop: Header=BB6_348 Depth=4
	v_mov_b32_e32 v17, 0
	v_mov_b32_e32 v1, 0
	s_and_saveexec_b64 s[70:71], s[30:31]
	s_cbranch_execz .LBB6_947
; %bb.940:                              ;   in Loop: Header=BB6_348 Depth=4
	v_cmp_ne_u16_e32 vcc, s94, v28
	v_bfrev_b32_e32 v1, 1
	s_and_saveexec_b64 s[30:31], vcc
	s_cbranch_execz .LBB6_946
; %bb.941:                              ;   in Loop: Header=BB6_348 Depth=4
	v_and_b32_e32 v1, 0x7c, v0
	v_and_b32_e32 v18, 3, v0
	v_cmp_ne_u32_e32 vcc, s95, v1
                                        ; implicit-def: $vgpr1
	s_and_saveexec_b64 s[50:51], vcc
	s_xor_b64 s[72:73], exec, s[50:51]
	s_cbranch_execz .LBB6_943
; %bb.942:                              ;   in Loop: Header=BB6_348 Depth=4
	v_bfe_u32 v19, v0, 2, 5
	v_ffbh_u32_e32 v0, v18
	v_min_u32_e32 v21, 32, v0
	v_mov_b32_e32 v29, v51
	v_subrev_u32_e32 v0, 29, v21
	v_lshlrev_b64 v[0:1], v0, v[28:29]
	v_sub_u32_e32 v1, 30, v21
	v_and_b32_e32 v0, 3, v0
	v_cmp_eq_u32_e32 vcc, 0, v19
	v_cndmask_b32_e32 v1, v19, v1, vcc
	v_cndmask_b32_e32 v0, v18, v0, vcc
	v_bfrev_b32_e32 v18, 28
	v_bfe_i32 v20, v28, 0, 16
	v_lshl_add_u32 v1, v1, 23, v18
	v_and_or_b32 v1, v20, s96, v1
	v_lshl_or_b32 v1, v0, 21, v1
                                        ; implicit-def: $vgpr18
                                        ; implicit-def: $vgpr28
.LBB6_943:                              ;   in Loop: Header=BB6_348 Depth=4
	s_andn2_saveexec_b64 s[72:73], s[72:73]
; %bb.944:                              ;   in Loop: Header=BB6_348 Depth=4
	v_cmp_lt_i16_e32 vcc, -1, v28
	v_mov_b32_e32 v0, 0xc7600000
	v_mov_b32_e32 v1, 0x47600000
	v_cndmask_b32_e32 v0, v0, v1, vcc
	v_cmp_eq_u32_e32 vcc, 0, v18
	v_mov_b32_e32 v1, 0x7f800001
	v_cndmask_b32_e32 v1, v1, v0, vcc
; %bb.945:                              ;   in Loop: Header=BB6_348 Depth=4
	s_or_b64 exec, exec, s[72:73]
.LBB6_946:                              ;   in Loop: Header=BB6_348 Depth=4
	s_or_b64 exec, exec, s[30:31]
.LBB6_947:                              ;   in Loop: Header=BB6_348 Depth=4
	s_or_b64 exec, exec, s[70:71]
	v_cmp_ne_u16_e32 vcc, 0, v56
	s_and_saveexec_b64 s[30:31], vcc
	s_cbranch_execz .LBB6_955
; %bb.948:                              ;   in Loop: Header=BB6_348 Depth=4
	v_cmp_ne_u16_e32 vcc, s94, v56
	v_bfrev_b32_e32 v17, 1
	s_and_saveexec_b64 s[70:71], vcc
	s_cbranch_execz .LBB6_954
; %bb.949:                              ;   in Loop: Header=BB6_348 Depth=4
	v_and_b32_e32 v17, 0x7c, v56
	v_and_b32_e32 v0, 3, v56
	v_cmp_ne_u32_e32 vcc, s95, v17
                                        ; implicit-def: $vgpr17
	s_and_saveexec_b64 s[50:51], vcc
	s_xor_b64 s[72:73], exec, s[50:51]
	s_cbranch_execz .LBB6_951
; %bb.950:                              ;   in Loop: Header=BB6_348 Depth=4
	v_ffbh_u32_e32 v18, v0
	v_min_u32_e32 v21, 32, v18
	v_and_b32_e32 v17, 0xff, v56
	v_mov_b32_e32 v57, v51
	v_subrev_u32_e32 v18, 29, v21
	v_bfe_u32 v17, v17, 2, 5
	v_lshlrev_b64 v[18:19], v18, v[56:57]
	v_sub_u32_e32 v19, 30, v21
	v_and_b32_e32 v18, 3, v18
	v_cmp_eq_u32_e32 vcc, 0, v17
	v_cndmask_b32_e32 v17, v17, v19, vcc
	v_cndmask_b32_e32 v0, v0, v18, vcc
	v_bfrev_b32_e32 v18, 28
	v_bfe_i32 v20, v56, 0, 16
	v_lshl_add_u32 v17, v17, 23, v18
	v_and_or_b32 v17, v20, s96, v17
	v_lshl_or_b32 v17, v0, 21, v17
                                        ; implicit-def: $vgpr0
                                        ; implicit-def: $vgpr56
.LBB6_951:                              ;   in Loop: Header=BB6_348 Depth=4
	s_andn2_saveexec_b64 s[72:73], s[72:73]
; %bb.952:                              ;   in Loop: Header=BB6_348 Depth=4
	v_cmp_lt_i16_e32 vcc, -1, v56
	v_mov_b32_e32 v17, 0xc7600000
	v_mov_b32_e32 v18, 0x47600000
	v_cndmask_b32_e32 v17, v17, v18, vcc
	v_cmp_eq_u32_e32 vcc, 0, v0
	v_mov_b32_e32 v0, 0x7f800001
	v_cndmask_b32_e32 v17, v0, v17, vcc
; %bb.953:                              ;   in Loop: Header=BB6_348 Depth=4
	s_or_b64 exec, exec, s[72:73]
.LBB6_954:                              ;   in Loop: Header=BB6_348 Depth=4
	s_or_b64 exec, exec, s[70:71]
.LBB6_955:                              ;   in Loop: Header=BB6_348 Depth=4
	s_or_b64 exec, exec, s[30:31]
	v_max_f32_e32 v0, v17, v17
	v_max_f32_e32 v1, v1, v1
	v_min_f32_e32 v1, v1, v0
.LBB6_956:                              ;   in Loop: Header=BB6_348 Depth=4
	v_and_b32_sdwa v18, v1, s97 dst_sel:DWORD dst_unused:UNUSED_PAD src0_sel:BYTE_3 src1_sel:DWORD
	v_and_b32_e32 v50, 0x7fffff, v1
	v_or_b32_e32 v17, 0x7b, v18
	v_and_b32_e32 v20, 0x7f800000, v1
	v_mov_b32_e32 v21, v51
	v_cmp_ne_u64_e32 vcc, s[52:53], v[20:21]
	s_mov_b64 s[30:31], exec
	s_and_b64 vcc, s[30:31], vcc
	s_xor_b64 s[70:71], vcc, s[30:31]
	v_accvgpr_read_b32 v28, a12
	s_mov_b64 exec, vcc
	s_cbranch_execz .LBB6_970
; %bb.957:                              ;   in Loop: Header=BB6_348 Depth=4
	v_and_b32_e32 v20, 0x7fffffff, v1
	v_mov_b32_e32 v21, v51
	v_cmp_gt_u64_e32 vcc, s[54:55], v[20:21]
	s_and_saveexec_b64 s[30:31], vcc
	s_xor_b64 s[72:73], exec, s[30:31]
	s_cbranch_execz .LBB6_969
; %bb.958:                              ;   in Loop: Header=BB6_348 Depth=4
	v_cmp_ne_u32_e32 vcc, 0, v1
	v_mov_b32_e32 v17, 0
	s_and_saveexec_b64 s[74:75], vcc
	s_cbranch_execz .LBB6_968
; %bb.959:                              ;   in Loop: Header=BB6_348 Depth=4
	v_bfe_u32 v0, v1, 23, 8
	v_cmp_eq_u32_e32 vcc, 0, v0
	v_add_u32_e32 v1, 0xffffff81, v0
	v_cmp_gt_u32_e64 s[30:31], s38, v0
	v_sub_u32_e32 v0, 0x71, v0
	v_mov_b32_e32 v19, 0xffffff82
	v_cndmask_b32_e64 v0, 0, v0, s[30:31]
	v_cndmask_b32_e32 v19, v1, v19, vcc
	v_mov_b32_e32 v1, 0x70
	v_cndmask_b32_e32 v23, v0, v1, vcc
	v_add_u32_e32 v0, 21, v23
	v_or_b32_e32 v17, 0x800000, v50
	v_lshlrev_b64 v[0:1], v0, -1
	v_cndmask_b32_e32 v50, v17, v50, vcc
	v_not_b32_e32 v1, v1
	v_not_b32_e32 v0, v0
	v_add_u32_e32 v17, 20, v23
	v_and_b32_e32 v1, 0, v1
	v_and_b32_e32 v0, v50, v0
	v_lshlrev_b64 v[20:21], v17, 1
	v_cmp_eq_u64_e32 vcc, v[0:1], v[20:21]
	v_lshrrev_b64 v[0:1], v23, v[50:51]
	v_lshrrev_b32_e32 v17, 23, v0
	v_add3_u32 v20, v23, v19, v17
	v_bfe_u32 v19, v0, 21, 1
	v_add_u32_e32 v19, -1, v19
	v_cndmask_b32_e32 v19, 0, v19, vcc
	v_add_u32_e32 v19, v19, v0
	v_and_b32_e32 v19, 0x1fffff, v19
	v_add_co_u32_e32 v0, vcc, v19, v0
	v_add_u32_e32 v17, 14, v20
	v_addc_co_u32_e32 v1, vcc, 0, v1, vcc
	v_cmp_ne_u32_e32 vcc, 0, v17
                                        ; implicit-def: $vgpr19
	s_and_saveexec_b64 s[30:31], vcc
	s_xor_b64 s[30:31], exec, s[30:31]
; %bb.960:                              ;   in Loop: Header=BB6_348 Depth=4
	v_add_u32_e32 v19, 15, v20
	v_cmp_lt_u64_e32 vcc, s[56:57], v[0:1]
	v_cndmask_b32_e32 v19, v17, v19, vcc
	v_cndmask_b32_e64 v17, 0, 1, vcc
	v_lshrrev_b64 v[0:1], v17, v[0:1]
; %bb.961:                              ;   in Loop: Header=BB6_348 Depth=4
	s_andn2_saveexec_b64 vcc, s[30:31]
; %bb.962:                              ;   in Loop: Header=BB6_348 Depth=4
	v_bfe_u32 v19, v0, 23, 1
; %bb.963:                              ;   in Loop: Header=BB6_348 Depth=4
	s_or_b64 exec, exec, vcc
	v_lshrrev_b64 v[0:1], 21, v[0:1]
	v_cmp_gt_i32_e32 vcc, 32, v19
	v_cndmask_b32_e32 v1, 0, v1, vcc
	v_cndmask_b32_e32 v0, 3, v0, vcc
	v_cmp_ne_u32_e32 vcc, 0, v19
	v_cmp_ne_u64_e64 s[30:31], 0, v[0:1]
	s_or_b64 vcc, vcc, s[30:31]
                                        ; implicit-def: $vgpr17
	s_and_saveexec_b64 s[30:31], vcc
	s_xor_b64 vcc, exec, s[30:31]
; %bb.964:                              ;   in Loop: Header=BB6_348 Depth=4
	v_min_i32_e32 v1, 31, v19
	v_lshl_or_b32 v1, v1, 2, v18
	v_and_or_b32 v17, v0, 3, v1
                                        ; implicit-def: $vgpr18
; %bb.965:                              ;   in Loop: Header=BB6_348 Depth=4
	s_andn2_saveexec_b64 vcc, vcc
; %bb.966:                              ;   in Loop: Header=BB6_348 Depth=4
	v_mov_b32_e32 v17, v18
; %bb.967:                              ;   in Loop: Header=BB6_348 Depth=4
	s_or_b64 exec, exec, vcc
.LBB6_968:                              ;   in Loop: Header=BB6_348 Depth=4
	s_or_b64 exec, exec, s[74:75]
.LBB6_969:                              ;   in Loop: Header=BB6_348 Depth=4
	s_andn2_saveexec_b64 vcc, s[72:73]
	s_or_b64 exec, exec, vcc
                                        ; implicit-def: $vgpr1
.LBB6_970:                              ;   in Loop: Header=BB6_348 Depth=4
	s_andn2_saveexec_b64 s[30:31], s[70:71]
; %bb.971:                              ;   in Loop: Header=BB6_348 Depth=4
	v_or_b32_sdwa v0, v1, s39 dst_sel:DWORD dst_unused:UNUSED_PAD src0_sel:BYTE_3 src1_sel:DWORD
	v_cmp_eq_u64_e32 vcc, 0, v[50:51]
	v_cndmask_b32_e32 v17, v0, v17, vcc
; %bb.972:                              ;   in Loop: Header=BB6_348 Depth=4
	s_or_b64 exec, exec, s[30:31]
	v_and_b32_e32 v0, 0xff, v58
	s_and_b64 vcc, exec, s[28:29]
	v_cmp_ne_u16_e64 s[30:31], 0, v58
	s_cbranch_vccnz .LBB6_990
; %bb.973:                              ;   in Loop: Header=BB6_348 Depth=4
	v_mov_b32_e32 v18, 0
	v_mov_b32_e32 v1, 0
	s_and_saveexec_b64 s[70:71], s[30:31]
	s_cbranch_execz .LBB6_981
; %bb.974:                              ;   in Loop: Header=BB6_348 Depth=4
	v_cmp_ne_u16_e32 vcc, s94, v58
	v_bfrev_b32_e32 v1, 1
	s_and_saveexec_b64 s[72:73], vcc
	s_cbranch_execz .LBB6_980
; %bb.975:                              ;   in Loop: Header=BB6_348 Depth=4
	v_and_b32_e32 v1, 0x7c, v0
	v_and_b32_e32 v19, 3, v0
	v_cmp_ne_u32_e32 vcc, s95, v1
                                        ; implicit-def: $vgpr1
	s_and_saveexec_b64 s[50:51], vcc
	s_xor_b64 s[74:75], exec, s[50:51]
	s_cbranch_execz .LBB6_977
; %bb.976:                              ;   in Loop: Header=BB6_348 Depth=4
	v_ffbh_u32_e32 v20, v19
	v_min_u32_e32 v24, 32, v20
	v_mov_b32_e32 v59, v51
	v_subrev_u32_e32 v20, 29, v24
	v_bfe_u32 v1, v0, 2, 5
	v_lshlrev_b64 v[20:21], v20, v[58:59]
	v_sub_u32_e32 v21, 30, v24
	v_and_b32_e32 v20, 3, v20
	v_cmp_eq_u32_e32 vcc, 0, v1
	v_cndmask_b32_e32 v1, v1, v21, vcc
	v_cndmask_b32_e32 v19, v19, v20, vcc
	v_bfrev_b32_e32 v20, 28
	v_bfe_i32 v23, v58, 0, 16
	v_lshl_add_u32 v1, v1, 23, v20
	v_and_or_b32 v1, v23, s96, v1
	v_lshl_or_b32 v1, v19, 21, v1
                                        ; implicit-def: $vgpr19
.LBB6_977:                              ;   in Loop: Header=BB6_348 Depth=4
	s_andn2_saveexec_b64 s[74:75], s[74:75]
; %bb.978:                              ;   in Loop: Header=BB6_348 Depth=4
	v_cmp_lt_i16_e32 vcc, -1, v58
	v_mov_b32_e32 v1, 0xc7600000
	v_mov_b32_e32 v20, 0x47600000
	v_cndmask_b32_e32 v1, v1, v20, vcc
	v_cmp_eq_u32_e32 vcc, 0, v19
	v_mov_b32_e32 v19, 0x7f800001
	v_cndmask_b32_e32 v1, v19, v1, vcc
; %bb.979:                              ;   in Loop: Header=BB6_348 Depth=4
	s_or_b64 exec, exec, s[74:75]
.LBB6_980:                              ;   in Loop: Header=BB6_348 Depth=4
	s_or_b64 exec, exec, s[72:73]
.LBB6_981:                              ;   in Loop: Header=BB6_348 Depth=4
	s_or_b64 exec, exec, s[70:71]
	v_cmp_ne_u16_e32 vcc, 0, v26
	s_and_saveexec_b64 s[70:71], vcc
	s_cbranch_execz .LBB6_989
; %bb.982:                              ;   in Loop: Header=BB6_348 Depth=4
	v_cmp_ne_u16_e32 vcc, s94, v26
	v_bfrev_b32_e32 v18, 1
	s_and_saveexec_b64 s[72:73], vcc
	s_cbranch_execz .LBB6_988
; %bb.983:                              ;   in Loop: Header=BB6_348 Depth=4
	v_and_b32_e32 v18, 0x7c, v26
	v_and_b32_e32 v19, 3, v26
	v_cmp_ne_u32_e32 vcc, s95, v18
                                        ; implicit-def: $vgpr18
	s_and_saveexec_b64 s[50:51], vcc
	s_xor_b64 s[74:75], exec, s[50:51]
	s_cbranch_execz .LBB6_985
; %bb.984:                              ;   in Loop: Header=BB6_348 Depth=4
	v_ffbh_u32_e32 v20, v19
	v_min_u32_e32 v24, 32, v20
	v_and_b32_e32 v18, 0xff, v26
	v_mov_b32_e32 v27, v51
	v_subrev_u32_e32 v20, 29, v24
	v_bfe_u32 v18, v18, 2, 5
	v_lshlrev_b64 v[20:21], v20, v[26:27]
	v_sub_u32_e32 v21, 30, v24
	v_and_b32_e32 v20, 3, v20
	v_cmp_eq_u32_e32 vcc, 0, v18
	v_cndmask_b32_e32 v18, v18, v21, vcc
	v_cndmask_b32_e32 v19, v19, v20, vcc
	v_bfrev_b32_e32 v20, 28
	v_bfe_i32 v23, v26, 0, 16
	v_lshl_add_u32 v18, v18, 23, v20
	v_and_or_b32 v18, v23, s96, v18
	v_lshl_or_b32 v18, v19, 21, v18
                                        ; implicit-def: $vgpr19
.LBB6_985:                              ;   in Loop: Header=BB6_348 Depth=4
	s_andn2_saveexec_b64 s[74:75], s[74:75]
; %bb.986:                              ;   in Loop: Header=BB6_348 Depth=4
	v_cmp_lt_i16_e32 vcc, -1, v26
	v_mov_b32_e32 v18, 0xc7600000
	v_mov_b32_e32 v20, 0x47600000
	v_cndmask_b32_e32 v18, v18, v20, vcc
	v_cmp_eq_u32_e32 vcc, 0, v19
	v_mov_b32_e32 v19, 0x7f800001
	v_cndmask_b32_e32 v18, v19, v18, vcc
; %bb.987:                              ;   in Loop: Header=BB6_348 Depth=4
	s_or_b64 exec, exec, s[74:75]
.LBB6_988:                              ;   in Loop: Header=BB6_348 Depth=4
	s_or_b64 exec, exec, s[72:73]
.LBB6_989:                              ;   in Loop: Header=BB6_348 Depth=4
	s_or_b64 exec, exec, s[70:71]
	v_max_f32_e32 v18, v18, v18
	v_max_f32_e32 v1, v1, v1
	;; [unrolled: 1-line block ×3, first 2 shown]
	s_branch .LBB6_1008
.LBB6_990:                              ;   in Loop: Header=BB6_348 Depth=4
                                        ; implicit-def: $vgpr1
	s_cbranch_execz .LBB6_1008
; %bb.991:                              ;   in Loop: Header=BB6_348 Depth=4
	v_mov_b32_e32 v18, 0
	v_mov_b32_e32 v1, 0
	s_and_saveexec_b64 s[70:71], s[30:31]
	s_cbranch_execz .LBB6_999
; %bb.992:                              ;   in Loop: Header=BB6_348 Depth=4
	v_cmp_ne_u16_e32 vcc, s94, v58
	v_bfrev_b32_e32 v1, 1
	s_and_saveexec_b64 s[30:31], vcc
	s_cbranch_execz .LBB6_998
; %bb.993:                              ;   in Loop: Header=BB6_348 Depth=4
	v_and_b32_e32 v1, 0x7c, v0
	v_and_b32_e32 v19, 3, v0
	v_cmp_ne_u32_e32 vcc, s95, v1
                                        ; implicit-def: $vgpr1
	s_and_saveexec_b64 s[50:51], vcc
	s_xor_b64 s[72:73], exec, s[50:51]
	s_cbranch_execz .LBB6_995
; %bb.994:                              ;   in Loop: Header=BB6_348 Depth=4
	v_bfe_u32 v20, v0, 2, 5
	v_ffbh_u32_e32 v0, v19
	v_min_u32_e32 v23, 32, v0
	v_mov_b32_e32 v59, v51
	v_subrev_u32_e32 v0, 29, v23
	v_lshlrev_b64 v[0:1], v0, v[58:59]
	v_sub_u32_e32 v1, 30, v23
	v_and_b32_e32 v0, 3, v0
	v_cmp_eq_u32_e32 vcc, 0, v20
	v_cndmask_b32_e32 v1, v20, v1, vcc
	v_cndmask_b32_e32 v0, v19, v0, vcc
	v_bfrev_b32_e32 v19, 28
	v_bfe_i32 v21, v58, 0, 16
	v_lshl_add_u32 v1, v1, 23, v19
	v_and_or_b32 v1, v21, s96, v1
	v_lshl_or_b32 v1, v0, 21, v1
                                        ; implicit-def: $vgpr19
                                        ; implicit-def: $vgpr58
.LBB6_995:                              ;   in Loop: Header=BB6_348 Depth=4
	s_andn2_saveexec_b64 s[72:73], s[72:73]
; %bb.996:                              ;   in Loop: Header=BB6_348 Depth=4
	v_cmp_lt_i16_e32 vcc, -1, v58
	v_mov_b32_e32 v0, 0xc7600000
	v_mov_b32_e32 v1, 0x47600000
	v_cndmask_b32_e32 v0, v0, v1, vcc
	v_cmp_eq_u32_e32 vcc, 0, v19
	v_mov_b32_e32 v1, 0x7f800001
	v_cndmask_b32_e32 v1, v1, v0, vcc
; %bb.997:                              ;   in Loop: Header=BB6_348 Depth=4
	s_or_b64 exec, exec, s[72:73]
.LBB6_998:                              ;   in Loop: Header=BB6_348 Depth=4
	s_or_b64 exec, exec, s[30:31]
.LBB6_999:                              ;   in Loop: Header=BB6_348 Depth=4
	s_or_b64 exec, exec, s[70:71]
	v_cmp_ne_u16_e32 vcc, 0, v26
	s_and_saveexec_b64 s[30:31], vcc
	s_cbranch_execz .LBB6_1007
; %bb.1000:                             ;   in Loop: Header=BB6_348 Depth=4
	v_cmp_ne_u16_e32 vcc, s94, v26
	v_bfrev_b32_e32 v18, 1
	s_and_saveexec_b64 s[70:71], vcc
	s_cbranch_execz .LBB6_1006
; %bb.1001:                             ;   in Loop: Header=BB6_348 Depth=4
	v_and_b32_e32 v18, 0x7c, v26
	v_and_b32_e32 v0, 3, v26
	v_cmp_ne_u32_e32 vcc, s95, v18
                                        ; implicit-def: $vgpr18
	s_and_saveexec_b64 s[50:51], vcc
	s_xor_b64 s[72:73], exec, s[50:51]
	s_cbranch_execz .LBB6_1003
; %bb.1002:                             ;   in Loop: Header=BB6_348 Depth=4
	v_and_b32_e32 v18, 0xff, v26
	v_bfe_u32 v20, v18, 2, 5
	v_ffbh_u32_e32 v18, v0
	v_min_u32_e32 v23, 32, v18
	v_mov_b32_e32 v27, v51
	v_subrev_u32_e32 v18, 29, v23
	v_lshlrev_b64 v[18:19], v18, v[26:27]
	v_sub_u32_e32 v19, 30, v23
	v_and_b32_e32 v18, 3, v18
	v_cmp_eq_u32_e32 vcc, 0, v20
	v_cndmask_b32_e32 v19, v20, v19, vcc
	v_cndmask_b32_e32 v0, v0, v18, vcc
	v_bfrev_b32_e32 v18, 28
	v_bfe_i32 v21, v26, 0, 16
	v_lshl_add_u32 v18, v19, 23, v18
	v_and_or_b32 v18, v21, s96, v18
	v_lshl_or_b32 v18, v0, 21, v18
                                        ; implicit-def: $vgpr0
                                        ; implicit-def: $vgpr26
.LBB6_1003:                             ;   in Loop: Header=BB6_348 Depth=4
	s_andn2_saveexec_b64 s[72:73], s[72:73]
; %bb.1004:                             ;   in Loop: Header=BB6_348 Depth=4
	v_cmp_lt_i16_e32 vcc, -1, v26
	v_mov_b32_e32 v18, 0xc7600000
	v_mov_b32_e32 v19, 0x47600000
	v_cndmask_b32_e32 v18, v18, v19, vcc
	v_cmp_eq_u32_e32 vcc, 0, v0
	v_mov_b32_e32 v0, 0x7f800001
	v_cndmask_b32_e32 v18, v0, v18, vcc
; %bb.1005:                             ;   in Loop: Header=BB6_348 Depth=4
	s_or_b64 exec, exec, s[72:73]
.LBB6_1006:                             ;   in Loop: Header=BB6_348 Depth=4
	s_or_b64 exec, exec, s[70:71]
.LBB6_1007:                             ;   in Loop: Header=BB6_348 Depth=4
	s_or_b64 exec, exec, s[30:31]
	v_max_f32_e32 v0, v18, v18
	v_max_f32_e32 v1, v1, v1
	v_min_f32_e32 v1, v1, v0
.LBB6_1008:                             ;   in Loop: Header=BB6_348 Depth=4
	v_and_b32_sdwa v19, v1, s97 dst_sel:DWORD dst_unused:UNUSED_PAD src0_sel:BYTE_3 src1_sel:DWORD
	v_and_b32_e32 v20, 0x7f800000, v1
	v_mov_b32_e32 v21, v51
	v_and_b32_e32 v50, 0x7fffff, v1
	v_or_b32_e32 v18, 0x7b, v19
	v_cmp_ne_u64_e32 vcc, s[52:53], v[20:21]
	s_and_saveexec_b64 s[30:31], vcc
	s_xor_b64 s[70:71], exec, s[30:31]
	s_cbranch_execz .LBB6_1022
; %bb.1009:                             ;   in Loop: Header=BB6_348 Depth=4
	v_and_b32_e32 v20, 0x7fffffff, v1
	v_mov_b32_e32 v21, v51
	v_cmp_gt_u64_e32 vcc, s[54:55], v[20:21]
	s_and_saveexec_b64 s[30:31], vcc
	s_xor_b64 s[72:73], exec, s[30:31]
	s_cbranch_execz .LBB6_1021
; %bb.1010:                             ;   in Loop: Header=BB6_348 Depth=4
	v_cmp_ne_u32_e32 vcc, 0, v1
	v_mov_b32_e32 v18, 0
	s_and_saveexec_b64 s[74:75], vcc
	s_cbranch_execz .LBB6_1020
; %bb.1011:                             ;   in Loop: Header=BB6_348 Depth=4
	v_bfe_u32 v0, v1, 23, 8
	v_cmp_eq_u32_e32 vcc, 0, v0
	v_add_u32_e32 v1, 0xffffff81, v0
	v_cmp_gt_u32_e64 s[30:31], s38, v0
	v_sub_u32_e32 v0, 0x71, v0
	v_mov_b32_e32 v20, 0xffffff82
	v_cndmask_b32_e64 v0, 0, v0, s[30:31]
	v_cndmask_b32_e32 v23, v1, v20, vcc
	v_mov_b32_e32 v1, 0x70
	v_cndmask_b32_e32 v24, v0, v1, vcc
	v_add_u32_e32 v0, 21, v24
	v_or_b32_e32 v18, 0x800000, v50
	v_lshlrev_b64 v[0:1], v0, -1
	v_cndmask_b32_e32 v50, v18, v50, vcc
	v_not_b32_e32 v1, v1
	v_not_b32_e32 v0, v0
	v_add_u32_e32 v18, 20, v24
	v_and_b32_e32 v1, 0, v1
	v_and_b32_e32 v0, v50, v0
	v_lshlrev_b64 v[20:21], v18, 1
	v_cmp_eq_u64_e32 vcc, v[0:1], v[20:21]
	v_lshrrev_b64 v[0:1], v24, v[50:51]
	v_bfe_u32 v20, v0, 21, 1
	v_add_u32_e32 v20, -1, v20
	v_cndmask_b32_e32 v20, 0, v20, vcc
	v_add_u32_e32 v20, v20, v0
	v_lshrrev_b32_e32 v18, 23, v0
	v_and_b32_e32 v20, 0x1fffff, v20
	v_add3_u32 v21, v24, v23, v18
	v_add_co_u32_e32 v0, vcc, v20, v0
	v_add_u32_e32 v18, 14, v21
	v_addc_co_u32_e32 v1, vcc, 0, v1, vcc
	v_cmp_ne_u32_e32 vcc, 0, v18
                                        ; implicit-def: $vgpr20
	s_and_saveexec_b64 s[30:31], vcc
	s_xor_b64 s[30:31], exec, s[30:31]
; %bb.1012:                             ;   in Loop: Header=BB6_348 Depth=4
	v_add_u32_e32 v20, 15, v21
	v_cmp_lt_u64_e32 vcc, s[56:57], v[0:1]
	v_cndmask_b32_e32 v20, v18, v20, vcc
	v_cndmask_b32_e64 v18, 0, 1, vcc
	v_lshrrev_b64 v[0:1], v18, v[0:1]
; %bb.1013:                             ;   in Loop: Header=BB6_348 Depth=4
	s_andn2_saveexec_b64 vcc, s[30:31]
; %bb.1014:                             ;   in Loop: Header=BB6_348 Depth=4
	v_bfe_u32 v20, v0, 23, 1
; %bb.1015:                             ;   in Loop: Header=BB6_348 Depth=4
	s_or_b64 exec, exec, vcc
	v_lshrrev_b64 v[0:1], 21, v[0:1]
	v_cmp_gt_i32_e32 vcc, 32, v20
	v_cndmask_b32_e32 v1, 0, v1, vcc
	v_cndmask_b32_e32 v0, 3, v0, vcc
	v_cmp_ne_u32_e32 vcc, 0, v20
	v_cmp_ne_u64_e64 s[30:31], 0, v[0:1]
	s_or_b64 vcc, vcc, s[30:31]
                                        ; implicit-def: $vgpr18
	s_and_saveexec_b64 s[30:31], vcc
	s_xor_b64 vcc, exec, s[30:31]
; %bb.1016:                             ;   in Loop: Header=BB6_348 Depth=4
	v_min_i32_e32 v1, 31, v20
	v_lshl_or_b32 v1, v1, 2, v19
	v_and_or_b32 v18, v0, 3, v1
                                        ; implicit-def: $vgpr19
; %bb.1017:                             ;   in Loop: Header=BB6_348 Depth=4
	s_andn2_saveexec_b64 vcc, vcc
; %bb.1018:                             ;   in Loop: Header=BB6_348 Depth=4
	v_mov_b32_e32 v18, v19
; %bb.1019:                             ;   in Loop: Header=BB6_348 Depth=4
	s_or_b64 exec, exec, vcc
.LBB6_1020:                             ;   in Loop: Header=BB6_348 Depth=4
	s_or_b64 exec, exec, s[74:75]
.LBB6_1021:                             ;   in Loop: Header=BB6_348 Depth=4
	s_andn2_saveexec_b64 vcc, s[72:73]
	s_or_b64 exec, exec, vcc
                                        ; implicit-def: $vgpr1
.LBB6_1022:                             ;   in Loop: Header=BB6_348 Depth=4
	s_andn2_saveexec_b64 s[30:31], s[70:71]
; %bb.1023:                             ;   in Loop: Header=BB6_348 Depth=4
	v_or_b32_sdwa v0, v1, s39 dst_sel:DWORD dst_unused:UNUSED_PAD src0_sel:BYTE_3 src1_sel:DWORD
	v_cmp_eq_u64_e32 vcc, 0, v[50:51]
	v_cndmask_b32_e32 v18, v0, v18, vcc
; %bb.1024:                             ;   in Loop: Header=BB6_348 Depth=4
	s_or_b64 exec, exec, s[30:31]
	v_and_b32_e32 v0, 0xff, v22
	s_and_b64 vcc, exec, s[28:29]
	v_cmp_ne_u16_e64 s[30:31], 0, v22
	s_cbranch_vccnz .LBB6_1042
; %bb.1025:                             ;   in Loop: Header=BB6_348 Depth=4
	v_mov_b32_e32 v19, 0
	v_mov_b32_e32 v1, 0
	s_and_saveexec_b64 s[70:71], s[30:31]
	s_cbranch_execz .LBB6_1033
; %bb.1026:                             ;   in Loop: Header=BB6_348 Depth=4
	v_cmp_ne_u16_e32 vcc, s94, v22
	v_bfrev_b32_e32 v1, 1
	s_and_saveexec_b64 s[72:73], vcc
	s_cbranch_execz .LBB6_1032
; %bb.1027:                             ;   in Loop: Header=BB6_348 Depth=4
	v_and_b32_e32 v1, 0x7c, v0
	v_and_b32_e32 v20, 3, v0
	v_cmp_ne_u32_e32 vcc, s95, v1
                                        ; implicit-def: $vgpr1
	s_and_saveexec_b64 s[50:51], vcc
	s_xor_b64 s[74:75], exec, s[50:51]
	s_cbranch_execz .LBB6_1029
; %bb.1028:                             ;   in Loop: Header=BB6_348 Depth=4
	v_ffbh_u32_e32 v24, v20
	v_min_u32_e32 v26, 32, v24
	v_mov_b32_e32 v23, v51
	v_bfe_u32 v1, v0, 2, 5
	v_subrev_u32_e32 v24, 29, v26
	v_lshlrev_b64 v[24:25], v24, v[22:23]
	v_sub_u32_e32 v23, 30, v26
	v_cmp_eq_u32_e32 vcc, 0, v1
	v_cndmask_b32_e32 v1, v1, v23, vcc
	v_bfrev_b32_e32 v23, 28
	v_bfe_i32 v21, v22, 0, 16
	v_and_b32_e32 v24, 3, v24
	v_lshl_add_u32 v1, v1, 23, v23
	v_cndmask_b32_e32 v20, v20, v24, vcc
	v_and_or_b32 v1, v21, s96, v1
	v_lshl_or_b32 v1, v20, 21, v1
                                        ; implicit-def: $vgpr20
.LBB6_1029:                             ;   in Loop: Header=BB6_348 Depth=4
	s_andn2_saveexec_b64 s[74:75], s[74:75]
; %bb.1030:                             ;   in Loop: Header=BB6_348 Depth=4
	v_cmp_lt_i16_e32 vcc, -1, v22
	v_mov_b32_e32 v1, 0xc7600000
	v_mov_b32_e32 v21, 0x47600000
	v_cndmask_b32_e32 v1, v1, v21, vcc
	v_cmp_eq_u32_e32 vcc, 0, v20
	v_mov_b32_e32 v20, 0x7f800001
	v_cndmask_b32_e32 v1, v20, v1, vcc
; %bb.1031:                             ;   in Loop: Header=BB6_348 Depth=4
	s_or_b64 exec, exec, s[74:75]
.LBB6_1032:                             ;   in Loop: Header=BB6_348 Depth=4
	s_or_b64 exec, exec, s[72:73]
.LBB6_1033:                             ;   in Loop: Header=BB6_348 Depth=4
	s_or_b64 exec, exec, s[70:71]
	v_cmp_ne_u16_e32 vcc, 0, v48
	s_and_saveexec_b64 s[70:71], vcc
	s_cbranch_execz .LBB6_1041
; %bb.1034:                             ;   in Loop: Header=BB6_348 Depth=4
	v_cmp_ne_u16_e32 vcc, s94, v48
	v_bfrev_b32_e32 v19, 1
	s_and_saveexec_b64 s[72:73], vcc
	s_cbranch_execz .LBB6_1040
; %bb.1035:                             ;   in Loop: Header=BB6_348 Depth=4
	v_and_b32_e32 v19, 0x7c, v48
	v_and_b32_e32 v20, 3, v48
	v_cmp_ne_u32_e32 vcc, s95, v19
                                        ; implicit-def: $vgpr19
	s_and_saveexec_b64 s[50:51], vcc
	s_xor_b64 s[74:75], exec, s[50:51]
	s_cbranch_execz .LBB6_1037
; %bb.1036:                             ;   in Loop: Header=BB6_348 Depth=4
	v_and_b32_e32 v19, 0xff, v48
	v_ffbh_u32_e32 v23, v20
	v_bfe_u32 v19, v19, 2, 5
	v_min_u32_e32 v23, 32, v23
	v_mov_b32_e32 v49, v51
	v_subrev_u32_e32 v24, 29, v23
	v_sub_u32_e32 v23, 30, v23
	v_cmp_eq_u32_e32 vcc, 0, v19
	v_lshlrev_b64 v[24:25], v24, v[48:49]
	v_cndmask_b32_e32 v19, v19, v23, vcc
	v_bfrev_b32_e32 v23, 28
	v_bfe_i32 v21, v48, 0, 16
	v_and_b32_e32 v24, 3, v24
	v_lshl_add_u32 v19, v19, 23, v23
	v_cndmask_b32_e32 v20, v20, v24, vcc
	v_and_or_b32 v19, v21, s96, v19
	v_lshl_or_b32 v19, v20, 21, v19
                                        ; implicit-def: $vgpr20
.LBB6_1037:                             ;   in Loop: Header=BB6_348 Depth=4
	s_andn2_saveexec_b64 s[74:75], s[74:75]
; %bb.1038:                             ;   in Loop: Header=BB6_348 Depth=4
	v_cmp_lt_i16_e32 vcc, -1, v48
	v_mov_b32_e32 v19, 0xc7600000
	v_mov_b32_e32 v21, 0x47600000
	v_cndmask_b32_e32 v19, v19, v21, vcc
	v_cmp_eq_u32_e32 vcc, 0, v20
	v_mov_b32_e32 v20, 0x7f800001
	v_cndmask_b32_e32 v19, v20, v19, vcc
; %bb.1039:                             ;   in Loop: Header=BB6_348 Depth=4
	s_or_b64 exec, exec, s[74:75]
.LBB6_1040:                             ;   in Loop: Header=BB6_348 Depth=4
	s_or_b64 exec, exec, s[72:73]
.LBB6_1041:                             ;   in Loop: Header=BB6_348 Depth=4
	s_or_b64 exec, exec, s[70:71]
	v_max_f32_e32 v19, v19, v19
	v_max_f32_e32 v1, v1, v1
	;; [unrolled: 1-line block ×3, first 2 shown]
	s_branch .LBB6_1060
.LBB6_1042:                             ;   in Loop: Header=BB6_348 Depth=4
                                        ; implicit-def: $vgpr1
	s_cbranch_execz .LBB6_1060
; %bb.1043:                             ;   in Loop: Header=BB6_348 Depth=4
	v_mov_b32_e32 v19, 0
	v_mov_b32_e32 v1, 0
	s_and_saveexec_b64 s[70:71], s[30:31]
	s_cbranch_execz .LBB6_1051
; %bb.1044:                             ;   in Loop: Header=BB6_348 Depth=4
	v_cmp_ne_u16_e32 vcc, s94, v22
	v_bfrev_b32_e32 v1, 1
	s_and_saveexec_b64 s[30:31], vcc
	s_cbranch_execz .LBB6_1050
; %bb.1045:                             ;   in Loop: Header=BB6_348 Depth=4
	v_and_b32_e32 v1, 0x7c, v0
	v_and_b32_e32 v20, 3, v0
	v_cmp_ne_u32_e32 vcc, s95, v1
                                        ; implicit-def: $vgpr1
	s_and_saveexec_b64 s[50:51], vcc
	s_xor_b64 s[72:73], exec, s[50:51]
	s_cbranch_execz .LBB6_1047
; %bb.1046:                             ;   in Loop: Header=BB6_348 Depth=4
	v_bfe_u32 v21, v0, 2, 5
	v_ffbh_u32_e32 v0, v20
	v_min_u32_e32 v25, 32, v0
	v_mov_b32_e32 v23, v51
	v_subrev_u32_e32 v0, 29, v25
	v_lshlrev_b64 v[0:1], v0, v[22:23]
	v_sub_u32_e32 v1, 30, v25
	v_and_b32_e32 v0, 3, v0
	v_cmp_eq_u32_e32 vcc, 0, v21
	v_cndmask_b32_e32 v1, v21, v1, vcc
	v_cndmask_b32_e32 v0, v20, v0, vcc
	v_bfrev_b32_e32 v20, 28
	v_bfe_i32 v24, v22, 0, 16
	v_lshl_add_u32 v1, v1, 23, v20
	v_and_or_b32 v1, v24, s96, v1
	v_lshl_or_b32 v1, v0, 21, v1
                                        ; implicit-def: $vgpr20
                                        ; implicit-def: $vgpr22
.LBB6_1047:                             ;   in Loop: Header=BB6_348 Depth=4
	s_andn2_saveexec_b64 s[72:73], s[72:73]
; %bb.1048:                             ;   in Loop: Header=BB6_348 Depth=4
	v_cmp_lt_i16_e32 vcc, -1, v22
	v_mov_b32_e32 v0, 0xc7600000
	v_mov_b32_e32 v1, 0x47600000
	v_cndmask_b32_e32 v0, v0, v1, vcc
	v_cmp_eq_u32_e32 vcc, 0, v20
	v_mov_b32_e32 v1, 0x7f800001
	v_cndmask_b32_e32 v1, v1, v0, vcc
; %bb.1049:                             ;   in Loop: Header=BB6_348 Depth=4
	s_or_b64 exec, exec, s[72:73]
.LBB6_1050:                             ;   in Loop: Header=BB6_348 Depth=4
	s_or_b64 exec, exec, s[30:31]
.LBB6_1051:                             ;   in Loop: Header=BB6_348 Depth=4
	s_or_b64 exec, exec, s[70:71]
	v_cmp_ne_u16_e32 vcc, 0, v48
	s_and_saveexec_b64 s[30:31], vcc
	s_cbranch_execz .LBB6_1059
; %bb.1052:                             ;   in Loop: Header=BB6_348 Depth=4
	v_cmp_ne_u16_e32 vcc, s94, v48
	v_bfrev_b32_e32 v19, 1
	s_and_saveexec_b64 s[70:71], vcc
	s_cbranch_execz .LBB6_1058
; %bb.1053:                             ;   in Loop: Header=BB6_348 Depth=4
	v_and_b32_e32 v19, 0x7c, v48
	v_and_b32_e32 v0, 3, v48
	v_cmp_ne_u32_e32 vcc, s95, v19
                                        ; implicit-def: $vgpr19
	s_and_saveexec_b64 s[50:51], vcc
	s_xor_b64 s[72:73], exec, s[50:51]
	s_cbranch_execz .LBB6_1055
; %bb.1054:                             ;   in Loop: Header=BB6_348 Depth=4
	v_ffbh_u32_e32 v20, v0
	v_min_u32_e32 v23, 32, v20
	v_and_b32_e32 v19, 0xff, v48
	v_mov_b32_e32 v49, v51
	v_subrev_u32_e32 v20, 29, v23
	v_bfe_u32 v19, v19, 2, 5
	v_lshlrev_b64 v[20:21], v20, v[48:49]
	v_sub_u32_e32 v21, 30, v23
	v_and_b32_e32 v20, 3, v20
	v_cmp_eq_u32_e32 vcc, 0, v19
	v_cndmask_b32_e32 v19, v19, v21, vcc
	v_cndmask_b32_e32 v0, v0, v20, vcc
	v_bfrev_b32_e32 v20, 28
	v_bfe_i32 v22, v48, 0, 16
	v_lshl_add_u32 v19, v19, 23, v20
	v_and_or_b32 v19, v22, s96, v19
	v_lshl_or_b32 v19, v0, 21, v19
                                        ; implicit-def: $vgpr0
                                        ; implicit-def: $vgpr48
.LBB6_1055:                             ;   in Loop: Header=BB6_348 Depth=4
	s_andn2_saveexec_b64 s[72:73], s[72:73]
; %bb.1056:                             ;   in Loop: Header=BB6_348 Depth=4
	v_cmp_lt_i16_e32 vcc, -1, v48
	v_mov_b32_e32 v19, 0xc7600000
	v_mov_b32_e32 v20, 0x47600000
	v_cndmask_b32_e32 v19, v19, v20, vcc
	v_cmp_eq_u32_e32 vcc, 0, v0
	v_mov_b32_e32 v0, 0x7f800001
	v_cndmask_b32_e32 v19, v0, v19, vcc
; %bb.1057:                             ;   in Loop: Header=BB6_348 Depth=4
	s_or_b64 exec, exec, s[72:73]
.LBB6_1058:                             ;   in Loop: Header=BB6_348 Depth=4
	s_or_b64 exec, exec, s[70:71]
.LBB6_1059:                             ;   in Loop: Header=BB6_348 Depth=4
	s_or_b64 exec, exec, s[30:31]
	v_max_f32_e32 v0, v19, v19
	v_max_f32_e32 v1, v1, v1
	v_min_f32_e32 v1, v1, v0
.LBB6_1060:                             ;   in Loop: Header=BB6_348 Depth=4
	v_and_b32_sdwa v20, v1, s97 dst_sel:DWORD dst_unused:UNUSED_PAD src0_sel:BYTE_3 src1_sel:DWORD
	v_and_b32_e32 v22, 0x7f800000, v1
	v_mov_b32_e32 v23, v51
	v_and_b32_e32 v50, 0x7fffff, v1
	v_or_b32_e32 v19, 0x7b, v20
	v_cmp_ne_u64_e32 vcc, s[52:53], v[22:23]
	s_and_saveexec_b64 s[30:31], vcc
	s_xor_b64 s[70:71], exec, s[30:31]
	s_cbranch_execz .LBB6_1074
; %bb.1061:                             ;   in Loop: Header=BB6_348 Depth=4
	v_and_b32_e32 v22, 0x7fffffff, v1
	v_mov_b32_e32 v23, v51
	v_cmp_gt_u64_e32 vcc, s[54:55], v[22:23]
	s_and_saveexec_b64 s[30:31], vcc
	s_xor_b64 s[72:73], exec, s[30:31]
	s_cbranch_execz .LBB6_1073
; %bb.1062:                             ;   in Loop: Header=BB6_348 Depth=4
	v_cmp_ne_u32_e32 vcc, 0, v1
	v_mov_b32_e32 v19, 0
	s_and_saveexec_b64 s[74:75], vcc
	s_cbranch_execz .LBB6_1072
; %bb.1063:                             ;   in Loop: Header=BB6_348 Depth=4
	v_bfe_u32 v0, v1, 23, 8
	v_cmp_eq_u32_e32 vcc, 0, v0
	v_add_u32_e32 v1, 0xffffff81, v0
	v_cmp_gt_u32_e64 s[30:31], s38, v0
	v_sub_u32_e32 v0, 0x71, v0
	v_mov_b32_e32 v21, 0xffffff82
	v_cndmask_b32_e64 v0, 0, v0, s[30:31]
	v_cndmask_b32_e32 v21, v1, v21, vcc
	v_mov_b32_e32 v1, 0x70
	v_cndmask_b32_e32 v24, v0, v1, vcc
	v_add_u32_e32 v0, 21, v24
	v_or_b32_e32 v19, 0x800000, v50
	v_lshlrev_b64 v[0:1], v0, -1
	v_cndmask_b32_e32 v50, v19, v50, vcc
	v_not_b32_e32 v1, v1
	v_not_b32_e32 v0, v0
	v_add_u32_e32 v19, 20, v24
	v_and_b32_e32 v1, 0, v1
	v_and_b32_e32 v0, v50, v0
	v_lshlrev_b64 v[22:23], v19, 1
	v_cmp_eq_u64_e32 vcc, v[0:1], v[22:23]
	v_lshrrev_b64 v[0:1], v24, v[50:51]
	v_lshrrev_b32_e32 v19, 23, v0
	v_add3_u32 v22, v24, v21, v19
	v_bfe_u32 v21, v0, 21, 1
	v_add_u32_e32 v21, -1, v21
	v_cndmask_b32_e32 v21, 0, v21, vcc
	v_add_u32_e32 v21, v21, v0
	v_and_b32_e32 v21, 0x1fffff, v21
	v_add_co_u32_e32 v0, vcc, v21, v0
	v_add_u32_e32 v19, 14, v22
	v_addc_co_u32_e32 v1, vcc, 0, v1, vcc
	v_cmp_ne_u32_e32 vcc, 0, v19
                                        ; implicit-def: $vgpr21
	s_and_saveexec_b64 s[30:31], vcc
	s_xor_b64 s[30:31], exec, s[30:31]
; %bb.1064:                             ;   in Loop: Header=BB6_348 Depth=4
	v_add_u32_e32 v21, 15, v22
	v_cmp_lt_u64_e32 vcc, s[56:57], v[0:1]
	v_cndmask_b32_e32 v21, v19, v21, vcc
	v_cndmask_b32_e64 v19, 0, 1, vcc
	v_lshrrev_b64 v[0:1], v19, v[0:1]
; %bb.1065:                             ;   in Loop: Header=BB6_348 Depth=4
	s_andn2_saveexec_b64 vcc, s[30:31]
; %bb.1066:                             ;   in Loop: Header=BB6_348 Depth=4
	v_bfe_u32 v21, v0, 23, 1
; %bb.1067:                             ;   in Loop: Header=BB6_348 Depth=4
	s_or_b64 exec, exec, vcc
	v_lshrrev_b64 v[0:1], 21, v[0:1]
	v_cmp_gt_i32_e32 vcc, 32, v21
	v_cndmask_b32_e32 v1, 0, v1, vcc
	v_cndmask_b32_e32 v0, 3, v0, vcc
	v_cmp_ne_u32_e32 vcc, 0, v21
	v_cmp_ne_u64_e64 s[30:31], 0, v[0:1]
	s_or_b64 vcc, vcc, s[30:31]
                                        ; implicit-def: $vgpr19
	s_and_saveexec_b64 s[30:31], vcc
	s_xor_b64 vcc, exec, s[30:31]
; %bb.1068:                             ;   in Loop: Header=BB6_348 Depth=4
	v_min_i32_e32 v1, 31, v21
	v_lshl_or_b32 v1, v1, 2, v20
	v_and_or_b32 v19, v0, 3, v1
                                        ; implicit-def: $vgpr20
; %bb.1069:                             ;   in Loop: Header=BB6_348 Depth=4
	s_andn2_saveexec_b64 vcc, vcc
; %bb.1070:                             ;   in Loop: Header=BB6_348 Depth=4
	v_mov_b32_e32 v19, v20
; %bb.1071:                             ;   in Loop: Header=BB6_348 Depth=4
	s_or_b64 exec, exec, vcc
.LBB6_1072:                             ;   in Loop: Header=BB6_348 Depth=4
	s_or_b64 exec, exec, s[74:75]
.LBB6_1073:                             ;   in Loop: Header=BB6_348 Depth=4
	s_andn2_saveexec_b64 vcc, s[72:73]
	s_or_b64 exec, exec, vcc
                                        ; implicit-def: $vgpr1
.LBB6_1074:                             ;   in Loop: Header=BB6_348 Depth=4
	s_andn2_saveexec_b64 s[30:31], s[70:71]
; %bb.1075:                             ;   in Loop: Header=BB6_348 Depth=4
	v_or_b32_sdwa v0, v1, s39 dst_sel:DWORD dst_unused:UNUSED_PAD src0_sel:BYTE_3 src1_sel:DWORD
	v_cmp_eq_u64_e32 vcc, 0, v[50:51]
	v_cndmask_b32_e32 v19, v0, v19, vcc
; %bb.1076:                             ;   in Loop: Header=BB6_348 Depth=4
	s_or_b64 exec, exec, s[30:31]
	v_and_b32_e32 v0, 0xff, v36
	s_and_b64 vcc, exec, s[28:29]
	v_cmp_ne_u16_e64 s[30:31], 0, v36
	s_cbranch_vccnz .LBB6_1094
; %bb.1077:                             ;   in Loop: Header=BB6_348 Depth=4
	v_mov_b32_e32 v20, 0
	v_mov_b32_e32 v1, 0
	s_and_saveexec_b64 s[70:71], s[30:31]
	s_cbranch_execz .LBB6_1085
; %bb.1078:                             ;   in Loop: Header=BB6_348 Depth=4
	v_cmp_ne_u16_e32 vcc, s94, v36
	v_bfrev_b32_e32 v1, 1
	s_and_saveexec_b64 s[72:73], vcc
	s_cbranch_execz .LBB6_1084
; %bb.1079:                             ;   in Loop: Header=BB6_348 Depth=4
	v_and_b32_e32 v1, 0x7c, v0
	v_and_b32_e32 v21, 3, v0
	v_cmp_ne_u32_e32 vcc, s95, v1
                                        ; implicit-def: $vgpr1
	s_and_saveexec_b64 s[50:51], vcc
	s_xor_b64 s[74:75], exec, s[50:51]
	s_cbranch_execz .LBB6_1081
; %bb.1080:                             ;   in Loop: Header=BB6_348 Depth=4
	v_ffbh_u32_e32 v22, v21
	v_min_u32_e32 v25, 32, v22
	v_mov_b32_e32 v37, v51
	v_subrev_u32_e32 v22, 29, v25
	v_bfe_u32 v1, v0, 2, 5
	v_lshlrev_b64 v[22:23], v22, v[36:37]
	v_sub_u32_e32 v23, 30, v25
	v_and_b32_e32 v22, 3, v22
	v_cmp_eq_u32_e32 vcc, 0, v1
	v_cndmask_b32_e32 v1, v1, v23, vcc
	v_cndmask_b32_e32 v21, v21, v22, vcc
	v_bfrev_b32_e32 v22, 28
	v_bfe_i32 v24, v36, 0, 16
	v_lshl_add_u32 v1, v1, 23, v22
	v_and_or_b32 v1, v24, s96, v1
	v_lshl_or_b32 v1, v21, 21, v1
                                        ; implicit-def: $vgpr21
.LBB6_1081:                             ;   in Loop: Header=BB6_348 Depth=4
	s_andn2_saveexec_b64 s[74:75], s[74:75]
; %bb.1082:                             ;   in Loop: Header=BB6_348 Depth=4
	v_cmp_lt_i16_e32 vcc, -1, v36
	v_mov_b32_e32 v1, 0xc7600000
	v_mov_b32_e32 v22, 0x47600000
	v_cndmask_b32_e32 v1, v1, v22, vcc
	v_cmp_eq_u32_e32 vcc, 0, v21
	v_mov_b32_e32 v21, 0x7f800001
	v_cndmask_b32_e32 v1, v21, v1, vcc
; %bb.1083:                             ;   in Loop: Header=BB6_348 Depth=4
	s_or_b64 exec, exec, s[74:75]
.LBB6_1084:                             ;   in Loop: Header=BB6_348 Depth=4
	s_or_b64 exec, exec, s[72:73]
.LBB6_1085:                             ;   in Loop: Header=BB6_348 Depth=4
	s_or_b64 exec, exec, s[70:71]
	v_cmp_ne_u16_e32 vcc, 0, v34
	s_and_saveexec_b64 s[70:71], vcc
	s_cbranch_execz .LBB6_1093
; %bb.1086:                             ;   in Loop: Header=BB6_348 Depth=4
	v_cmp_ne_u16_e32 vcc, s94, v34
	v_bfrev_b32_e32 v20, 1
	s_and_saveexec_b64 s[72:73], vcc
	s_cbranch_execz .LBB6_1092
; %bb.1087:                             ;   in Loop: Header=BB6_348 Depth=4
	v_and_b32_e32 v20, 0x7c, v34
	v_and_b32_e32 v21, 3, v34
	v_cmp_ne_u32_e32 vcc, s95, v20
                                        ; implicit-def: $vgpr20
	s_and_saveexec_b64 s[50:51], vcc
	s_xor_b64 s[74:75], exec, s[50:51]
	s_cbranch_execz .LBB6_1089
; %bb.1088:                             ;   in Loop: Header=BB6_348 Depth=4
	v_ffbh_u32_e32 v22, v21
	v_min_u32_e32 v25, 32, v22
	v_and_b32_e32 v20, 0xff, v34
	v_mov_b32_e32 v35, v51
	v_subrev_u32_e32 v22, 29, v25
	v_bfe_u32 v20, v20, 2, 5
	v_lshlrev_b64 v[22:23], v22, v[34:35]
	v_sub_u32_e32 v23, 30, v25
	v_and_b32_e32 v22, 3, v22
	v_cmp_eq_u32_e32 vcc, 0, v20
	v_cndmask_b32_e32 v20, v20, v23, vcc
	v_cndmask_b32_e32 v21, v21, v22, vcc
	v_bfrev_b32_e32 v22, 28
	v_bfe_i32 v24, v34, 0, 16
	v_lshl_add_u32 v20, v20, 23, v22
	v_and_or_b32 v20, v24, s96, v20
	v_lshl_or_b32 v20, v21, 21, v20
                                        ; implicit-def: $vgpr21
.LBB6_1089:                             ;   in Loop: Header=BB6_348 Depth=4
	s_andn2_saveexec_b64 s[74:75], s[74:75]
; %bb.1090:                             ;   in Loop: Header=BB6_348 Depth=4
	v_cmp_lt_i16_e32 vcc, -1, v34
	v_mov_b32_e32 v20, 0xc7600000
	v_mov_b32_e32 v22, 0x47600000
	v_cndmask_b32_e32 v20, v20, v22, vcc
	v_cmp_eq_u32_e32 vcc, 0, v21
	v_mov_b32_e32 v21, 0x7f800001
	v_cndmask_b32_e32 v20, v21, v20, vcc
; %bb.1091:                             ;   in Loop: Header=BB6_348 Depth=4
	s_or_b64 exec, exec, s[74:75]
.LBB6_1092:                             ;   in Loop: Header=BB6_348 Depth=4
	s_or_b64 exec, exec, s[72:73]
.LBB6_1093:                             ;   in Loop: Header=BB6_348 Depth=4
	s_or_b64 exec, exec, s[70:71]
	v_max_f32_e32 v20, v20, v20
	v_max_f32_e32 v1, v1, v1
	;; [unrolled: 1-line block ×3, first 2 shown]
	s_branch .LBB6_1112
.LBB6_1094:                             ;   in Loop: Header=BB6_348 Depth=4
                                        ; implicit-def: $vgpr1
	s_cbranch_execz .LBB6_1112
; %bb.1095:                             ;   in Loop: Header=BB6_348 Depth=4
	v_mov_b32_e32 v20, 0
	v_mov_b32_e32 v1, 0
	s_and_saveexec_b64 s[70:71], s[30:31]
	s_cbranch_execz .LBB6_1103
; %bb.1096:                             ;   in Loop: Header=BB6_348 Depth=4
	v_cmp_ne_u16_e32 vcc, s94, v36
	v_bfrev_b32_e32 v1, 1
	s_and_saveexec_b64 s[30:31], vcc
	s_cbranch_execz .LBB6_1102
; %bb.1097:                             ;   in Loop: Header=BB6_348 Depth=4
	v_and_b32_e32 v1, 0x7c, v0
	v_and_b32_e32 v21, 3, v0
	v_cmp_ne_u32_e32 vcc, s95, v1
                                        ; implicit-def: $vgpr1
	s_and_saveexec_b64 s[50:51], vcc
	s_xor_b64 s[72:73], exec, s[50:51]
	s_cbranch_execz .LBB6_1099
; %bb.1098:                             ;   in Loop: Header=BB6_348 Depth=4
	v_bfe_u32 v22, v0, 2, 5
	v_ffbh_u32_e32 v0, v21
	v_min_u32_e32 v24, 32, v0
	v_mov_b32_e32 v37, v51
	v_subrev_u32_e32 v0, 29, v24
	v_lshlrev_b64 v[0:1], v0, v[36:37]
	v_sub_u32_e32 v1, 30, v24
	v_and_b32_e32 v0, 3, v0
	v_cmp_eq_u32_e32 vcc, 0, v22
	v_cndmask_b32_e32 v1, v22, v1, vcc
	v_cndmask_b32_e32 v0, v21, v0, vcc
	v_bfrev_b32_e32 v21, 28
	v_bfe_i32 v23, v36, 0, 16
	v_lshl_add_u32 v1, v1, 23, v21
	v_and_or_b32 v1, v23, s96, v1
	v_lshl_or_b32 v1, v0, 21, v1
                                        ; implicit-def: $vgpr21
                                        ; implicit-def: $vgpr36
.LBB6_1099:                             ;   in Loop: Header=BB6_348 Depth=4
	s_andn2_saveexec_b64 s[72:73], s[72:73]
; %bb.1100:                             ;   in Loop: Header=BB6_348 Depth=4
	v_cmp_lt_i16_e32 vcc, -1, v36
	v_mov_b32_e32 v0, 0xc7600000
	v_mov_b32_e32 v1, 0x47600000
	v_cndmask_b32_e32 v0, v0, v1, vcc
	v_cmp_eq_u32_e32 vcc, 0, v21
	v_mov_b32_e32 v1, 0x7f800001
	v_cndmask_b32_e32 v1, v1, v0, vcc
; %bb.1101:                             ;   in Loop: Header=BB6_348 Depth=4
	s_or_b64 exec, exec, s[72:73]
.LBB6_1102:                             ;   in Loop: Header=BB6_348 Depth=4
	s_or_b64 exec, exec, s[30:31]
.LBB6_1103:                             ;   in Loop: Header=BB6_348 Depth=4
	s_or_b64 exec, exec, s[70:71]
	v_cmp_ne_u16_e32 vcc, 0, v34
	s_and_saveexec_b64 s[30:31], vcc
	s_cbranch_execz .LBB6_1111
; %bb.1104:                             ;   in Loop: Header=BB6_348 Depth=4
	v_cmp_ne_u16_e32 vcc, s94, v34
	v_bfrev_b32_e32 v20, 1
	s_and_saveexec_b64 s[70:71], vcc
	s_cbranch_execz .LBB6_1110
; %bb.1105:                             ;   in Loop: Header=BB6_348 Depth=4
	v_and_b32_e32 v20, 0x7c, v34
	v_and_b32_e32 v0, 3, v34
	v_cmp_ne_u32_e32 vcc, s95, v20
                                        ; implicit-def: $vgpr20
	s_and_saveexec_b64 s[50:51], vcc
	s_xor_b64 s[72:73], exec, s[50:51]
	s_cbranch_execz .LBB6_1107
; %bb.1106:                             ;   in Loop: Header=BB6_348 Depth=4
	v_and_b32_e32 v20, 0xff, v34
	v_bfe_u32 v22, v20, 2, 5
	v_ffbh_u32_e32 v20, v0
	v_min_u32_e32 v24, 32, v20
	v_mov_b32_e32 v35, v51
	v_subrev_u32_e32 v20, 29, v24
	v_lshlrev_b64 v[20:21], v20, v[34:35]
	v_sub_u32_e32 v21, 30, v24
	v_and_b32_e32 v20, 3, v20
	v_cmp_eq_u32_e32 vcc, 0, v22
	v_cndmask_b32_e32 v21, v22, v21, vcc
	v_cndmask_b32_e32 v0, v0, v20, vcc
	v_bfrev_b32_e32 v20, 28
	v_bfe_i32 v23, v34, 0, 16
	v_lshl_add_u32 v20, v21, 23, v20
	v_and_or_b32 v20, v23, s96, v20
	v_lshl_or_b32 v20, v0, 21, v20
                                        ; implicit-def: $vgpr0
                                        ; implicit-def: $vgpr34
.LBB6_1107:                             ;   in Loop: Header=BB6_348 Depth=4
	s_andn2_saveexec_b64 s[72:73], s[72:73]
; %bb.1108:                             ;   in Loop: Header=BB6_348 Depth=4
	v_cmp_lt_i16_e32 vcc, -1, v34
	v_mov_b32_e32 v20, 0xc7600000
	v_mov_b32_e32 v21, 0x47600000
	v_cndmask_b32_e32 v20, v20, v21, vcc
	v_cmp_eq_u32_e32 vcc, 0, v0
	v_mov_b32_e32 v0, 0x7f800001
	v_cndmask_b32_e32 v20, v0, v20, vcc
; %bb.1109:                             ;   in Loop: Header=BB6_348 Depth=4
	s_or_b64 exec, exec, s[72:73]
.LBB6_1110:                             ;   in Loop: Header=BB6_348 Depth=4
	s_or_b64 exec, exec, s[70:71]
.LBB6_1111:                             ;   in Loop: Header=BB6_348 Depth=4
	s_or_b64 exec, exec, s[30:31]
	v_max_f32_e32 v0, v20, v20
	v_max_f32_e32 v1, v1, v1
	v_min_f32_e32 v1, v1, v0
.LBB6_1112:                             ;   in Loop: Header=BB6_348 Depth=4
	v_and_b32_sdwa v21, v1, s97 dst_sel:DWORD dst_unused:UNUSED_PAD src0_sel:BYTE_3 src1_sel:DWORD
	v_and_b32_e32 v22, 0x7f800000, v1
	v_mov_b32_e32 v23, v51
	v_and_b32_e32 v50, 0x7fffff, v1
	v_or_b32_e32 v20, 0x7b, v21
	v_cmp_ne_u64_e32 vcc, s[52:53], v[22:23]
	s_and_saveexec_b64 s[30:31], vcc
	s_xor_b64 s[70:71], exec, s[30:31]
	s_cbranch_execz .LBB6_1126
; %bb.1113:                             ;   in Loop: Header=BB6_348 Depth=4
	v_and_b32_e32 v22, 0x7fffffff, v1
	v_mov_b32_e32 v23, v51
	v_cmp_gt_u64_e32 vcc, s[54:55], v[22:23]
	s_and_saveexec_b64 s[30:31], vcc
	s_xor_b64 s[72:73], exec, s[30:31]
	s_cbranch_execz .LBB6_1125
; %bb.1114:                             ;   in Loop: Header=BB6_348 Depth=4
	v_cmp_ne_u32_e32 vcc, 0, v1
	v_mov_b32_e32 v20, 0
	s_and_saveexec_b64 s[74:75], vcc
	s_cbranch_execz .LBB6_1124
; %bb.1115:                             ;   in Loop: Header=BB6_348 Depth=4
	v_bfe_u32 v0, v1, 23, 8
	v_cmp_eq_u32_e32 vcc, 0, v0
	v_add_u32_e32 v1, 0xffffff81, v0
	v_cmp_gt_u32_e64 s[30:31], s38, v0
	v_sub_u32_e32 v0, 0x71, v0
	v_mov_b32_e32 v22, 0xffffff82
	v_cndmask_b32_e64 v0, 0, v0, s[30:31]
	v_cndmask_b32_e32 v24, v1, v22, vcc
	v_mov_b32_e32 v1, 0x70
	v_cndmask_b32_e32 v25, v0, v1, vcc
	v_add_u32_e32 v0, 21, v25
	v_or_b32_e32 v20, 0x800000, v50
	v_lshlrev_b64 v[0:1], v0, -1
	v_cndmask_b32_e32 v50, v20, v50, vcc
	v_not_b32_e32 v1, v1
	v_not_b32_e32 v0, v0
	v_add_u32_e32 v20, 20, v25
	v_and_b32_e32 v1, 0, v1
	v_and_b32_e32 v0, v50, v0
	v_lshlrev_b64 v[22:23], v20, 1
	v_cmp_eq_u64_e32 vcc, v[0:1], v[22:23]
	v_lshrrev_b64 v[0:1], v25, v[50:51]
	v_bfe_u32 v22, v0, 21, 1
	v_add_u32_e32 v22, -1, v22
	v_cndmask_b32_e32 v22, 0, v22, vcc
	v_add_u32_e32 v22, v22, v0
	v_lshrrev_b32_e32 v20, 23, v0
	v_and_b32_e32 v22, 0x1fffff, v22
	v_add3_u32 v23, v25, v24, v20
	v_add_co_u32_e32 v0, vcc, v22, v0
	v_add_u32_e32 v20, 14, v23
	v_addc_co_u32_e32 v1, vcc, 0, v1, vcc
	v_cmp_ne_u32_e32 vcc, 0, v20
                                        ; implicit-def: $vgpr22
	s_and_saveexec_b64 s[30:31], vcc
	s_xor_b64 s[30:31], exec, s[30:31]
; %bb.1116:                             ;   in Loop: Header=BB6_348 Depth=4
	v_add_u32_e32 v22, 15, v23
	v_cmp_lt_u64_e32 vcc, s[56:57], v[0:1]
	v_cndmask_b32_e32 v22, v20, v22, vcc
	v_cndmask_b32_e64 v20, 0, 1, vcc
	v_lshrrev_b64 v[0:1], v20, v[0:1]
; %bb.1117:                             ;   in Loop: Header=BB6_348 Depth=4
	s_andn2_saveexec_b64 vcc, s[30:31]
; %bb.1118:                             ;   in Loop: Header=BB6_348 Depth=4
	v_bfe_u32 v22, v0, 23, 1
; %bb.1119:                             ;   in Loop: Header=BB6_348 Depth=4
	s_or_b64 exec, exec, vcc
	v_lshrrev_b64 v[0:1], 21, v[0:1]
	v_cmp_gt_i32_e32 vcc, 32, v22
	v_cndmask_b32_e32 v1, 0, v1, vcc
	v_cndmask_b32_e32 v0, 3, v0, vcc
	v_cmp_ne_u32_e32 vcc, 0, v22
	v_cmp_ne_u64_e64 s[30:31], 0, v[0:1]
	s_or_b64 vcc, vcc, s[30:31]
                                        ; implicit-def: $vgpr20
	s_and_saveexec_b64 s[30:31], vcc
	s_xor_b64 vcc, exec, s[30:31]
; %bb.1120:                             ;   in Loop: Header=BB6_348 Depth=4
	v_min_i32_e32 v1, 31, v22
	v_lshl_or_b32 v1, v1, 2, v21
	v_and_or_b32 v20, v0, 3, v1
                                        ; implicit-def: $vgpr21
; %bb.1121:                             ;   in Loop: Header=BB6_348 Depth=4
	s_andn2_saveexec_b64 vcc, vcc
; %bb.1122:                             ;   in Loop: Header=BB6_348 Depth=4
	v_mov_b32_e32 v20, v21
; %bb.1123:                             ;   in Loop: Header=BB6_348 Depth=4
	s_or_b64 exec, exec, vcc
.LBB6_1124:                             ;   in Loop: Header=BB6_348 Depth=4
	s_or_b64 exec, exec, s[74:75]
.LBB6_1125:                             ;   in Loop: Header=BB6_348 Depth=4
	s_andn2_saveexec_b64 vcc, s[72:73]
	s_or_b64 exec, exec, vcc
                                        ; implicit-def: $vgpr1
.LBB6_1126:                             ;   in Loop: Header=BB6_348 Depth=4
	s_andn2_saveexec_b64 s[30:31], s[70:71]
; %bb.1127:                             ;   in Loop: Header=BB6_348 Depth=4
	v_or_b32_sdwa v0, v1, s39 dst_sel:DWORD dst_unused:UNUSED_PAD src0_sel:BYTE_3 src1_sel:DWORD
	v_cmp_eq_u64_e32 vcc, 0, v[50:51]
	v_cndmask_b32_e32 v20, v0, v20, vcc
; %bb.1128:                             ;   in Loop: Header=BB6_348 Depth=4
	s_or_b64 exec, exec, s[30:31]
	v_and_b32_e32 v0, 0xff, v30
	s_and_b64 vcc, exec, s[28:29]
	v_cmp_ne_u16_e64 s[28:29], 0, v30
	s_cbranch_vccnz .LBB6_1146
; %bb.1129:                             ;   in Loop: Header=BB6_348 Depth=4
	v_mov_b32_e32 v21, 0
	v_mov_b32_e32 v1, 0
	s_and_saveexec_b64 s[30:31], s[28:29]
	s_cbranch_execz .LBB6_1137
; %bb.1130:                             ;   in Loop: Header=BB6_348 Depth=4
	v_cmp_ne_u16_e32 vcc, s94, v30
	v_bfrev_b32_e32 v1, 1
	s_and_saveexec_b64 s[70:71], vcc
	s_cbranch_execz .LBB6_1136
; %bb.1131:                             ;   in Loop: Header=BB6_348 Depth=4
	v_and_b32_e32 v1, 0x7c, v0
	v_and_b32_e32 v22, 3, v0
	v_cmp_ne_u32_e32 vcc, s95, v1
                                        ; implicit-def: $vgpr1
	s_and_saveexec_b64 s[50:51], vcc
	s_xor_b64 s[72:73], exec, s[50:51]
	s_cbranch_execz .LBB6_1133
; %bb.1132:                             ;   in Loop: Header=BB6_348 Depth=4
	v_ffbh_u32_e32 v24, v22
	v_min_u32_e32 v26, 32, v24
	v_mov_b32_e32 v31, v51
	v_subrev_u32_e32 v24, 29, v26
	v_bfe_u32 v1, v0, 2, 5
	v_lshlrev_b64 v[24:25], v24, v[30:31]
	v_sub_u32_e32 v25, 30, v26
	v_and_b32_e32 v24, 3, v24
	v_cmp_eq_u32_e32 vcc, 0, v1
	v_cndmask_b32_e32 v1, v1, v25, vcc
	v_cndmask_b32_e32 v22, v22, v24, vcc
	v_bfrev_b32_e32 v24, 28
	v_bfe_i32 v23, v30, 0, 16
	v_lshl_add_u32 v1, v1, 23, v24
	v_and_or_b32 v1, v23, s96, v1
	v_lshl_or_b32 v1, v22, 21, v1
                                        ; implicit-def: $vgpr22
.LBB6_1133:                             ;   in Loop: Header=BB6_348 Depth=4
	s_andn2_saveexec_b64 s[72:73], s[72:73]
; %bb.1134:                             ;   in Loop: Header=BB6_348 Depth=4
	v_cmp_lt_i16_e32 vcc, -1, v30
	v_mov_b32_e32 v1, 0xc7600000
	v_mov_b32_e32 v23, 0x47600000
	v_cndmask_b32_e32 v1, v1, v23, vcc
	v_cmp_eq_u32_e32 vcc, 0, v22
	v_mov_b32_e32 v22, 0x7f800001
	v_cndmask_b32_e32 v1, v22, v1, vcc
; %bb.1135:                             ;   in Loop: Header=BB6_348 Depth=4
	s_or_b64 exec, exec, s[72:73]
.LBB6_1136:                             ;   in Loop: Header=BB6_348 Depth=4
	s_or_b64 exec, exec, s[70:71]
.LBB6_1137:                             ;   in Loop: Header=BB6_348 Depth=4
	s_or_b64 exec, exec, s[30:31]
	v_cmp_ne_u16_e32 vcc, 0, v28
	s_and_saveexec_b64 s[30:31], vcc
	s_cbranch_execz .LBB6_1145
; %bb.1138:                             ;   in Loop: Header=BB6_348 Depth=4
	v_cmp_ne_u16_e32 vcc, s94, v28
	v_bfrev_b32_e32 v21, 1
	s_and_saveexec_b64 s[70:71], vcc
	s_cbranch_execz .LBB6_1144
; %bb.1139:                             ;   in Loop: Header=BB6_348 Depth=4
	v_and_b32_e32 v21, 0x7c, v28
	v_and_b32_e32 v22, 3, v28
	v_cmp_ne_u32_e32 vcc, s95, v21
                                        ; implicit-def: $vgpr21
	s_and_saveexec_b64 s[50:51], vcc
	s_xor_b64 s[72:73], exec, s[50:51]
	s_cbranch_execz .LBB6_1141
; %bb.1140:                             ;   in Loop: Header=BB6_348 Depth=4
	v_ffbh_u32_e32 v24, v22
	v_min_u32_e32 v26, 32, v24
	v_and_b32_e32 v21, 0xff, v28
	v_mov_b32_e32 v29, v51
	v_subrev_u32_e32 v24, 29, v26
	v_bfe_u32 v21, v21, 2, 5
	v_lshlrev_b64 v[24:25], v24, v[28:29]
	v_sub_u32_e32 v25, 30, v26
	v_and_b32_e32 v24, 3, v24
	v_cmp_eq_u32_e32 vcc, 0, v21
	v_cndmask_b32_e32 v21, v21, v25, vcc
	v_cndmask_b32_e32 v22, v22, v24, vcc
	v_bfrev_b32_e32 v24, 28
	v_bfe_i32 v23, v28, 0, 16
	v_lshl_add_u32 v21, v21, 23, v24
	v_and_or_b32 v21, v23, s96, v21
	v_lshl_or_b32 v21, v22, 21, v21
                                        ; implicit-def: $vgpr22
.LBB6_1141:                             ;   in Loop: Header=BB6_348 Depth=4
	s_andn2_saveexec_b64 s[72:73], s[72:73]
; %bb.1142:                             ;   in Loop: Header=BB6_348 Depth=4
	v_cmp_lt_i16_e32 vcc, -1, v28
	v_mov_b32_e32 v21, 0xc7600000
	v_mov_b32_e32 v23, 0x47600000
	v_cndmask_b32_e32 v21, v21, v23, vcc
	v_cmp_eq_u32_e32 vcc, 0, v22
	v_mov_b32_e32 v22, 0x7f800001
	v_cndmask_b32_e32 v21, v22, v21, vcc
; %bb.1143:                             ;   in Loop: Header=BB6_348 Depth=4
	s_or_b64 exec, exec, s[72:73]
.LBB6_1144:                             ;   in Loop: Header=BB6_348 Depth=4
	s_or_b64 exec, exec, s[70:71]
.LBB6_1145:                             ;   in Loop: Header=BB6_348 Depth=4
	s_or_b64 exec, exec, s[30:31]
	v_max_f32_e32 v21, v21, v21
	v_max_f32_e32 v1, v1, v1
	;; [unrolled: 1-line block ×3, first 2 shown]
	s_branch .LBB6_1164
.LBB6_1146:                             ;   in Loop: Header=BB6_348 Depth=4
                                        ; implicit-def: $vgpr22
	s_cbranch_execz .LBB6_1164
; %bb.1147:                             ;   in Loop: Header=BB6_348 Depth=4
	v_mov_b32_e32 v21, 0
	v_mov_b32_e32 v1, 0
	s_and_saveexec_b64 s[30:31], s[28:29]
	s_cbranch_execz .LBB6_1155
; %bb.1148:                             ;   in Loop: Header=BB6_348 Depth=4
	v_cmp_ne_u16_e32 vcc, s94, v30
	v_bfrev_b32_e32 v1, 1
	s_and_saveexec_b64 s[28:29], vcc
	s_cbranch_execz .LBB6_1154
; %bb.1149:                             ;   in Loop: Header=BB6_348 Depth=4
	v_and_b32_e32 v1, 0x7c, v0
	v_and_b32_e32 v22, 3, v0
	v_cmp_ne_u32_e32 vcc, s95, v1
                                        ; implicit-def: $vgpr1
	s_and_saveexec_b64 s[50:51], vcc
	s_xor_b64 s[70:71], exec, s[50:51]
	s_cbranch_execz .LBB6_1151
; %bb.1150:                             ;   in Loop: Header=BB6_348 Depth=4
	v_bfe_u32 v23, v0, 2, 5
	v_ffbh_u32_e32 v0, v22
	v_min_u32_e32 v25, 32, v0
	v_mov_b32_e32 v31, v51
	v_subrev_u32_e32 v0, 29, v25
	v_lshlrev_b64 v[0:1], v0, v[30:31]
	v_sub_u32_e32 v1, 30, v25
	v_and_b32_e32 v0, 3, v0
	v_cmp_eq_u32_e32 vcc, 0, v23
	v_cndmask_b32_e32 v1, v23, v1, vcc
	v_cndmask_b32_e32 v0, v22, v0, vcc
	v_bfrev_b32_e32 v22, 28
	v_bfe_i32 v24, v30, 0, 16
	v_lshl_add_u32 v1, v1, 23, v22
	v_and_or_b32 v1, v24, s96, v1
	v_lshl_or_b32 v1, v0, 21, v1
                                        ; implicit-def: $vgpr22
                                        ; implicit-def: $vgpr30
.LBB6_1151:                             ;   in Loop: Header=BB6_348 Depth=4
	s_andn2_saveexec_b64 s[70:71], s[70:71]
; %bb.1152:                             ;   in Loop: Header=BB6_348 Depth=4
	v_cmp_lt_i16_e32 vcc, -1, v30
	v_mov_b32_e32 v0, 0xc7600000
	v_mov_b32_e32 v1, 0x47600000
	v_cndmask_b32_e32 v0, v0, v1, vcc
	v_cmp_eq_u32_e32 vcc, 0, v22
	v_mov_b32_e32 v1, 0x7f800001
	v_cndmask_b32_e32 v1, v1, v0, vcc
; %bb.1153:                             ;   in Loop: Header=BB6_348 Depth=4
	s_or_b64 exec, exec, s[70:71]
.LBB6_1154:                             ;   in Loop: Header=BB6_348 Depth=4
	s_or_b64 exec, exec, s[28:29]
.LBB6_1155:                             ;   in Loop: Header=BB6_348 Depth=4
	s_or_b64 exec, exec, s[30:31]
	v_cmp_ne_u16_e32 vcc, 0, v28
	s_and_saveexec_b64 s[28:29], vcc
	s_cbranch_execz .LBB6_1163
; %bb.1156:                             ;   in Loop: Header=BB6_348 Depth=4
	v_cmp_ne_u16_e32 vcc, s94, v28
	v_bfrev_b32_e32 v21, 1
	s_and_saveexec_b64 s[30:31], vcc
	s_cbranch_execz .LBB6_1162
; %bb.1157:                             ;   in Loop: Header=BB6_348 Depth=4
	v_and_b32_e32 v21, 0x7c, v28
	v_and_b32_e32 v0, 3, v28
	v_cmp_ne_u32_e32 vcc, s95, v21
                                        ; implicit-def: $vgpr21
	s_and_saveexec_b64 s[50:51], vcc
	s_xor_b64 s[70:71], exec, s[50:51]
	s_cbranch_execz .LBB6_1159
; %bb.1158:                             ;   in Loop: Header=BB6_348 Depth=4
	v_ffbh_u32_e32 v22, v0
	v_min_u32_e32 v25, 32, v22
	v_and_b32_e32 v21, 0xff, v28
	v_mov_b32_e32 v29, v51
	v_subrev_u32_e32 v22, 29, v25
	v_bfe_u32 v21, v21, 2, 5
	v_lshlrev_b64 v[22:23], v22, v[28:29]
	v_sub_u32_e32 v23, 30, v25
	v_and_b32_e32 v22, 3, v22
	v_cmp_eq_u32_e32 vcc, 0, v21
	v_cndmask_b32_e32 v21, v21, v23, vcc
	v_cndmask_b32_e32 v0, v0, v22, vcc
	v_bfrev_b32_e32 v22, 28
	v_bfe_i32 v24, v28, 0, 16
	v_lshl_add_u32 v21, v21, 23, v22
	v_and_or_b32 v21, v24, s96, v21
	v_lshl_or_b32 v21, v0, 21, v21
                                        ; implicit-def: $vgpr0
                                        ; implicit-def: $vgpr28
.LBB6_1159:                             ;   in Loop: Header=BB6_348 Depth=4
	s_andn2_saveexec_b64 s[70:71], s[70:71]
; %bb.1160:                             ;   in Loop: Header=BB6_348 Depth=4
	v_cmp_lt_i16_e32 vcc, -1, v28
	v_mov_b32_e32 v21, 0xc7600000
	v_mov_b32_e32 v22, 0x47600000
	v_cndmask_b32_e32 v21, v21, v22, vcc
	v_cmp_eq_u32_e32 vcc, 0, v0
	v_mov_b32_e32 v0, 0x7f800001
	v_cndmask_b32_e32 v21, v0, v21, vcc
; %bb.1161:                             ;   in Loop: Header=BB6_348 Depth=4
	s_or_b64 exec, exec, s[70:71]
.LBB6_1162:                             ;   in Loop: Header=BB6_348 Depth=4
	s_or_b64 exec, exec, s[30:31]
.LBB6_1163:                             ;   in Loop: Header=BB6_348 Depth=4
	s_or_b64 exec, exec, s[28:29]
	v_max_f32_e32 v0, v21, v21
	v_max_f32_e32 v1, v1, v1
	v_min_f32_e32 v22, v1, v0
.LBB6_1164:                             ;   in Loop: Header=BB6_348 Depth=4
	v_and_b32_sdwa v21, v22, s97 dst_sel:DWORD dst_unused:UNUSED_PAD src0_sel:BYTE_3 src1_sel:DWORD
	v_and_b32_e32 v24, 0x7f800000, v22
	v_mov_b32_e32 v25, v51
	v_and_b32_e32 v50, 0x7fffff, v22
	v_or_b32_e32 v1, 0x7b, v21
	v_cmp_ne_u64_e32 vcc, s[52:53], v[24:25]
	s_and_saveexec_b64 s[28:29], vcc
	s_xor_b64 s[30:31], exec, s[28:29]
	s_cbranch_execz .LBB6_1178
; %bb.1165:                             ;   in Loop: Header=BB6_348 Depth=4
	v_and_b32_e32 v24, 0x7fffffff, v22
	v_mov_b32_e32 v25, v51
	v_cmp_gt_u64_e32 vcc, s[54:55], v[24:25]
	s_and_saveexec_b64 s[28:29], vcc
	s_xor_b64 s[70:71], exec, s[28:29]
	s_cbranch_execz .LBB6_1177
; %bb.1166:                             ;   in Loop: Header=BB6_348 Depth=4
	v_cmp_ne_u32_e32 vcc, 0, v22
	v_mov_b32_e32 v1, 0
	s_and_saveexec_b64 s[72:73], vcc
	s_cbranch_execz .LBB6_1176
; %bb.1167:                             ;   in Loop: Header=BB6_348 Depth=4
	v_bfe_u32 v0, v22, 23, 8
	v_cmp_eq_u32_e32 vcc, 0, v0
	v_add_u32_e32 v1, 0xffffff81, v0
	v_cmp_gt_u32_e64 s[28:29], s38, v0
	v_sub_u32_e32 v0, 0x71, v0
	v_mov_b32_e32 v23, 0xffffff82
	v_cndmask_b32_e64 v0, 0, v0, s[28:29]
	v_cndmask_b32_e32 v24, v1, v23, vcc
	v_mov_b32_e32 v1, 0x70
	v_cndmask_b32_e32 v25, v0, v1, vcc
	v_add_u32_e32 v0, 21, v25
	v_or_b32_e32 v22, 0x800000, v50
	v_lshlrev_b64 v[0:1], v0, -1
	v_cndmask_b32_e32 v50, v22, v50, vcc
	v_not_b32_e32 v1, v1
	v_not_b32_e32 v0, v0
	v_add_u32_e32 v22, 20, v25
	v_and_b32_e32 v1, 0, v1
	v_and_b32_e32 v0, v50, v0
	v_lshlrev_b64 v[22:23], v22, 1
	v_cmp_eq_u64_e32 vcc, v[0:1], v[22:23]
	v_lshrrev_b64 v[0:1], v25, v[50:51]
	v_lshrrev_b32_e32 v22, 23, v0
	v_add3_u32 v24, v25, v24, v22
	v_bfe_u32 v22, v0, 21, 1
	v_add_u32_e32 v22, -1, v22
	v_cndmask_b32_e32 v22, 0, v22, vcc
	v_add_u32_e32 v22, v22, v0
	v_and_b32_e32 v22, 0x1fffff, v22
	v_add_co_u32_e32 v0, vcc, v22, v0
	v_add_u32_e32 v23, 14, v24
	v_addc_co_u32_e32 v1, vcc, 0, v1, vcc
	v_cmp_ne_u32_e32 vcc, 0, v23
                                        ; implicit-def: $vgpr22
	s_and_saveexec_b64 s[28:29], vcc
	s_xor_b64 s[28:29], exec, s[28:29]
; %bb.1168:                             ;   in Loop: Header=BB6_348 Depth=4
	v_add_u32_e32 v22, 15, v24
	v_cmp_lt_u64_e32 vcc, s[56:57], v[0:1]
	v_cndmask_b32_e32 v22, v23, v22, vcc
	v_cndmask_b32_e64 v23, 0, 1, vcc
	v_lshrrev_b64 v[0:1], v23, v[0:1]
; %bb.1169:                             ;   in Loop: Header=BB6_348 Depth=4
	s_andn2_saveexec_b64 s[28:29], s[28:29]
; %bb.1170:                             ;   in Loop: Header=BB6_348 Depth=4
	v_bfe_u32 v22, v0, 23, 1
; %bb.1171:                             ;   in Loop: Header=BB6_348 Depth=4
	s_or_b64 exec, exec, s[28:29]
	v_lshrrev_b64 v[0:1], 21, v[0:1]
	v_cmp_gt_i32_e32 vcc, 32, v22
	v_cndmask_b32_e32 v1, 0, v1, vcc
	v_cndmask_b32_e32 v0, 3, v0, vcc
	v_cmp_ne_u32_e32 vcc, 0, v22
	v_cmp_ne_u64_e64 s[28:29], 0, v[0:1]
	s_or_b64 s[28:29], vcc, s[28:29]
                                        ; implicit-def: $vgpr1
	s_and_saveexec_b64 vcc, s[28:29]
	s_xor_b64 s[28:29], exec, vcc
; %bb.1172:                             ;   in Loop: Header=BB6_348 Depth=4
	v_min_i32_e32 v1, 31, v22
	v_lshl_or_b32 v1, v1, 2, v21
	v_and_or_b32 v1, v0, 3, v1
                                        ; implicit-def: $vgpr21
; %bb.1173:                             ;   in Loop: Header=BB6_348 Depth=4
	s_andn2_saveexec_b64 s[28:29], s[28:29]
; %bb.1174:                             ;   in Loop: Header=BB6_348 Depth=4
	v_mov_b32_e32 v1, v21
; %bb.1175:                             ;   in Loop: Header=BB6_348 Depth=4
	s_or_b64 exec, exec, s[28:29]
.LBB6_1176:                             ;   in Loop: Header=BB6_348 Depth=4
	s_or_b64 exec, exec, s[72:73]
.LBB6_1177:                             ;   in Loop: Header=BB6_348 Depth=4
	s_andn2_saveexec_b64 s[28:29], s[70:71]
	s_or_b64 exec, exec, s[28:29]
                                        ; implicit-def: $vgpr22
.LBB6_1178:                             ;   in Loop: Header=BB6_348 Depth=4
	s_andn2_saveexec_b64 s[28:29], s[30:31]
	s_cbranch_execz .LBB6_347
; %bb.1179:                             ;   in Loop: Header=BB6_348 Depth=4
	v_or_b32_sdwa v0, v22, s39 dst_sel:DWORD dst_unused:UNUSED_PAD src0_sel:BYTE_3 src1_sel:DWORD
	v_cmp_eq_u64_e32 vcc, 0, v[50:51]
	v_cndmask_b32_e32 v1, v0, v1, vcc
	s_branch .LBB6_347
.LBB6_1180:                             ;   in Loop: Header=BB6_274 Depth=3
	s_and_saveexec_b64 s[28:29], s[10:11]
	s_cbranch_execnz .LBB6_3561
.LBB6_1181:                             ;   in Loop: Header=BB6_274 Depth=3
	s_or_b64 exec, exec, s[28:29]
                                        ; implicit-def: $vgpr0
	s_and_saveexec_b64 s[28:29], s[24:25]
	s_xor_b64 s[30:31], exec, s[28:29]
	s_cbranch_execz .LBB6_3579
.LBB6_1182:                             ;   in Loop: Header=BB6_274 Depth=3
	v_and_b32_e32 v1, 16, v46
	v_cmp_lt_i32_e32 vcc, 0, v47
	v_cmp_ne_u32_e64 s[28:29], 0, v1
	v_and_b32_e32 v0, 16, v46
	s_and_b64 vcc, s[28:29], vcc
	s_and_saveexec_b64 s[28:29], vcc
	s_cbranch_execz .LBB6_1184
; %bb.1183:                             ;   in Loop: Header=BB6_274 Depth=3
	v_mov_b32_e32 v0, 1
	s_waitcnt vmcnt(0) lgkmcnt(0)
	buffer_wbinvl1_vol
.LBB6_1184:                             ;   in Loop: Header=BB6_274 Depth=3
	s_or_b64 exec, exec, s[28:29]
	s_andn2_saveexec_b64 s[28:29], s[30:31]
	s_cbranch_execz .LBB6_3598
	s_branch .LBB6_3580
.LBB6_1185:                             ;   in Loop: Header=BB6_274 Depth=3
	v_ashrrev_i32_e32 v0, 31, v47
	v_lshrrev_b32_e32 v0, 21, v0
	v_add_u32_e32 v0, v47, v0
	v_ashrrev_i32_e32 v25, 11, v0
	v_accvgpr_read_b32 v0, a37
	v_sub_u32_e32 v24, v25, v0
	v_cmp_lt_i32_e32 vcc, 0, v24
	s_and_saveexec_b64 s[34:35], vcc
	s_cbranch_execz .LBB6_2783
; %bb.1186:                             ;   in Loop: Header=BB6_274 Depth=3
	s_trap 2
	ds_read_b128 v[0:3], v0
	v_accvgpr_read_b32 v8, a52
	v_accvgpr_read_b32 v9, a33
	v_accvgpr_write_b32 a4, v58
	v_accvgpr_write_b32 a5, v59
	s_waitcnt lgkmcnt(0)
	ds_read_b64 v[6:7], v0
	v_add_co_u32_e32 v40, vcc, v0, v8
	v_addc_co_u32_e32 v41, vcc, v1, v9, vcc
	v_add_co_u32_e32 v4, vcc, v2, v8
	v_addc_co_u32_e32 v5, vcc, v3, v9, vcc
	s_waitcnt lgkmcnt(0)
	v_add_co_u32_e32 v58, vcc, v6, v8
	s_bitcmp1_b32 s76, 0
	v_addc_co_u32_e32 v59, vcc, v7, v9, vcc
	s_mov_b64 s[64:65], 0
	s_cselect_b64 s[66:67], -1, 0
	s_branch .LBB6_1188
.LBB6_1187:                             ;   in Loop: Header=BB6_1188 Depth=4
	s_or_b64 exec, exec, s[28:29]
	v_lshlrev_b32_e32 v1, 16, v32
	v_lshlrev_b32_e32 v2, 8, v31
	v_perm_b32 v1, v16, v1, s82
	v_perm_b32 v2, v2, v30, s9
	v_or_b32_e32 v31, v1, v2
	v_and_b32_e32 v1, 0xff, v28
	v_lshlrev_b32_e32 v3, 8, v27
	v_lshlrev_b32_e32 v2, 24, v29
	;; [unrolled: 1-line block ×3, first 2 shown]
	v_perm_b32 v3, v3, v26, s9
	v_or3_b32 v30, v2, v1, v3
	v_and_b32_e32 v1, 0xff, v21
	v_lshlrev_b32_e32 v3, 8, v20
	v_lshlrev_b32_e32 v2, 24, v33
	;; [unrolled: 1-line block ×3, first 2 shown]
	v_perm_b32 v3, v3, v17, s9
	v_or3_b32 v32, v2, v1, v3
	v_lshlrev_b32_e32 v1, 8, v35
	v_lshlrev_b32_e32 v2, 16, v36
	v_perm_b32 v1, v1, v34, s9
	v_perm_b32 v2, v18, v2, s82
	v_or_b32_e32 v33, v2, v1
	v_lshlrev_b32_e32 v1, 16, v14
	v_lshlrev_b32_e32 v2, 8, v13
	v_perm_b32 v1, v12, v1, s82
	v_perm_b32 v2, v2, v38, s9
	v_or_b32_e32 v11, v1, v2
	v_and_b32_e32 v1, 0xff, v23
	v_lshlrev_b32_e32 v3, 8, v22
	v_lshlrev_b32_e32 v2, 24, v37
	;; [unrolled: 1-line block ×3, first 2 shown]
	v_perm_b32 v3, v3, v19, s9
	v_or3_b32 v10, v2, v1, v3
	v_and_b32_e32 v1, 0xff, v48
	v_lshlrev_b32_e32 v3, 8, v39
	v_lshlrev_b32_e32 v2, 24, v49
	;; [unrolled: 1-line block ×3, first 2 shown]
	v_perm_b32 v3, v3, v15, s9
	v_or3_b32 v12, v2, v1, v3
	v_lshlrev_b32_e32 v1, 8, v7
	v_lshlrev_b32_e32 v2, 16, v8
	v_perm_b32 v1, v1, v52, s9
	v_perm_b32 v0, v0, v2, s82
	v_or_b32_e32 v13, v0, v1
	v_accvgpr_read_b32 v1, a42
	v_add_co_u32_e32 v40, vcc, v40, v1
	v_accvgpr_read_b32 v2, a43
	v_addc_co_u32_e32 v41, vcc, v41, v2, vcc
	v_add_co_u32_e32 v4, vcc, v4, v1
	v_accvgpr_read_b32 v0, a30
	v_addc_co_u32_e32 v5, vcc, v5, v2, vcc
	v_sub_u32_e32 v24, v24, v0
	v_cmp_gt_i32_e32 vcc, 1, v24
	global_store_dwordx4 v[58:59], v[30:33], off glc slc
	global_store_dwordx4 v[58:59], v[10:13], off offset:1024 glc slc
	s_or_b64 s[64:65], vcc, s[64:65]
	v_add_co_u32_e32 v58, vcc, v58, v1
	v_addc_co_u32_e32 v59, vcc, v59, v2, vcc
	s_andn2_b64 exec, exec, s[64:65]
	s_cbranch_execz .LBB6_2782
.LBB6_1188:                             ;   Parent Loop BB6_47 Depth=1
                                        ;     Parent Loop BB6_271 Depth=2
                                        ;       Parent Loop BB6_274 Depth=3
                                        ; =>      This Inner Loop Header: Depth=4
	global_load_dwordx4 v[20:23], v[40:41], off glc slc
	global_load_dwordx4 v[0:3], v[40:41], off offset:1024 glc slc
	global_load_dwordx4 v[16:19], v[4:5], off glc slc
	global_load_dwordx4 v[8:11], v[4:5], off offset:1024 glc slc
	s_and_b64 vcc, exec, s[66:67]
	s_waitcnt vmcnt(0)
	v_cmp_ne_u16_sdwa s[28:29], v20, v51 src0_sel:BYTE_0 src1_sel:DWORD
	s_cbranch_vccz .LBB6_1206
; %bb.1189:                             ;   in Loop: Header=BB6_1188 Depth=4
	v_mov_b32_e32 v7, 0
	v_mov_b32_e32 v6, 0
	s_and_saveexec_b64 s[30:31], s[28:29]
	s_cbranch_execz .LBB6_1197
; %bb.1190:                             ;   in Loop: Header=BB6_1188 Depth=4
	v_cmp_ne_u16_sdwa vcc, sext(v20), s94 src0_sel:BYTE_0 src1_sel:DWORD
	v_bfrev_b32_e32 v6, 1
	s_and_saveexec_b64 s[68:69], vcc
	s_cbranch_execz .LBB6_1196
; %bb.1191:                             ;   in Loop: Header=BB6_1188 Depth=4
	v_and_b32_e32 v6, 0x7c, v20
	v_and_b32_e32 v12, 3, v20
	v_cmp_ne_u32_e32 vcc, s95, v6
                                        ; implicit-def: $vgpr6
	s_and_saveexec_b64 s[70:71], vcc
	s_xor_b64 s[70:71], exec, s[70:71]
	s_cbranch_execz .LBB6_1193
; %bb.1192:                             ;   in Loop: Header=BB6_1188 Depth=4
	v_ffbh_u32_e32 v13, v12
	v_min_u32_e32 v13, 32, v13
	v_subrev_u32_e32 v14, 29, v13
	v_bfe_u32 v6, v20, 2, 5
	v_lshlrev_b64 v[14:15], v14, v[20:21]
	v_sub_u32_e32 v13, 30, v13
	v_and_b32_e32 v14, 3, v14
	v_cmp_eq_u32_e32 vcc, 0, v6
	v_cndmask_b32_e32 v6, v6, v13, vcc
	v_cndmask_b32_e32 v12, v12, v14, vcc
	v_bfrev_b32_e32 v14, 28
	v_lshlrev_b32_e32 v13, 24, v20
	v_lshl_add_u32 v6, v6, 23, v14
	v_and_or_b32 v6, v13, s96, v6
	v_lshl_or_b32 v6, v12, 21, v6
                                        ; implicit-def: $vgpr12
.LBB6_1193:                             ;   in Loop: Header=BB6_1188 Depth=4
	s_andn2_saveexec_b64 s[70:71], s[70:71]
; %bb.1194:                             ;   in Loop: Header=BB6_1188 Depth=4
	v_mov_b32_e32 v6, -1
	v_cmp_gt_i16_sdwa vcc, sext(v20), v6 src0_sel:BYTE_0 src1_sel:DWORD
	v_mov_b32_e32 v6, 0xc7600000
	v_mov_b32_e32 v13, 0x47600000
	v_cndmask_b32_e32 v6, v6, v13, vcc
	v_cmp_eq_u32_e32 vcc, 0, v12
	v_mov_b32_e32 v12, 0x7f800001
	v_cndmask_b32_e32 v6, v12, v6, vcc
; %bb.1195:                             ;   in Loop: Header=BB6_1188 Depth=4
	s_or_b64 exec, exec, s[70:71]
.LBB6_1196:                             ;   in Loop: Header=BB6_1188 Depth=4
	s_or_b64 exec, exec, s[68:69]
.LBB6_1197:                             ;   in Loop: Header=BB6_1188 Depth=4
	s_or_b64 exec, exec, s[30:31]
	v_cmp_ne_u16_sdwa vcc, sext(v16), v51 src0_sel:BYTE_0 src1_sel:DWORD
	s_and_saveexec_b64 s[30:31], vcc
	s_cbranch_execz .LBB6_1205
; %bb.1198:                             ;   in Loop: Header=BB6_1188 Depth=4
	v_cmp_ne_u16_sdwa vcc, sext(v16), s94 src0_sel:BYTE_0 src1_sel:DWORD
	v_bfrev_b32_e32 v7, 1
	s_and_saveexec_b64 s[68:69], vcc
	s_cbranch_execz .LBB6_1204
; %bb.1199:                             ;   in Loop: Header=BB6_1188 Depth=4
	v_and_b32_e32 v7, 0x7c, v16
	v_and_b32_e32 v12, 3, v16
	v_cmp_ne_u32_e32 vcc, s95, v7
                                        ; implicit-def: $vgpr7
	s_and_saveexec_b64 s[70:71], vcc
	s_xor_b64 s[70:71], exec, s[70:71]
	s_cbranch_execz .LBB6_1201
; %bb.1200:                             ;   in Loop: Header=BB6_1188 Depth=4
	v_ffbh_u32_e32 v13, v12
	v_min_u32_e32 v13, 32, v13
	v_subrev_u32_e32 v14, 29, v13
	v_bfe_u32 v7, v16, 2, 5
	v_lshlrev_b64 v[14:15], v14, v[16:17]
	v_sub_u32_e32 v13, 30, v13
	v_and_b32_e32 v14, 3, v14
	v_cmp_eq_u32_e32 vcc, 0, v7
	v_cndmask_b32_e32 v7, v7, v13, vcc
	v_cndmask_b32_e32 v12, v12, v14, vcc
	v_bfrev_b32_e32 v14, 28
	v_lshlrev_b32_e32 v13, 24, v16
	v_lshl_add_u32 v7, v7, 23, v14
	v_and_or_b32 v7, v13, s96, v7
	v_lshl_or_b32 v7, v12, 21, v7
                                        ; implicit-def: $vgpr12
.LBB6_1201:                             ;   in Loop: Header=BB6_1188 Depth=4
	s_andn2_saveexec_b64 s[70:71], s[70:71]
; %bb.1202:                             ;   in Loop: Header=BB6_1188 Depth=4
	v_mov_b32_e32 v7, -1
	v_cmp_gt_i16_sdwa vcc, sext(v16), v7 src0_sel:BYTE_0 src1_sel:DWORD
	v_mov_b32_e32 v7, 0xc7600000
	v_mov_b32_e32 v13, 0x47600000
	v_cndmask_b32_e32 v7, v7, v13, vcc
	v_cmp_eq_u32_e32 vcc, 0, v12
	v_mov_b32_e32 v12, 0x7f800001
	v_cndmask_b32_e32 v7, v12, v7, vcc
; %bb.1203:                             ;   in Loop: Header=BB6_1188 Depth=4
	s_or_b64 exec, exec, s[70:71]
.LBB6_1204:                             ;   in Loop: Header=BB6_1188 Depth=4
	s_or_b64 exec, exec, s[68:69]
.LBB6_1205:                             ;   in Loop: Header=BB6_1188 Depth=4
	s_or_b64 exec, exec, s[30:31]
	v_max_f32_e32 v7, v7, v7
	v_max_f32_e32 v6, v6, v6
	;; [unrolled: 1-line block ×3, first 2 shown]
	s_branch .LBB6_1224
.LBB6_1206:                             ;   in Loop: Header=BB6_1188 Depth=4
                                        ; implicit-def: $vgpr6
	s_cbranch_execz .LBB6_1224
; %bb.1207:                             ;   in Loop: Header=BB6_1188 Depth=4
	v_mov_b32_e32 v7, 0
	v_mov_b32_e32 v6, 0
	s_and_saveexec_b64 s[30:31], s[28:29]
	s_cbranch_execz .LBB6_1215
; %bb.1208:                             ;   in Loop: Header=BB6_1188 Depth=4
	v_cmp_ne_u16_sdwa vcc, sext(v20), s94 src0_sel:BYTE_0 src1_sel:DWORD
	v_bfrev_b32_e32 v6, 1
	s_and_saveexec_b64 s[28:29], vcc
	s_cbranch_execz .LBB6_1214
; %bb.1209:                             ;   in Loop: Header=BB6_1188 Depth=4
	v_and_b32_e32 v6, 0x7c, v20
	v_and_b32_e32 v12, 3, v20
	v_cmp_ne_u32_e32 vcc, s95, v6
                                        ; implicit-def: $vgpr6
	s_and_saveexec_b64 s[68:69], vcc
	s_xor_b64 s[68:69], exec, s[68:69]
	s_cbranch_execz .LBB6_1211
; %bb.1210:                             ;   in Loop: Header=BB6_1188 Depth=4
	v_ffbh_u32_e32 v13, v12
	v_min_u32_e32 v13, 32, v13
	v_subrev_u32_e32 v14, 29, v13
	v_bfe_u32 v6, v20, 2, 5
	v_lshlrev_b64 v[14:15], v14, v[20:21]
	v_sub_u32_e32 v13, 30, v13
	v_and_b32_e32 v14, 3, v14
	v_cmp_eq_u32_e32 vcc, 0, v6
	v_cndmask_b32_e32 v6, v6, v13, vcc
	v_cndmask_b32_e32 v12, v12, v14, vcc
	v_bfrev_b32_e32 v14, 28
	v_lshlrev_b32_e32 v13, 24, v20
	v_lshl_add_u32 v6, v6, 23, v14
	v_and_or_b32 v6, v13, s96, v6
	v_lshl_or_b32 v6, v12, 21, v6
                                        ; implicit-def: $vgpr12
.LBB6_1211:                             ;   in Loop: Header=BB6_1188 Depth=4
	s_andn2_saveexec_b64 s[68:69], s[68:69]
; %bb.1212:                             ;   in Loop: Header=BB6_1188 Depth=4
	v_mov_b32_e32 v6, -1
	v_cmp_gt_i16_sdwa vcc, sext(v20), v6 src0_sel:BYTE_0 src1_sel:DWORD
	v_mov_b32_e32 v6, 0xc7600000
	v_mov_b32_e32 v13, 0x47600000
	v_cndmask_b32_e32 v6, v6, v13, vcc
	v_cmp_eq_u32_e32 vcc, 0, v12
	v_mov_b32_e32 v12, 0x7f800001
	v_cndmask_b32_e32 v6, v12, v6, vcc
; %bb.1213:                             ;   in Loop: Header=BB6_1188 Depth=4
	s_or_b64 exec, exec, s[68:69]
.LBB6_1214:                             ;   in Loop: Header=BB6_1188 Depth=4
	s_or_b64 exec, exec, s[28:29]
.LBB6_1215:                             ;   in Loop: Header=BB6_1188 Depth=4
	s_or_b64 exec, exec, s[30:31]
	v_cmp_ne_u16_sdwa vcc, sext(v16), v51 src0_sel:BYTE_0 src1_sel:DWORD
	s_and_saveexec_b64 s[28:29], vcc
	s_cbranch_execz .LBB6_1223
; %bb.1216:                             ;   in Loop: Header=BB6_1188 Depth=4
	v_cmp_ne_u16_sdwa vcc, sext(v16), s94 src0_sel:BYTE_0 src1_sel:DWORD
	v_bfrev_b32_e32 v7, 1
	s_and_saveexec_b64 s[30:31], vcc
	s_cbranch_execz .LBB6_1222
; %bb.1217:                             ;   in Loop: Header=BB6_1188 Depth=4
	v_and_b32_e32 v7, 0x7c, v16
	v_and_b32_e32 v12, 3, v16
	v_cmp_ne_u32_e32 vcc, s95, v7
                                        ; implicit-def: $vgpr7
	s_and_saveexec_b64 s[68:69], vcc
	s_xor_b64 s[68:69], exec, s[68:69]
	s_cbranch_execz .LBB6_1219
; %bb.1218:                             ;   in Loop: Header=BB6_1188 Depth=4
	v_ffbh_u32_e32 v13, v12
	v_min_u32_e32 v13, 32, v13
	v_subrev_u32_e32 v14, 29, v13
	v_bfe_u32 v7, v16, 2, 5
	v_lshlrev_b64 v[14:15], v14, v[16:17]
	v_sub_u32_e32 v13, 30, v13
	v_and_b32_e32 v14, 3, v14
	v_cmp_eq_u32_e32 vcc, 0, v7
	v_cndmask_b32_e32 v7, v7, v13, vcc
	v_cndmask_b32_e32 v12, v12, v14, vcc
	v_bfrev_b32_e32 v14, 28
	v_lshlrev_b32_e32 v13, 24, v16
	v_lshl_add_u32 v7, v7, 23, v14
	v_and_or_b32 v7, v13, s96, v7
	v_lshl_or_b32 v7, v12, 21, v7
                                        ; implicit-def: $vgpr12
.LBB6_1219:                             ;   in Loop: Header=BB6_1188 Depth=4
	s_andn2_saveexec_b64 s[68:69], s[68:69]
; %bb.1220:                             ;   in Loop: Header=BB6_1188 Depth=4
	v_mov_b32_e32 v7, -1
	v_cmp_gt_i16_sdwa vcc, sext(v16), v7 src0_sel:BYTE_0 src1_sel:DWORD
	v_mov_b32_e32 v7, 0xc7600000
	v_mov_b32_e32 v13, 0x47600000
	v_cndmask_b32_e32 v7, v7, v13, vcc
	v_cmp_eq_u32_e32 vcc, 0, v12
	v_mov_b32_e32 v12, 0x7f800001
	v_cndmask_b32_e32 v7, v12, v7, vcc
; %bb.1221:                             ;   in Loop: Header=BB6_1188 Depth=4
	s_or_b64 exec, exec, s[68:69]
.LBB6_1222:                             ;   in Loop: Header=BB6_1188 Depth=4
	s_or_b64 exec, exec, s[30:31]
.LBB6_1223:                             ;   in Loop: Header=BB6_1188 Depth=4
	s_or_b64 exec, exec, s[28:29]
	v_max_f32_e32 v7, v7, v7
	v_max_f32_e32 v6, v6, v6
	v_min_f32_e32 v6, v6, v7
.LBB6_1224:                             ;   in Loop: Header=BB6_1188 Depth=4
	v_and_b32_sdwa v12, v6, s97 dst_sel:DWORD dst_unused:UNUSED_PAD src0_sel:BYTE_3 src1_sel:DWORD
	v_and_b32_e32 v14, 0x7f800000, v6
	v_mov_b32_e32 v15, v51
	v_and_b32_e32 v50, 0x7fffff, v6
	v_or_b32_e32 v26, 0x7b, v12
	v_cmp_ne_u64_e32 vcc, s[52:53], v[14:15]
	s_and_saveexec_b64 s[28:29], vcc
	s_xor_b64 s[30:31], exec, s[28:29]
	s_cbranch_execz .LBB6_1234
; %bb.1225:                             ;   in Loop: Header=BB6_1188 Depth=4
	v_and_b32_e32 v14, 0x7fffffff, v6
	v_mov_b32_e32 v15, v51
	v_cmp_gt_u64_e32 vcc, s[54:55], v[14:15]
	s_and_saveexec_b64 s[68:69], vcc
	s_cbranch_execz .LBB6_1233
; %bb.1226:                             ;   in Loop: Header=BB6_1188 Depth=4
	v_cmp_ne_u32_e32 vcc, 0, v6
	v_mov_b32_e32 v26, 0
	s_and_saveexec_b64 s[70:71], vcc
	s_cbranch_execz .LBB6_1232
; %bb.1227:                             ;   in Loop: Header=BB6_1188 Depth=4
	v_bfe_u32 v6, v6, 23, 8
	v_cmp_eq_u32_e32 vcc, 0, v6
	v_add_u32_e32 v7, 0xffffff81, v6
	v_cmp_gt_u32_e64 s[28:29], s38, v6
	v_sub_u32_e32 v6, 0x71, v6
	v_mov_b32_e32 v14, 0xffffff82
	v_cndmask_b32_e64 v6, 0, v6, s[28:29]
	v_cndmask_b32_e32 v26, v7, v14, vcc
	v_mov_b32_e32 v7, 0x70
	v_cndmask_b32_e32 v27, v6, v7, vcc
	v_add_u32_e32 v6, 21, v27
	v_or_b32_e32 v13, 0x800000, v50
	v_lshlrev_b64 v[6:7], v6, -1
	v_cndmask_b32_e32 v50, v13, v50, vcc
	v_not_b32_e32 v7, v7
	v_not_b32_e32 v6, v6
	v_add_u32_e32 v13, 20, v27
	v_and_b32_e32 v7, 0, v7
	v_and_b32_e32 v6, v50, v6
	v_lshlrev_b64 v[14:15], v13, 1
	v_cmp_eq_u64_e32 vcc, v[6:7], v[14:15]
	v_lshrrev_b64 v[6:7], v27, v[50:51]
	v_lshrrev_b32_e32 v13, 23, v6
	v_add3_u32 v15, v27, v26, v13
	v_bfe_u32 v13, v6, 21, 1
	v_add_u32_e32 v13, -1, v13
	v_cndmask_b32_e32 v13, 0, v13, vcc
	v_add_u32_e32 v13, v13, v6
	v_and_b32_e32 v13, 0x1fffff, v13
	v_add_co_u32_e32 v6, vcc, v13, v6
	v_add_u32_e32 v14, 14, v15
	v_addc_co_u32_e32 v7, vcc, 0, v7, vcc
	v_cmp_ne_u32_e32 vcc, 0, v14
                                        ; implicit-def: $vgpr13
	s_and_saveexec_b64 s[28:29], vcc
	s_xor_b64 s[28:29], exec, s[28:29]
; %bb.1228:                             ;   in Loop: Header=BB6_1188 Depth=4
	v_add_u32_e32 v13, 15, v15
	v_cmp_lt_u64_e32 vcc, s[56:57], v[6:7]
	v_cndmask_b32_e32 v13, v14, v13, vcc
	v_cndmask_b32_e64 v14, 0, 1, vcc
	v_lshrrev_b64 v[6:7], v14, v[6:7]
; %bb.1229:                             ;   in Loop: Header=BB6_1188 Depth=4
	s_andn2_saveexec_b64 s[28:29], s[28:29]
; %bb.1230:                             ;   in Loop: Header=BB6_1188 Depth=4
	v_bfe_u32 v13, v6, 23, 1
; %bb.1231:                             ;   in Loop: Header=BB6_1188 Depth=4
	s_or_b64 exec, exec, s[28:29]
	v_lshrrev_b64 v[6:7], 21, v[6:7]
	v_cmp_gt_i32_e32 vcc, 32, v13
	v_cndmask_b32_e32 v7, 0, v7, vcc
	v_cndmask_b32_e32 v6, 3, v6, vcc
	v_cmp_eq_u64_e64 s[28:29], 0, v[6:7]
	v_min_i32_e32 v7, 31, v13
	v_cmp_eq_u32_e32 vcc, 0, v13
	v_lshlrev_b32_e32 v7, 2, v7
	v_and_or_b32 v6, v6, 3, v7
	s_and_b64 s[28:29], vcc, s[28:29]
	v_cndmask_b32_e64 v6, v6, 0, s[28:29]
	v_or_b32_e32 v26, v6, v12
.LBB6_1232:                             ;   in Loop: Header=BB6_1188 Depth=4
	s_or_b64 exec, exec, s[70:71]
.LBB6_1233:                             ;   in Loop: Header=BB6_1188 Depth=4
	s_or_b64 exec, exec, s[68:69]
                                        ; implicit-def: $vgpr6
.LBB6_1234:                             ;   in Loop: Header=BB6_1188 Depth=4
	s_andn2_saveexec_b64 s[28:29], s[30:31]
; %bb.1235:                             ;   in Loop: Header=BB6_1188 Depth=4
	v_or_b32_sdwa v6, v6, s39 dst_sel:DWORD dst_unused:UNUSED_PAD src0_sel:BYTE_3 src1_sel:DWORD
	v_cmp_eq_u64_e32 vcc, 0, v[50:51]
	v_cndmask_b32_e32 v26, v6, v26, vcc
; %bb.1236:                             ;   in Loop: Header=BB6_1188 Depth=4
	s_or_b64 exec, exec, s[28:29]
	v_lshrrev_b16_e32 v50, 8, v20
	v_lshrrev_b16_e32 v6, 8, v16
	v_cmp_ne_u16_e64 s[28:29], 0, v50
	s_and_b64 vcc, exec, s[66:67]
	s_cbranch_vccz .LBB6_1254
; %bb.1237:                             ;   in Loop: Header=BB6_1188 Depth=4
	v_mov_b32_e32 v7, 0
	v_mov_b32_e32 v12, 0
	s_and_saveexec_b64 s[30:31], s[28:29]
	s_cbranch_execz .LBB6_1245
; %bb.1238:                             ;   in Loop: Header=BB6_1188 Depth=4
	v_cmp_ne_u16_e32 vcc, s97, v50
	v_bfrev_b32_e32 v12, 1
	s_and_saveexec_b64 s[68:69], vcc
	s_cbranch_execz .LBB6_1244
; %bb.1239:                             ;   in Loop: Header=BB6_1188 Depth=4
	v_and_b32_e32 v12, 0x7c, v50
	v_and_b32_e32 v13, 3, v50
	v_cmp_ne_u32_e32 vcc, s95, v12
                                        ; implicit-def: $vgpr12
	s_and_saveexec_b64 s[70:71], vcc
	s_xor_b64 s[70:71], exec, s[70:71]
	s_cbranch_execz .LBB6_1241
; %bb.1240:                             ;   in Loop: Header=BB6_1188 Depth=4
	v_ffbh_u32_e32 v14, v13
	v_min_u32_e32 v27, 32, v14
	v_subrev_u32_e32 v14, 29, v27
	v_bfe_u32 v12, v50, 2, 5
	v_lshlrev_b64 v[14:15], v14, v[50:51]
	v_sub_u32_e32 v15, 30, v27
	v_cmp_eq_u32_e32 vcc, 0, v12
	v_and_b32_e32 v14, 3, v14
	v_cndmask_b32_e32 v12, v12, v15, vcc
	v_bfrev_b32_e32 v15, 28
	v_cndmask_b32_e32 v13, v13, v14, vcc
	v_lshlrev_b32_e32 v14, 16, v20
	v_lshl_add_u32 v12, v12, 23, v15
	v_and_or_b32 v12, v14, s96, v12
	v_lshl_or_b32 v12, v13, 21, v12
                                        ; implicit-def: $vgpr13
.LBB6_1241:                             ;   in Loop: Header=BB6_1188 Depth=4
	s_andn2_saveexec_b64 s[70:71], s[70:71]
; %bb.1242:                             ;   in Loop: Header=BB6_1188 Depth=4
	v_cmp_lt_i16_e32 vcc, -1, v20
	v_mov_b32_e32 v12, 0xc7600000
	v_mov_b32_e32 v14, 0x47600000
	v_cndmask_b32_e32 v12, v12, v14, vcc
	v_cmp_eq_u32_e32 vcc, 0, v13
	v_mov_b32_e32 v13, 0x7f800001
	v_cndmask_b32_e32 v12, v13, v12, vcc
; %bb.1243:                             ;   in Loop: Header=BB6_1188 Depth=4
	s_or_b64 exec, exec, s[70:71]
.LBB6_1244:                             ;   in Loop: Header=BB6_1188 Depth=4
	s_or_b64 exec, exec, s[68:69]
.LBB6_1245:                             ;   in Loop: Header=BB6_1188 Depth=4
	s_or_b64 exec, exec, s[30:31]
	v_cmp_ne_u16_e32 vcc, 0, v6
	s_and_saveexec_b64 s[30:31], vcc
	s_cbranch_execz .LBB6_1253
; %bb.1246:                             ;   in Loop: Header=BB6_1188 Depth=4
	v_cmp_ne_u16_e32 vcc, s97, v6
	v_bfrev_b32_e32 v7, 1
	s_and_saveexec_b64 s[68:69], vcc
	s_cbranch_execz .LBB6_1252
; %bb.1247:                             ;   in Loop: Header=BB6_1188 Depth=4
	v_and_b32_e32 v7, 0x7c, v6
	v_and_b32_e32 v13, 3, v6
	v_cmp_ne_u32_e32 vcc, s95, v7
                                        ; implicit-def: $vgpr7
	s_and_saveexec_b64 s[70:71], vcc
	s_xor_b64 s[70:71], exec, s[70:71]
	s_cbranch_execz .LBB6_1249
; %bb.1248:                             ;   in Loop: Header=BB6_1188 Depth=4
	v_ffbh_u32_e32 v14, v13
	v_min_u32_e32 v28, 32, v14
	v_mov_b32_e32 v7, v51
	v_bfe_u32 v27, v6, 2, 5
	v_subrev_u32_e32 v14, 29, v28
	v_lshlrev_b64 v[14:15], v14, v[6:7]
	v_sub_u32_e32 v7, 30, v28
	v_cmp_eq_u32_e32 vcc, 0, v27
	v_and_b32_e32 v14, 3, v14
	v_cndmask_b32_e32 v7, v27, v7, vcc
	v_bfrev_b32_e32 v15, 28
	v_cndmask_b32_e32 v13, v13, v14, vcc
	v_lshlrev_b32_e32 v14, 16, v16
	v_lshl_add_u32 v7, v7, 23, v15
	v_and_or_b32 v7, v14, s96, v7
	v_lshl_or_b32 v7, v13, 21, v7
                                        ; implicit-def: $vgpr13
.LBB6_1249:                             ;   in Loop: Header=BB6_1188 Depth=4
	s_andn2_saveexec_b64 s[70:71], s[70:71]
; %bb.1250:                             ;   in Loop: Header=BB6_1188 Depth=4
	v_cmp_lt_i16_e32 vcc, -1, v16
	v_mov_b32_e32 v7, 0xc7600000
	v_mov_b32_e32 v14, 0x47600000
	v_cndmask_b32_e32 v7, v7, v14, vcc
	v_cmp_eq_u32_e32 vcc, 0, v13
	v_mov_b32_e32 v13, 0x7f800001
	v_cndmask_b32_e32 v7, v13, v7, vcc
; %bb.1251:                             ;   in Loop: Header=BB6_1188 Depth=4
	s_or_b64 exec, exec, s[70:71]
.LBB6_1252:                             ;   in Loop: Header=BB6_1188 Depth=4
	s_or_b64 exec, exec, s[68:69]
.LBB6_1253:                             ;   in Loop: Header=BB6_1188 Depth=4
	s_or_b64 exec, exec, s[30:31]
	v_max_f32_e32 v7, v7, v7
	v_max_f32_e32 v12, v12, v12
	;; [unrolled: 1-line block ×3, first 2 shown]
	s_branch .LBB6_1272
.LBB6_1254:                             ;   in Loop: Header=BB6_1188 Depth=4
                                        ; implicit-def: $vgpr7
	s_cbranch_execz .LBB6_1272
; %bb.1255:                             ;   in Loop: Header=BB6_1188 Depth=4
	v_mov_b32_e32 v7, 0
	v_mov_b32_e32 v12, 0
	s_and_saveexec_b64 s[30:31], s[28:29]
	s_cbranch_execz .LBB6_1263
; %bb.1256:                             ;   in Loop: Header=BB6_1188 Depth=4
	v_cmp_ne_u16_e32 vcc, s97, v50
	v_bfrev_b32_e32 v12, 1
	s_and_saveexec_b64 s[28:29], vcc
	s_cbranch_execz .LBB6_1262
; %bb.1257:                             ;   in Loop: Header=BB6_1188 Depth=4
	v_and_b32_e32 v12, 0x7c, v50
	v_and_b32_e32 v13, 3, v50
	v_cmp_ne_u32_e32 vcc, s95, v12
                                        ; implicit-def: $vgpr12
	s_and_saveexec_b64 s[68:69], vcc
	s_xor_b64 s[68:69], exec, s[68:69]
	s_cbranch_execz .LBB6_1259
; %bb.1258:                             ;   in Loop: Header=BB6_1188 Depth=4
	v_ffbh_u32_e32 v14, v13
	v_min_u32_e32 v27, 32, v14
	v_subrev_u32_e32 v14, 29, v27
	v_bfe_u32 v12, v50, 2, 5
	v_lshlrev_b64 v[14:15], v14, v[50:51]
	v_sub_u32_e32 v15, 30, v27
	v_cmp_eq_u32_e32 vcc, 0, v12
	v_and_b32_e32 v14, 3, v14
	v_cndmask_b32_e32 v12, v12, v15, vcc
	v_bfrev_b32_e32 v15, 28
	v_cndmask_b32_e32 v13, v13, v14, vcc
	v_lshlrev_b32_e32 v14, 16, v20
	v_lshl_add_u32 v12, v12, 23, v15
	v_and_or_b32 v12, v14, s96, v12
	v_lshl_or_b32 v12, v13, 21, v12
                                        ; implicit-def: $vgpr13
.LBB6_1259:                             ;   in Loop: Header=BB6_1188 Depth=4
	s_andn2_saveexec_b64 s[68:69], s[68:69]
; %bb.1260:                             ;   in Loop: Header=BB6_1188 Depth=4
	v_cmp_lt_i16_e32 vcc, -1, v20
	v_mov_b32_e32 v12, 0xc7600000
	v_mov_b32_e32 v14, 0x47600000
	v_cndmask_b32_e32 v12, v12, v14, vcc
	v_cmp_eq_u32_e32 vcc, 0, v13
	v_mov_b32_e32 v13, 0x7f800001
	v_cndmask_b32_e32 v12, v13, v12, vcc
; %bb.1261:                             ;   in Loop: Header=BB6_1188 Depth=4
	s_or_b64 exec, exec, s[68:69]
.LBB6_1262:                             ;   in Loop: Header=BB6_1188 Depth=4
	s_or_b64 exec, exec, s[28:29]
.LBB6_1263:                             ;   in Loop: Header=BB6_1188 Depth=4
	s_or_b64 exec, exec, s[30:31]
	v_cmp_ne_u16_e32 vcc, 0, v6
	s_and_saveexec_b64 s[28:29], vcc
	s_cbranch_execz .LBB6_1271
; %bb.1264:                             ;   in Loop: Header=BB6_1188 Depth=4
	v_cmp_ne_u16_e32 vcc, s97, v6
	v_bfrev_b32_e32 v7, 1
	s_and_saveexec_b64 s[30:31], vcc
	s_cbranch_execz .LBB6_1270
; %bb.1265:                             ;   in Loop: Header=BB6_1188 Depth=4
	v_and_b32_e32 v7, 0x7c, v6
	v_and_b32_e32 v13, 3, v6
	v_cmp_ne_u32_e32 vcc, s95, v7
                                        ; implicit-def: $vgpr7
	s_and_saveexec_b64 s[68:69], vcc
	s_xor_b64 s[68:69], exec, s[68:69]
	s_cbranch_execz .LBB6_1267
; %bb.1266:                             ;   in Loop: Header=BB6_1188 Depth=4
	v_ffbh_u32_e32 v15, v13
	v_min_u32_e32 v15, 32, v15
	v_mov_b32_e32 v7, v51
	v_subrev_u32_e32 v27, 29, v15
	v_bfe_u32 v14, v6, 2, 5
	v_lshlrev_b64 v[6:7], v27, v[6:7]
	v_sub_u32_e32 v7, 30, v15
	v_cmp_eq_u32_e32 vcc, 0, v14
	v_and_b32_e32 v6, 3, v6
	v_cndmask_b32_e32 v7, v14, v7, vcc
	v_bfrev_b32_e32 v14, 28
	v_cndmask_b32_e32 v6, v13, v6, vcc
	v_lshlrev_b32_e32 v13, 16, v16
	v_lshl_add_u32 v7, v7, 23, v14
	v_and_or_b32 v7, v13, s96, v7
	v_lshl_or_b32 v7, v6, 21, v7
                                        ; implicit-def: $vgpr13
.LBB6_1267:                             ;   in Loop: Header=BB6_1188 Depth=4
	s_andn2_saveexec_b64 s[68:69], s[68:69]
; %bb.1268:                             ;   in Loop: Header=BB6_1188 Depth=4
	v_cmp_lt_i16_e32 vcc, -1, v16
	v_mov_b32_e32 v6, 0xc7600000
	v_mov_b32_e32 v7, 0x47600000
	v_cndmask_b32_e32 v6, v6, v7, vcc
	v_cmp_eq_u32_e32 vcc, 0, v13
	v_mov_b32_e32 v7, 0x7f800001
	v_cndmask_b32_e32 v7, v7, v6, vcc
; %bb.1269:                             ;   in Loop: Header=BB6_1188 Depth=4
	s_or_b64 exec, exec, s[68:69]
.LBB6_1270:                             ;   in Loop: Header=BB6_1188 Depth=4
	s_or_b64 exec, exec, s[30:31]
.LBB6_1271:                             ;   in Loop: Header=BB6_1188 Depth=4
	s_or_b64 exec, exec, s[28:29]
	v_max_f32_e32 v6, v7, v7
	v_max_f32_e32 v7, v12, v12
	v_min_f32_e32 v7, v7, v6
.LBB6_1272:                             ;   in Loop: Header=BB6_1188 Depth=4
	v_and_b32_sdwa v12, v7, s97 dst_sel:DWORD dst_unused:UNUSED_PAD src0_sel:BYTE_3 src1_sel:DWORD
	v_and_b32_e32 v14, 0x7f800000, v7
	v_mov_b32_e32 v15, v51
	v_and_b32_e32 v50, 0x7fffff, v7
	v_or_b32_e32 v27, 0x7b, v12
	v_cmp_ne_u64_e32 vcc, s[52:53], v[14:15]
	s_and_saveexec_b64 s[28:29], vcc
	s_xor_b64 s[30:31], exec, s[28:29]
	s_cbranch_execz .LBB6_1282
; %bb.1273:                             ;   in Loop: Header=BB6_1188 Depth=4
	v_and_b32_e32 v14, 0x7fffffff, v7
	v_mov_b32_e32 v15, v51
	v_cmp_gt_u64_e32 vcc, s[54:55], v[14:15]
	s_and_saveexec_b64 s[68:69], vcc
	s_cbranch_execz .LBB6_1281
; %bb.1274:                             ;   in Loop: Header=BB6_1188 Depth=4
	v_cmp_ne_u32_e32 vcc, 0, v7
	v_mov_b32_e32 v27, 0
	s_and_saveexec_b64 s[70:71], vcc
	s_cbranch_execz .LBB6_1280
; %bb.1275:                             ;   in Loop: Header=BB6_1188 Depth=4
	v_bfe_u32 v6, v7, 23, 8
	v_cmp_eq_u32_e32 vcc, 0, v6
	v_add_u32_e32 v7, 0xffffff81, v6
	v_cmp_gt_u32_e64 s[28:29], s38, v6
	v_sub_u32_e32 v6, 0x71, v6
	v_mov_b32_e32 v14, 0xffffff82
	v_cndmask_b32_e64 v6, 0, v6, s[28:29]
	v_cndmask_b32_e32 v27, v7, v14, vcc
	v_mov_b32_e32 v7, 0x70
	v_cndmask_b32_e32 v28, v6, v7, vcc
	v_add_u32_e32 v6, 21, v28
	v_or_b32_e32 v13, 0x800000, v50
	v_lshlrev_b64 v[6:7], v6, -1
	v_cndmask_b32_e32 v50, v13, v50, vcc
	v_not_b32_e32 v7, v7
	v_not_b32_e32 v6, v6
	v_add_u32_e32 v13, 20, v28
	v_and_b32_e32 v7, 0, v7
	v_and_b32_e32 v6, v50, v6
	v_lshlrev_b64 v[14:15], v13, 1
	v_cmp_eq_u64_e32 vcc, v[6:7], v[14:15]
	v_lshrrev_b64 v[6:7], v28, v[50:51]
	v_lshrrev_b32_e32 v13, 23, v6
	v_add3_u32 v15, v28, v27, v13
	v_bfe_u32 v13, v6, 21, 1
	v_add_u32_e32 v13, -1, v13
	v_cndmask_b32_e32 v13, 0, v13, vcc
	v_add_u32_e32 v13, v13, v6
	v_and_b32_e32 v13, 0x1fffff, v13
	v_add_co_u32_e32 v6, vcc, v13, v6
	v_add_u32_e32 v14, 14, v15
	v_addc_co_u32_e32 v7, vcc, 0, v7, vcc
	v_cmp_ne_u32_e32 vcc, 0, v14
                                        ; implicit-def: $vgpr13
	s_and_saveexec_b64 s[28:29], vcc
	s_xor_b64 s[28:29], exec, s[28:29]
; %bb.1276:                             ;   in Loop: Header=BB6_1188 Depth=4
	v_add_u32_e32 v13, 15, v15
	v_cmp_lt_u64_e32 vcc, s[56:57], v[6:7]
	v_cndmask_b32_e32 v13, v14, v13, vcc
	v_cndmask_b32_e64 v14, 0, 1, vcc
	v_lshrrev_b64 v[6:7], v14, v[6:7]
; %bb.1277:                             ;   in Loop: Header=BB6_1188 Depth=4
	s_andn2_saveexec_b64 s[28:29], s[28:29]
; %bb.1278:                             ;   in Loop: Header=BB6_1188 Depth=4
	v_bfe_u32 v13, v6, 23, 1
; %bb.1279:                             ;   in Loop: Header=BB6_1188 Depth=4
	s_or_b64 exec, exec, s[28:29]
	v_lshrrev_b64 v[6:7], 21, v[6:7]
	v_cmp_gt_i32_e32 vcc, 32, v13
	v_cndmask_b32_e32 v7, 0, v7, vcc
	v_cndmask_b32_e32 v6, 3, v6, vcc
	v_cmp_eq_u64_e64 s[28:29], 0, v[6:7]
	v_min_i32_e32 v7, 31, v13
	v_cmp_eq_u32_e32 vcc, 0, v13
	v_lshlrev_b32_e32 v7, 2, v7
	v_and_or_b32 v6, v6, 3, v7
	s_and_b64 s[28:29], vcc, s[28:29]
	v_cndmask_b32_e64 v6, v6, 0, s[28:29]
	v_or_b32_e32 v27, v6, v12
.LBB6_1280:                             ;   in Loop: Header=BB6_1188 Depth=4
	s_or_b64 exec, exec, s[70:71]
.LBB6_1281:                             ;   in Loop: Header=BB6_1188 Depth=4
	s_or_b64 exec, exec, s[68:69]
                                        ; implicit-def: $vgpr7
.LBB6_1282:                             ;   in Loop: Header=BB6_1188 Depth=4
	s_andn2_saveexec_b64 s[28:29], s[30:31]
; %bb.1283:                             ;   in Loop: Header=BB6_1188 Depth=4
	v_or_b32_sdwa v6, v7, s39 dst_sel:DWORD dst_unused:UNUSED_PAD src0_sel:BYTE_3 src1_sel:DWORD
	v_cmp_eq_u64_e32 vcc, 0, v[50:51]
	v_cndmask_b32_e32 v27, v6, v27, vcc
; %bb.1284:                             ;   in Loop: Header=BB6_1188 Depth=4
	s_or_b64 exec, exec, s[28:29]
	v_lshrrev_b32_e32 v12, 16, v20
	v_lshrrev_b32_e32 v6, 16, v16
	v_cmp_ne_u16_sdwa s[28:29], v12, v51 src0_sel:BYTE_0 src1_sel:DWORD
	s_and_b64 vcc, exec, s[66:67]
	s_cbranch_vccz .LBB6_1302
; %bb.1285:                             ;   in Loop: Header=BB6_1188 Depth=4
	v_mov_b32_e32 v13, 0
	v_mov_b32_e32 v7, 0
	s_and_saveexec_b64 s[30:31], s[28:29]
	s_cbranch_execz .LBB6_1293
; %bb.1286:                             ;   in Loop: Header=BB6_1188 Depth=4
	v_cmp_ne_u16_sdwa vcc, v12, s97 src0_sel:BYTE_0 src1_sel:DWORD
	v_bfrev_b32_e32 v7, 1
	s_and_saveexec_b64 s[68:69], vcc
	s_cbranch_execz .LBB6_1292
; %bb.1287:                             ;   in Loop: Header=BB6_1188 Depth=4
	v_and_b32_e32 v7, 0x7c0000, v20
	v_bfe_u32 v14, v20, 16, 2
	v_cmp_ne_u32_e32 vcc, s36, v7
                                        ; implicit-def: $vgpr7
	s_and_saveexec_b64 s[70:71], vcc
	s_xor_b64 s[70:71], exec, s[70:71]
	s_cbranch_execz .LBB6_1289
; %bb.1288:                             ;   in Loop: Header=BB6_1188 Depth=4
	v_ffbh_u32_e32 v15, v14
	v_min_u32_e32 v15, 32, v15
	v_subrev_u32_e32 v28, 29, v15
	v_bfe_u32 v7, v20, 18, 5
	v_lshlrev_b64 v[28:29], v28, v[12:13]
	v_sub_u32_e32 v15, 30, v15
	v_and_b32_e32 v28, 3, v28
	v_cmp_eq_u32_e32 vcc, 0, v7
	v_cndmask_b32_e32 v7, v7, v15, vcc
	v_cndmask_b32_e32 v14, v14, v28, vcc
	v_bfrev_b32_e32 v28, 28
	v_lshlrev_b32_e32 v15, 24, v12
	v_lshl_add_u32 v7, v7, 23, v28
	v_and_or_b32 v7, v15, s96, v7
	v_lshl_or_b32 v7, v14, 21, v7
                                        ; implicit-def: $vgpr14
.LBB6_1289:                             ;   in Loop: Header=BB6_1188 Depth=4
	s_andn2_saveexec_b64 s[70:71], s[70:71]
; %bb.1290:                             ;   in Loop: Header=BB6_1188 Depth=4
	v_mov_b32_e32 v7, -1
	v_cmp_gt_i16_sdwa vcc, sext(v12), v7 src0_sel:BYTE_0 src1_sel:DWORD
	v_mov_b32_e32 v7, 0xc7600000
	v_mov_b32_e32 v15, 0x47600000
	v_cndmask_b32_e32 v7, v7, v15, vcc
	v_cmp_eq_u32_e32 vcc, 0, v14
	v_mov_b32_e32 v14, 0x7f800001
	v_cndmask_b32_e32 v7, v14, v7, vcc
; %bb.1291:                             ;   in Loop: Header=BB6_1188 Depth=4
	s_or_b64 exec, exec, s[70:71]
.LBB6_1292:                             ;   in Loop: Header=BB6_1188 Depth=4
	s_or_b64 exec, exec, s[68:69]
.LBB6_1293:                             ;   in Loop: Header=BB6_1188 Depth=4
	s_or_b64 exec, exec, s[30:31]
	v_cmp_ne_u16_sdwa vcc, v6, v51 src0_sel:BYTE_0 src1_sel:DWORD
	s_and_saveexec_b64 s[30:31], vcc
	s_cbranch_execz .LBB6_1301
; %bb.1294:                             ;   in Loop: Header=BB6_1188 Depth=4
	v_cmp_ne_u16_sdwa vcc, v6, s97 src0_sel:BYTE_0 src1_sel:DWORD
	v_bfrev_b32_e32 v13, 1
	s_and_saveexec_b64 s[68:69], vcc
	s_cbranch_execz .LBB6_1300
; %bb.1295:                             ;   in Loop: Header=BB6_1188 Depth=4
	v_and_b32_e32 v13, 0x7c0000, v16
	v_bfe_u32 v14, v16, 16, 2
	v_cmp_ne_u32_e32 vcc, s36, v13
                                        ; implicit-def: $vgpr13
	s_and_saveexec_b64 s[70:71], vcc
	s_xor_b64 s[70:71], exec, s[70:71]
	s_cbranch_execz .LBB6_1297
; %bb.1296:                             ;   in Loop: Header=BB6_1188 Depth=4
	v_ffbh_u32_e32 v15, v14
	v_min_u32_e32 v15, 32, v15
	v_subrev_u32_e32 v28, 29, v15
	v_bfe_u32 v13, v16, 18, 5
	v_lshlrev_b64 v[28:29], v28, v[6:7]
	v_sub_u32_e32 v15, 30, v15
	v_and_b32_e32 v28, 3, v28
	v_cmp_eq_u32_e32 vcc, 0, v13
	v_cndmask_b32_e32 v13, v13, v15, vcc
	v_cndmask_b32_e32 v14, v14, v28, vcc
	v_bfrev_b32_e32 v28, 28
	v_lshlrev_b32_e32 v15, 24, v6
	v_lshl_add_u32 v13, v13, 23, v28
	v_and_or_b32 v13, v15, s96, v13
	v_lshl_or_b32 v13, v14, 21, v13
                                        ; implicit-def: $vgpr14
.LBB6_1297:                             ;   in Loop: Header=BB6_1188 Depth=4
	s_andn2_saveexec_b64 s[70:71], s[70:71]
; %bb.1298:                             ;   in Loop: Header=BB6_1188 Depth=4
	v_mov_b32_e32 v13, -1
	v_cmp_gt_i16_sdwa vcc, sext(v6), v13 src0_sel:BYTE_0 src1_sel:DWORD
	v_mov_b32_e32 v13, 0xc7600000
	v_mov_b32_e32 v15, 0x47600000
	v_cndmask_b32_e32 v13, v13, v15, vcc
	v_cmp_eq_u32_e32 vcc, 0, v14
	v_mov_b32_e32 v14, 0x7f800001
	v_cndmask_b32_e32 v13, v14, v13, vcc
; %bb.1299:                             ;   in Loop: Header=BB6_1188 Depth=4
	s_or_b64 exec, exec, s[70:71]
.LBB6_1300:                             ;   in Loop: Header=BB6_1188 Depth=4
	s_or_b64 exec, exec, s[68:69]
.LBB6_1301:                             ;   in Loop: Header=BB6_1188 Depth=4
	s_or_b64 exec, exec, s[30:31]
	v_max_f32_e32 v13, v13, v13
	v_max_f32_e32 v7, v7, v7
	;; [unrolled: 1-line block ×3, first 2 shown]
	s_branch .LBB6_1320
.LBB6_1302:                             ;   in Loop: Header=BB6_1188 Depth=4
                                        ; implicit-def: $vgpr7
	s_cbranch_execz .LBB6_1320
; %bb.1303:                             ;   in Loop: Header=BB6_1188 Depth=4
	v_mov_b32_e32 v13, 0
	v_mov_b32_e32 v7, 0
	s_and_saveexec_b64 s[30:31], s[28:29]
	s_cbranch_execz .LBB6_1311
; %bb.1304:                             ;   in Loop: Header=BB6_1188 Depth=4
	v_cmp_ne_u16_sdwa vcc, v12, s97 src0_sel:BYTE_0 src1_sel:DWORD
	v_bfrev_b32_e32 v7, 1
	s_and_saveexec_b64 s[28:29], vcc
	s_cbranch_execz .LBB6_1310
; %bb.1305:                             ;   in Loop: Header=BB6_1188 Depth=4
	v_and_b32_e32 v7, 0x7c0000, v20
	v_bfe_u32 v14, v20, 16, 2
	v_cmp_ne_u32_e32 vcc, s36, v7
                                        ; implicit-def: $vgpr7
	s_and_saveexec_b64 s[68:69], vcc
	s_xor_b64 s[68:69], exec, s[68:69]
	s_cbranch_execz .LBB6_1307
; %bb.1306:                             ;   in Loop: Header=BB6_1188 Depth=4
	v_ffbh_u32_e32 v15, v14
	v_bfe_u32 v7, v20, 18, 5
	v_min_u32_e32 v15, 32, v15
	v_subrev_u32_e32 v28, 29, v15
	v_sub_u32_e32 v15, 30, v15
	v_cmp_eq_u32_e32 vcc, 0, v7
	v_lshlrev_b64 v[28:29], v28, v[12:13]
	v_cndmask_b32_e32 v7, v7, v15, vcc
	v_bfrev_b32_e32 v15, 28
	v_and_b32_e32 v28, 3, v28
	v_lshlrev_b32_e32 v12, 24, v12
	v_lshl_add_u32 v7, v7, 23, v15
	v_cndmask_b32_e32 v14, v14, v28, vcc
	v_and_or_b32 v7, v12, s96, v7
	v_lshl_or_b32 v7, v14, 21, v7
                                        ; implicit-def: $vgpr14
                                        ; implicit-def: $vgpr12
.LBB6_1307:                             ;   in Loop: Header=BB6_1188 Depth=4
	s_andn2_saveexec_b64 s[68:69], s[68:69]
; %bb.1308:                             ;   in Loop: Header=BB6_1188 Depth=4
	v_mov_b32_e32 v7, -1
	v_cmp_gt_i16_sdwa vcc, sext(v12), v7 src0_sel:BYTE_0 src1_sel:DWORD
	v_mov_b32_e32 v7, 0xc7600000
	v_mov_b32_e32 v12, 0x47600000
	v_cndmask_b32_e32 v7, v7, v12, vcc
	v_cmp_eq_u32_e32 vcc, 0, v14
	v_mov_b32_e32 v12, 0x7f800001
	v_cndmask_b32_e32 v7, v12, v7, vcc
; %bb.1309:                             ;   in Loop: Header=BB6_1188 Depth=4
	s_or_b64 exec, exec, s[68:69]
.LBB6_1310:                             ;   in Loop: Header=BB6_1188 Depth=4
	s_or_b64 exec, exec, s[28:29]
.LBB6_1311:                             ;   in Loop: Header=BB6_1188 Depth=4
	s_or_b64 exec, exec, s[30:31]
	v_cmp_ne_u16_sdwa vcc, v6, v51 src0_sel:BYTE_0 src1_sel:DWORD
	s_and_saveexec_b64 s[28:29], vcc
	s_cbranch_execz .LBB6_1319
; %bb.1312:                             ;   in Loop: Header=BB6_1188 Depth=4
	v_cmp_ne_u16_sdwa vcc, v6, s97 src0_sel:BYTE_0 src1_sel:DWORD
	v_bfrev_b32_e32 v13, 1
	s_and_saveexec_b64 s[30:31], vcc
	s_cbranch_execz .LBB6_1318
; %bb.1313:                             ;   in Loop: Header=BB6_1188 Depth=4
	v_and_b32_e32 v13, 0x7c0000, v16
	v_bfe_u32 v12, v16, 16, 2
	v_cmp_ne_u32_e32 vcc, s36, v13
                                        ; implicit-def: $vgpr13
	s_and_saveexec_b64 s[68:69], vcc
	s_xor_b64 s[68:69], exec, s[68:69]
	s_cbranch_execz .LBB6_1315
; %bb.1314:                             ;   in Loop: Header=BB6_1188 Depth=4
	v_ffbh_u32_e32 v14, v12
	v_min_u32_e32 v28, 32, v14
	v_subrev_u32_e32 v14, 29, v28
	v_bfe_u32 v13, v16, 18, 5
	v_lshlrev_b64 v[14:15], v14, v[6:7]
	v_sub_u32_e32 v15, 30, v28
	v_and_b32_e32 v14, 3, v14
	v_cmp_eq_u32_e32 vcc, 0, v13
	v_cndmask_b32_e32 v13, v13, v15, vcc
	v_cndmask_b32_e32 v12, v12, v14, vcc
	v_bfrev_b32_e32 v14, 28
	v_lshlrev_b32_e32 v6, 24, v6
	v_lshl_add_u32 v13, v13, 23, v14
	v_and_or_b32 v6, v6, s96, v13
	v_lshl_or_b32 v13, v12, 21, v6
                                        ; implicit-def: $vgpr12
                                        ; implicit-def: $vgpr6
.LBB6_1315:                             ;   in Loop: Header=BB6_1188 Depth=4
	s_andn2_saveexec_b64 s[68:69], s[68:69]
; %bb.1316:                             ;   in Loop: Header=BB6_1188 Depth=4
	v_mov_b32_e32 v13, -1
	v_cmp_gt_i16_sdwa vcc, sext(v6), v13 src0_sel:BYTE_0 src1_sel:DWORD
	v_mov_b32_e32 v6, 0xc7600000
	v_mov_b32_e32 v13, 0x47600000
	v_cndmask_b32_e32 v6, v6, v13, vcc
	v_cmp_eq_u32_e32 vcc, 0, v12
	v_mov_b32_e32 v12, 0x7f800001
	v_cndmask_b32_e32 v13, v12, v6, vcc
; %bb.1317:                             ;   in Loop: Header=BB6_1188 Depth=4
	s_or_b64 exec, exec, s[68:69]
.LBB6_1318:                             ;   in Loop: Header=BB6_1188 Depth=4
	s_or_b64 exec, exec, s[30:31]
.LBB6_1319:                             ;   in Loop: Header=BB6_1188 Depth=4
	s_or_b64 exec, exec, s[28:29]
	v_max_f32_e32 v6, v13, v13
	v_max_f32_e32 v7, v7, v7
	v_min_f32_e32 v7, v7, v6
.LBB6_1320:                             ;   in Loop: Header=BB6_1188 Depth=4
	v_and_b32_sdwa v12, v7, s97 dst_sel:DWORD dst_unused:UNUSED_PAD src0_sel:BYTE_3 src1_sel:DWORD
	v_and_b32_e32 v14, 0x7f800000, v7
	v_mov_b32_e32 v15, v51
	v_and_b32_e32 v50, 0x7fffff, v7
	v_or_b32_e32 v28, 0x7b, v12
	v_cmp_ne_u64_e32 vcc, s[52:53], v[14:15]
	s_and_saveexec_b64 s[28:29], vcc
	s_xor_b64 s[30:31], exec, s[28:29]
	s_cbranch_execz .LBB6_1330
; %bb.1321:                             ;   in Loop: Header=BB6_1188 Depth=4
	v_and_b32_e32 v14, 0x7fffffff, v7
	v_mov_b32_e32 v15, v51
	v_cmp_gt_u64_e32 vcc, s[54:55], v[14:15]
	s_and_saveexec_b64 s[68:69], vcc
	s_cbranch_execz .LBB6_1329
; %bb.1322:                             ;   in Loop: Header=BB6_1188 Depth=4
	v_cmp_ne_u32_e32 vcc, 0, v7
	v_mov_b32_e32 v28, 0
	s_and_saveexec_b64 s[70:71], vcc
	s_cbranch_execz .LBB6_1328
; %bb.1323:                             ;   in Loop: Header=BB6_1188 Depth=4
	v_bfe_u32 v6, v7, 23, 8
	v_cmp_eq_u32_e32 vcc, 0, v6
	v_add_u32_e32 v7, 0xffffff81, v6
	v_cmp_gt_u32_e64 s[28:29], s38, v6
	v_sub_u32_e32 v6, 0x71, v6
	v_mov_b32_e32 v14, 0xffffff82
	v_cndmask_b32_e64 v6, 0, v6, s[28:29]
	v_cndmask_b32_e32 v28, v7, v14, vcc
	v_mov_b32_e32 v7, 0x70
	v_cndmask_b32_e32 v29, v6, v7, vcc
	v_add_u32_e32 v6, 21, v29
	v_or_b32_e32 v13, 0x800000, v50
	v_lshlrev_b64 v[6:7], v6, -1
	v_cndmask_b32_e32 v50, v13, v50, vcc
	v_not_b32_e32 v7, v7
	v_not_b32_e32 v6, v6
	v_add_u32_e32 v13, 20, v29
	v_and_b32_e32 v7, 0, v7
	v_and_b32_e32 v6, v50, v6
	v_lshlrev_b64 v[14:15], v13, 1
	v_cmp_eq_u64_e32 vcc, v[6:7], v[14:15]
	v_lshrrev_b64 v[6:7], v29, v[50:51]
	v_lshrrev_b32_e32 v13, 23, v6
	v_add3_u32 v15, v29, v28, v13
	v_bfe_u32 v13, v6, 21, 1
	v_add_u32_e32 v13, -1, v13
	v_cndmask_b32_e32 v13, 0, v13, vcc
	v_add_u32_e32 v13, v13, v6
	v_and_b32_e32 v13, 0x1fffff, v13
	v_add_co_u32_e32 v6, vcc, v13, v6
	v_add_u32_e32 v14, 14, v15
	v_addc_co_u32_e32 v7, vcc, 0, v7, vcc
	v_cmp_ne_u32_e32 vcc, 0, v14
                                        ; implicit-def: $vgpr13
	s_and_saveexec_b64 s[28:29], vcc
	s_xor_b64 s[28:29], exec, s[28:29]
; %bb.1324:                             ;   in Loop: Header=BB6_1188 Depth=4
	v_add_u32_e32 v13, 15, v15
	v_cmp_lt_u64_e32 vcc, s[56:57], v[6:7]
	v_cndmask_b32_e32 v13, v14, v13, vcc
	v_cndmask_b32_e64 v14, 0, 1, vcc
	v_lshrrev_b64 v[6:7], v14, v[6:7]
; %bb.1325:                             ;   in Loop: Header=BB6_1188 Depth=4
	s_andn2_saveexec_b64 s[28:29], s[28:29]
; %bb.1326:                             ;   in Loop: Header=BB6_1188 Depth=4
	v_bfe_u32 v13, v6, 23, 1
; %bb.1327:                             ;   in Loop: Header=BB6_1188 Depth=4
	s_or_b64 exec, exec, s[28:29]
	v_lshrrev_b64 v[6:7], 21, v[6:7]
	v_cmp_gt_i32_e32 vcc, 32, v13
	v_cndmask_b32_e32 v7, 0, v7, vcc
	v_cndmask_b32_e32 v6, 3, v6, vcc
	v_cmp_eq_u64_e64 s[28:29], 0, v[6:7]
	v_min_i32_e32 v7, 31, v13
	v_cmp_eq_u32_e32 vcc, 0, v13
	v_lshlrev_b32_e32 v7, 2, v7
	v_and_or_b32 v6, v6, 3, v7
	s_and_b64 s[28:29], vcc, s[28:29]
	v_cndmask_b32_e64 v6, v6, 0, s[28:29]
	v_or_b32_e32 v28, v6, v12
.LBB6_1328:                             ;   in Loop: Header=BB6_1188 Depth=4
	s_or_b64 exec, exec, s[70:71]
.LBB6_1329:                             ;   in Loop: Header=BB6_1188 Depth=4
	s_or_b64 exec, exec, s[68:69]
                                        ; implicit-def: $vgpr7
.LBB6_1330:                             ;   in Loop: Header=BB6_1188 Depth=4
	s_andn2_saveexec_b64 s[28:29], s[30:31]
; %bb.1331:                             ;   in Loop: Header=BB6_1188 Depth=4
	v_or_b32_sdwa v6, v7, s39 dst_sel:DWORD dst_unused:UNUSED_PAD src0_sel:BYTE_3 src1_sel:DWORD
	v_cmp_eq_u64_e32 vcc, 0, v[50:51]
	v_cndmask_b32_e32 v28, v6, v28, vcc
; %bb.1332:                             ;   in Loop: Header=BB6_1188 Depth=4
	s_or_b64 exec, exec, s[28:29]
	v_lshrrev_b32_e32 v12, 24, v20
	v_lshrrev_b32_e32 v6, 24, v16
	v_cmp_lt_u32_e64 s[28:29], s43, v20
	s_and_b64 vcc, exec, s[66:67]
	s_cbranch_vccz .LBB6_1350
; %bb.1333:                             ;   in Loop: Header=BB6_1188 Depth=4
	v_mov_b32_e32 v13, 0
	v_mov_b32_e32 v7, 0
	s_and_saveexec_b64 s[30:31], s[28:29]
	s_cbranch_execz .LBB6_1341
; %bb.1334:                             ;   in Loop: Header=BB6_1188 Depth=4
	v_cmp_ne_u32_e32 vcc, s97, v12
	v_bfrev_b32_e32 v7, 1
	s_and_saveexec_b64 s[68:69], vcc
	s_cbranch_execz .LBB6_1340
; %bb.1335:                             ;   in Loop: Header=BB6_1188 Depth=4
	v_and_b32_e32 v7, 0x7c000000, v20
	v_bfe_u32 v14, v20, 24, 2
	v_cmp_ne_u32_e32 vcc, s37, v7
                                        ; implicit-def: $vgpr7
	s_and_saveexec_b64 s[70:71], vcc
	s_xor_b64 s[70:71], exec, s[70:71]
	s_cbranch_execz .LBB6_1337
; %bb.1336:                             ;   in Loop: Header=BB6_1188 Depth=4
	v_ffbh_u32_e32 v15, v14
	v_bfe_u32 v7, v20, 26, 5
	v_min_u32_e32 v15, 32, v15
	v_subrev_u32_e32 v29, 29, v15
	v_sub_u32_e32 v15, 30, v15
	v_cmp_eq_u32_e32 vcc, 0, v7
	v_lshlrev_b64 v[30:31], v29, v[12:13]
	v_cndmask_b32_e32 v7, v7, v15, vcc
	v_bfrev_b32_e32 v15, 28
	v_and_b32_e32 v29, 3, v30
	v_lshl_add_u32 v7, v7, 23, v15
	v_cndmask_b32_e32 v14, v14, v29, vcc
	v_and_or_b32 v7, v20, s96, v7
	v_lshl_or_b32 v7, v14, 21, v7
                                        ; implicit-def: $vgpr14
.LBB6_1337:                             ;   in Loop: Header=BB6_1188 Depth=4
	s_andn2_saveexec_b64 s[70:71], s[70:71]
; %bb.1338:                             ;   in Loop: Header=BB6_1188 Depth=4
	v_cmp_lt_i32_e32 vcc, -1, v20
	v_mov_b32_e32 v7, 0xc7600000
	v_mov_b32_e32 v15, 0x47600000
	v_cndmask_b32_e32 v7, v7, v15, vcc
	v_cmp_eq_u32_e32 vcc, 0, v14
	v_mov_b32_e32 v14, 0x7f800001
	v_cndmask_b32_e32 v7, v14, v7, vcc
; %bb.1339:                             ;   in Loop: Header=BB6_1188 Depth=4
	s_or_b64 exec, exec, s[70:71]
.LBB6_1340:                             ;   in Loop: Header=BB6_1188 Depth=4
	s_or_b64 exec, exec, s[68:69]
.LBB6_1341:                             ;   in Loop: Header=BB6_1188 Depth=4
	s_or_b64 exec, exec, s[30:31]
	v_cmp_lt_u32_e32 vcc, s43, v16
	s_and_saveexec_b64 s[30:31], vcc
	s_cbranch_execz .LBB6_1349
; %bb.1342:                             ;   in Loop: Header=BB6_1188 Depth=4
	v_cmp_ne_u32_e32 vcc, s97, v6
	v_bfrev_b32_e32 v13, 1
	s_and_saveexec_b64 s[68:69], vcc
	s_cbranch_execz .LBB6_1348
; %bb.1343:                             ;   in Loop: Header=BB6_1188 Depth=4
	v_and_b32_e32 v13, 0x7c000000, v16
	v_bfe_u32 v14, v16, 24, 2
	v_cmp_ne_u32_e32 vcc, s37, v13
                                        ; implicit-def: $vgpr13
	s_and_saveexec_b64 s[70:71], vcc
	s_xor_b64 s[70:71], exec, s[70:71]
	s_cbranch_execz .LBB6_1345
; %bb.1344:                             ;   in Loop: Header=BB6_1188 Depth=4
	v_ffbh_u32_e32 v15, v14
	v_bfe_u32 v13, v16, 26, 5
	v_min_u32_e32 v15, 32, v15
	v_subrev_u32_e32 v29, 29, v15
	v_sub_u32_e32 v15, 30, v15
	v_cmp_eq_u32_e32 vcc, 0, v13
	v_lshlrev_b64 v[30:31], v29, v[6:7]
	v_cndmask_b32_e32 v13, v13, v15, vcc
	v_bfrev_b32_e32 v15, 28
	v_and_b32_e32 v29, 3, v30
	v_lshl_add_u32 v13, v13, 23, v15
	v_cndmask_b32_e32 v14, v14, v29, vcc
	v_and_or_b32 v13, v16, s96, v13
	v_lshl_or_b32 v13, v14, 21, v13
                                        ; implicit-def: $vgpr14
.LBB6_1345:                             ;   in Loop: Header=BB6_1188 Depth=4
	s_andn2_saveexec_b64 s[70:71], s[70:71]
; %bb.1346:                             ;   in Loop: Header=BB6_1188 Depth=4
	v_cmp_lt_i32_e32 vcc, -1, v16
	v_mov_b32_e32 v13, 0xc7600000
	v_mov_b32_e32 v15, 0x47600000
	v_cndmask_b32_e32 v13, v13, v15, vcc
	v_cmp_eq_u32_e32 vcc, 0, v14
	v_mov_b32_e32 v14, 0x7f800001
	v_cndmask_b32_e32 v13, v14, v13, vcc
; %bb.1347:                             ;   in Loop: Header=BB6_1188 Depth=4
	s_or_b64 exec, exec, s[70:71]
.LBB6_1348:                             ;   in Loop: Header=BB6_1188 Depth=4
	s_or_b64 exec, exec, s[68:69]
.LBB6_1349:                             ;   in Loop: Header=BB6_1188 Depth=4
	s_or_b64 exec, exec, s[30:31]
	v_max_f32_e32 v13, v13, v13
	v_max_f32_e32 v7, v7, v7
	;; [unrolled: 1-line block ×3, first 2 shown]
	s_branch .LBB6_1368
.LBB6_1350:                             ;   in Loop: Header=BB6_1188 Depth=4
                                        ; implicit-def: $vgpr7
	s_cbranch_execz .LBB6_1368
; %bb.1351:                             ;   in Loop: Header=BB6_1188 Depth=4
	v_mov_b32_e32 v13, 0
	v_mov_b32_e32 v7, 0
	s_and_saveexec_b64 s[30:31], s[28:29]
	s_cbranch_execz .LBB6_1359
; %bb.1352:                             ;   in Loop: Header=BB6_1188 Depth=4
	v_cmp_ne_u32_e32 vcc, s97, v12
	v_bfrev_b32_e32 v7, 1
	s_and_saveexec_b64 s[28:29], vcc
	s_cbranch_execz .LBB6_1358
; %bb.1353:                             ;   in Loop: Header=BB6_1188 Depth=4
	v_and_b32_e32 v7, 0x7c000000, v20
	v_bfe_u32 v14, v20, 24, 2
	v_cmp_ne_u32_e32 vcc, s37, v7
                                        ; implicit-def: $vgpr7
	s_and_saveexec_b64 s[68:69], vcc
	s_xor_b64 s[68:69], exec, s[68:69]
	s_cbranch_execz .LBB6_1355
; %bb.1354:                             ;   in Loop: Header=BB6_1188 Depth=4
	v_ffbh_u32_e32 v15, v14
	v_min_u32_e32 v15, 32, v15
	v_subrev_u32_e32 v29, 29, v15
	v_bfe_u32 v7, v20, 26, 5
	v_lshlrev_b64 v[30:31], v29, v[12:13]
	v_sub_u32_e32 v12, 30, v15
	v_and_b32_e32 v15, 3, v30
	v_cmp_eq_u32_e32 vcc, 0, v7
	v_cndmask_b32_e32 v7, v7, v12, vcc
	v_cndmask_b32_e32 v12, v14, v15, vcc
	v_bfrev_b32_e32 v14, 28
	v_lshl_add_u32 v7, v7, 23, v14
	v_and_or_b32 v7, v20, s96, v7
	v_lshl_or_b32 v7, v12, 21, v7
                                        ; implicit-def: $vgpr14
.LBB6_1355:                             ;   in Loop: Header=BB6_1188 Depth=4
	s_andn2_saveexec_b64 s[68:69], s[68:69]
; %bb.1356:                             ;   in Loop: Header=BB6_1188 Depth=4
	v_cmp_lt_i32_e32 vcc, -1, v20
	v_mov_b32_e32 v7, 0xc7600000
	v_mov_b32_e32 v12, 0x47600000
	v_cndmask_b32_e32 v7, v7, v12, vcc
	v_cmp_eq_u32_e32 vcc, 0, v14
	v_mov_b32_e32 v12, 0x7f800001
	v_cndmask_b32_e32 v7, v12, v7, vcc
; %bb.1357:                             ;   in Loop: Header=BB6_1188 Depth=4
	s_or_b64 exec, exec, s[68:69]
.LBB6_1358:                             ;   in Loop: Header=BB6_1188 Depth=4
	s_or_b64 exec, exec, s[28:29]
.LBB6_1359:                             ;   in Loop: Header=BB6_1188 Depth=4
	s_or_b64 exec, exec, s[30:31]
	v_cmp_lt_u32_e32 vcc, s43, v16
	s_and_saveexec_b64 s[28:29], vcc
	s_cbranch_execz .LBB6_1367
; %bb.1360:                             ;   in Loop: Header=BB6_1188 Depth=4
	v_cmp_ne_u32_e32 vcc, s97, v6
	v_bfrev_b32_e32 v13, 1
	s_and_saveexec_b64 s[30:31], vcc
	s_cbranch_execz .LBB6_1366
; %bb.1361:                             ;   in Loop: Header=BB6_1188 Depth=4
	v_and_b32_e32 v13, 0x7c000000, v16
	v_bfe_u32 v12, v16, 24, 2
	v_cmp_ne_u32_e32 vcc, s37, v13
                                        ; implicit-def: $vgpr13
	s_and_saveexec_b64 s[68:69], vcc
	s_xor_b64 s[68:69], exec, s[68:69]
	s_cbranch_execz .LBB6_1363
; %bb.1362:                             ;   in Loop: Header=BB6_1188 Depth=4
	v_ffbh_u32_e32 v14, v12
	v_min_u32_e32 v29, 32, v14
	v_bfe_u32 v13, v16, 26, 5
	v_subrev_u32_e32 v14, 29, v29
	v_lshlrev_b64 v[14:15], v14, v[6:7]
	v_sub_u32_e32 v6, 30, v29
	v_cmp_eq_u32_e32 vcc, 0, v13
	v_cndmask_b32_e32 v6, v13, v6, vcc
	v_bfrev_b32_e32 v13, 28
	v_and_b32_e32 v14, 3, v14
	v_lshl_add_u32 v6, v6, 23, v13
	v_cndmask_b32_e32 v12, v12, v14, vcc
	v_and_or_b32 v6, v16, s96, v6
	v_lshl_or_b32 v13, v12, 21, v6
                                        ; implicit-def: $vgpr12
.LBB6_1363:                             ;   in Loop: Header=BB6_1188 Depth=4
	s_andn2_saveexec_b64 s[68:69], s[68:69]
; %bb.1364:                             ;   in Loop: Header=BB6_1188 Depth=4
	v_cmp_lt_i32_e32 vcc, -1, v16
	v_mov_b32_e32 v6, 0xc7600000
	v_mov_b32_e32 v13, 0x47600000
	v_cndmask_b32_e32 v6, v6, v13, vcc
	v_cmp_eq_u32_e32 vcc, 0, v12
	v_mov_b32_e32 v12, 0x7f800001
	v_cndmask_b32_e32 v13, v12, v6, vcc
; %bb.1365:                             ;   in Loop: Header=BB6_1188 Depth=4
	s_or_b64 exec, exec, s[68:69]
.LBB6_1366:                             ;   in Loop: Header=BB6_1188 Depth=4
	s_or_b64 exec, exec, s[30:31]
.LBB6_1367:                             ;   in Loop: Header=BB6_1188 Depth=4
	s_or_b64 exec, exec, s[28:29]
	v_max_f32_e32 v6, v13, v13
	v_max_f32_e32 v7, v7, v7
	v_min_f32_e32 v7, v7, v6
.LBB6_1368:                             ;   in Loop: Header=BB6_1188 Depth=4
	v_and_b32_sdwa v12, v7, s97 dst_sel:DWORD dst_unused:UNUSED_PAD src0_sel:BYTE_3 src1_sel:DWORD
	v_and_b32_e32 v14, 0x7f800000, v7
	v_mov_b32_e32 v15, v51
	v_and_b32_e32 v50, 0x7fffff, v7
	v_or_b32_e32 v29, 0x7b, v12
	v_cmp_ne_u64_e32 vcc, s[52:53], v[14:15]
	s_and_saveexec_b64 s[28:29], vcc
	s_xor_b64 s[30:31], exec, s[28:29]
	s_cbranch_execz .LBB6_1378
; %bb.1369:                             ;   in Loop: Header=BB6_1188 Depth=4
	v_and_b32_e32 v14, 0x7fffffff, v7
	v_mov_b32_e32 v15, v51
	v_cmp_gt_u64_e32 vcc, s[54:55], v[14:15]
	s_and_saveexec_b64 s[68:69], vcc
	s_cbranch_execz .LBB6_1377
; %bb.1370:                             ;   in Loop: Header=BB6_1188 Depth=4
	v_cmp_ne_u32_e32 vcc, 0, v7
	v_mov_b32_e32 v29, 0
	s_and_saveexec_b64 s[70:71], vcc
	s_cbranch_execz .LBB6_1376
; %bb.1371:                             ;   in Loop: Header=BB6_1188 Depth=4
	v_bfe_u32 v6, v7, 23, 8
	v_cmp_eq_u32_e32 vcc, 0, v6
	v_add_u32_e32 v7, 0xffffff81, v6
	v_cmp_gt_u32_e64 s[28:29], s38, v6
	v_sub_u32_e32 v6, 0x71, v6
	v_mov_b32_e32 v14, 0xffffff82
	v_cndmask_b32_e64 v6, 0, v6, s[28:29]
	v_cndmask_b32_e32 v29, v7, v14, vcc
	v_mov_b32_e32 v7, 0x70
	v_cndmask_b32_e32 v30, v6, v7, vcc
	v_add_u32_e32 v6, 21, v30
	v_or_b32_e32 v13, 0x800000, v50
	v_lshlrev_b64 v[6:7], v6, -1
	v_cndmask_b32_e32 v50, v13, v50, vcc
	v_not_b32_e32 v7, v7
	v_not_b32_e32 v6, v6
	v_add_u32_e32 v13, 20, v30
	v_and_b32_e32 v7, 0, v7
	v_and_b32_e32 v6, v50, v6
	v_lshlrev_b64 v[14:15], v13, 1
	v_cmp_eq_u64_e32 vcc, v[6:7], v[14:15]
	v_lshrrev_b64 v[6:7], v30, v[50:51]
	v_lshrrev_b32_e32 v13, 23, v6
	v_add3_u32 v15, v30, v29, v13
	v_bfe_u32 v13, v6, 21, 1
	v_add_u32_e32 v13, -1, v13
	v_cndmask_b32_e32 v13, 0, v13, vcc
	v_add_u32_e32 v13, v13, v6
	v_and_b32_e32 v13, 0x1fffff, v13
	v_add_co_u32_e32 v6, vcc, v13, v6
	v_add_u32_e32 v14, 14, v15
	v_addc_co_u32_e32 v7, vcc, 0, v7, vcc
	v_cmp_ne_u32_e32 vcc, 0, v14
                                        ; implicit-def: $vgpr13
	s_and_saveexec_b64 s[28:29], vcc
	s_xor_b64 s[28:29], exec, s[28:29]
; %bb.1372:                             ;   in Loop: Header=BB6_1188 Depth=4
	v_add_u32_e32 v13, 15, v15
	v_cmp_lt_u64_e32 vcc, s[56:57], v[6:7]
	v_cndmask_b32_e32 v13, v14, v13, vcc
	v_cndmask_b32_e64 v14, 0, 1, vcc
	v_lshrrev_b64 v[6:7], v14, v[6:7]
; %bb.1373:                             ;   in Loop: Header=BB6_1188 Depth=4
	s_andn2_saveexec_b64 s[28:29], s[28:29]
; %bb.1374:                             ;   in Loop: Header=BB6_1188 Depth=4
	v_bfe_u32 v13, v6, 23, 1
; %bb.1375:                             ;   in Loop: Header=BB6_1188 Depth=4
	s_or_b64 exec, exec, s[28:29]
	v_lshrrev_b64 v[6:7], 21, v[6:7]
	v_cmp_gt_i32_e32 vcc, 32, v13
	v_cndmask_b32_e32 v7, 0, v7, vcc
	v_cndmask_b32_e32 v6, 3, v6, vcc
	v_cmp_eq_u64_e64 s[28:29], 0, v[6:7]
	v_min_i32_e32 v7, 31, v13
	v_cmp_eq_u32_e32 vcc, 0, v13
	v_lshlrev_b32_e32 v7, 2, v7
	v_and_or_b32 v6, v6, 3, v7
	s_and_b64 s[28:29], vcc, s[28:29]
	v_cndmask_b32_e64 v6, v6, 0, s[28:29]
	v_or_b32_e32 v29, v6, v12
.LBB6_1376:                             ;   in Loop: Header=BB6_1188 Depth=4
	s_or_b64 exec, exec, s[70:71]
.LBB6_1377:                             ;   in Loop: Header=BB6_1188 Depth=4
	s_or_b64 exec, exec, s[68:69]
                                        ; implicit-def: $vgpr7
.LBB6_1378:                             ;   in Loop: Header=BB6_1188 Depth=4
	s_andn2_saveexec_b64 s[28:29], s[30:31]
; %bb.1379:                             ;   in Loop: Header=BB6_1188 Depth=4
	v_or_b32_sdwa v6, v7, s39 dst_sel:DWORD dst_unused:UNUSED_PAD src0_sel:BYTE_3 src1_sel:DWORD
	v_cmp_eq_u64_e32 vcc, 0, v[50:51]
	v_cndmask_b32_e32 v29, v6, v29, vcc
; %bb.1380:                             ;   in Loop: Header=BB6_1188 Depth=4
	s_or_b64 exec, exec, s[28:29]
	v_mov_b32_e32 v50, v21
	v_mov_b32_e32 v6, v17
	;; [unrolled: 1-line block ×3, first 2 shown]
	v_cmp_ne_u16_sdwa s[28:29], v21, v51 src0_sel:BYTE_0 src1_sel:DWORD
	s_and_b64 vcc, exec, s[66:67]
	s_cbranch_vccz .LBB6_1398
; %bb.1381:                             ;   in Loop: Header=BB6_1188 Depth=4
	v_mov_b32_e32 v13, 0
	v_mov_b32_e32 v12, 0
	s_and_saveexec_b64 s[30:31], s[28:29]
	s_cbranch_execz .LBB6_1389
; %bb.1382:                             ;   in Loop: Header=BB6_1188 Depth=4
	v_cmp_ne_u16_sdwa vcc, v21, s97 src0_sel:BYTE_0 src1_sel:DWORD
	v_bfrev_b32_e32 v12, 1
	s_and_saveexec_b64 s[68:69], vcc
	s_cbranch_execz .LBB6_1388
; %bb.1383:                             ;   in Loop: Header=BB6_1188 Depth=4
	v_and_b32_e32 v12, 0x7c, v21
	v_and_b32_e32 v14, 3, v21
	v_cmp_ne_u32_e32 vcc, s95, v12
                                        ; implicit-def: $vgpr12
	s_and_saveexec_b64 s[70:71], vcc
	s_xor_b64 s[70:71], exec, s[70:71]
	s_cbranch_execz .LBB6_1385
; %bb.1384:                             ;   in Loop: Header=BB6_1188 Depth=4
	v_ffbh_u32_e32 v15, v14
	v_min_u32_e32 v15, 32, v15
	v_subrev_u32_e32 v30, 29, v15
	v_bfe_u32 v12, v21, 2, 5
	v_lshlrev_b64 v[30:31], v30, v[50:51]
	v_sub_u32_e32 v15, 30, v15
	v_and_b32_e32 v30, 3, v30
	v_cmp_eq_u32_e32 vcc, 0, v12
	v_cndmask_b32_e32 v12, v12, v15, vcc
	v_cndmask_b32_e32 v14, v14, v30, vcc
	v_bfrev_b32_e32 v30, 28
	v_lshlrev_b32_e32 v15, 24, v21
	v_lshl_add_u32 v12, v12, 23, v30
	v_and_or_b32 v12, v15, s96, v12
	v_lshl_or_b32 v12, v14, 21, v12
                                        ; implicit-def: $vgpr14
.LBB6_1385:                             ;   in Loop: Header=BB6_1188 Depth=4
	s_andn2_saveexec_b64 s[70:71], s[70:71]
; %bb.1386:                             ;   in Loop: Header=BB6_1188 Depth=4
	v_mov_b32_e32 v12, -1
	v_cmp_gt_i16_sdwa vcc, sext(v21), v12 src0_sel:BYTE_0 src1_sel:DWORD
	v_mov_b32_e32 v12, 0xc7600000
	v_mov_b32_e32 v15, 0x47600000
	v_cndmask_b32_e32 v12, v12, v15, vcc
	v_cmp_eq_u32_e32 vcc, 0, v14
	v_mov_b32_e32 v14, 0x7f800001
	v_cndmask_b32_e32 v12, v14, v12, vcc
; %bb.1387:                             ;   in Loop: Header=BB6_1188 Depth=4
	s_or_b64 exec, exec, s[70:71]
.LBB6_1388:                             ;   in Loop: Header=BB6_1188 Depth=4
	s_or_b64 exec, exec, s[68:69]
.LBB6_1389:                             ;   in Loop: Header=BB6_1188 Depth=4
	s_or_b64 exec, exec, s[30:31]
	v_cmp_ne_u16_sdwa vcc, v17, v51 src0_sel:BYTE_0 src1_sel:DWORD
	s_and_saveexec_b64 s[30:31], vcc
	s_cbranch_execz .LBB6_1397
; %bb.1390:                             ;   in Loop: Header=BB6_1188 Depth=4
	v_cmp_ne_u16_sdwa vcc, v17, s97 src0_sel:BYTE_0 src1_sel:DWORD
	v_bfrev_b32_e32 v13, 1
	s_and_saveexec_b64 s[68:69], vcc
	s_cbranch_execz .LBB6_1396
; %bb.1391:                             ;   in Loop: Header=BB6_1188 Depth=4
	v_and_b32_e32 v13, 0x7c, v17
	v_and_b32_e32 v14, 3, v17
	v_cmp_ne_u32_e32 vcc, s95, v13
                                        ; implicit-def: $vgpr13
	s_and_saveexec_b64 s[70:71], vcc
	s_xor_b64 s[70:71], exec, s[70:71]
	s_cbranch_execz .LBB6_1393
; %bb.1392:                             ;   in Loop: Header=BB6_1188 Depth=4
	v_ffbh_u32_e32 v15, v14
	v_min_u32_e32 v15, 32, v15
	v_subrev_u32_e32 v30, 29, v15
	v_bfe_u32 v13, v17, 2, 5
	v_lshlrev_b64 v[30:31], v30, v[6:7]
	v_sub_u32_e32 v15, 30, v15
	v_and_b32_e32 v30, 3, v30
	v_cmp_eq_u32_e32 vcc, 0, v13
	v_cndmask_b32_e32 v13, v13, v15, vcc
	v_cndmask_b32_e32 v14, v14, v30, vcc
	v_bfrev_b32_e32 v30, 28
	v_lshlrev_b32_e32 v15, 24, v17
	v_lshl_add_u32 v13, v13, 23, v30
	v_and_or_b32 v13, v15, s96, v13
	v_lshl_or_b32 v13, v14, 21, v13
                                        ; implicit-def: $vgpr14
.LBB6_1393:                             ;   in Loop: Header=BB6_1188 Depth=4
	s_andn2_saveexec_b64 s[70:71], s[70:71]
; %bb.1394:                             ;   in Loop: Header=BB6_1188 Depth=4
	v_mov_b32_e32 v13, -1
	v_cmp_gt_i16_sdwa vcc, sext(v17), v13 src0_sel:BYTE_0 src1_sel:DWORD
	v_mov_b32_e32 v13, 0xc7600000
	v_mov_b32_e32 v15, 0x47600000
	v_cndmask_b32_e32 v13, v13, v15, vcc
	v_cmp_eq_u32_e32 vcc, 0, v14
	v_mov_b32_e32 v14, 0x7f800001
	v_cndmask_b32_e32 v13, v14, v13, vcc
; %bb.1395:                             ;   in Loop: Header=BB6_1188 Depth=4
	s_or_b64 exec, exec, s[70:71]
.LBB6_1396:                             ;   in Loop: Header=BB6_1188 Depth=4
	s_or_b64 exec, exec, s[68:69]
.LBB6_1397:                             ;   in Loop: Header=BB6_1188 Depth=4
	s_or_b64 exec, exec, s[30:31]
	v_max_f32_e32 v13, v13, v13
	v_max_f32_e32 v12, v12, v12
	;; [unrolled: 1-line block ×3, first 2 shown]
	s_branch .LBB6_1416
.LBB6_1398:                             ;   in Loop: Header=BB6_1188 Depth=4
                                        ; implicit-def: $vgpr14
	s_cbranch_execz .LBB6_1416
; %bb.1399:                             ;   in Loop: Header=BB6_1188 Depth=4
	v_mov_b32_e32 v13, 0
	v_mov_b32_e32 v12, 0
	s_and_saveexec_b64 s[30:31], s[28:29]
	s_cbranch_execz .LBB6_1407
; %bb.1400:                             ;   in Loop: Header=BB6_1188 Depth=4
	v_cmp_ne_u16_sdwa vcc, v21, s97 src0_sel:BYTE_0 src1_sel:DWORD
	v_bfrev_b32_e32 v12, 1
	s_and_saveexec_b64 s[28:29], vcc
	s_cbranch_execz .LBB6_1406
; %bb.1401:                             ;   in Loop: Header=BB6_1188 Depth=4
	v_and_b32_e32 v12, 0x7c, v21
	v_and_b32_e32 v14, 3, v21
	v_cmp_ne_u32_e32 vcc, s95, v12
                                        ; implicit-def: $vgpr12
	s_and_saveexec_b64 s[68:69], vcc
	s_xor_b64 s[68:69], exec, s[68:69]
	s_cbranch_execz .LBB6_1403
; %bb.1402:                             ;   in Loop: Header=BB6_1188 Depth=4
	v_ffbh_u32_e32 v15, v14
	v_min_u32_e32 v15, 32, v15
	v_subrev_u32_e32 v30, 29, v15
	v_bfe_u32 v12, v21, 2, 5
	v_lshlrev_b64 v[30:31], v30, v[50:51]
	v_sub_u32_e32 v15, 30, v15
	v_and_b32_e32 v30, 3, v30
	v_cmp_eq_u32_e32 vcc, 0, v12
	v_cndmask_b32_e32 v12, v12, v15, vcc
	v_cndmask_b32_e32 v14, v14, v30, vcc
	v_bfrev_b32_e32 v30, 28
	v_lshlrev_b32_e32 v15, 24, v21
	v_lshl_add_u32 v12, v12, 23, v30
	v_and_or_b32 v12, v15, s96, v12
	v_lshl_or_b32 v12, v14, 21, v12
                                        ; implicit-def: $vgpr14
.LBB6_1403:                             ;   in Loop: Header=BB6_1188 Depth=4
	s_andn2_saveexec_b64 s[68:69], s[68:69]
; %bb.1404:                             ;   in Loop: Header=BB6_1188 Depth=4
	v_mov_b32_e32 v12, -1
	v_cmp_gt_i16_sdwa vcc, sext(v21), v12 src0_sel:BYTE_0 src1_sel:DWORD
	v_mov_b32_e32 v12, 0xc7600000
	v_mov_b32_e32 v15, 0x47600000
	v_cndmask_b32_e32 v12, v12, v15, vcc
	v_cmp_eq_u32_e32 vcc, 0, v14
	v_mov_b32_e32 v14, 0x7f800001
	v_cndmask_b32_e32 v12, v14, v12, vcc
; %bb.1405:                             ;   in Loop: Header=BB6_1188 Depth=4
	s_or_b64 exec, exec, s[68:69]
.LBB6_1406:                             ;   in Loop: Header=BB6_1188 Depth=4
	s_or_b64 exec, exec, s[28:29]
.LBB6_1407:                             ;   in Loop: Header=BB6_1188 Depth=4
	s_or_b64 exec, exec, s[30:31]
	v_cmp_ne_u16_sdwa vcc, v17, v51 src0_sel:BYTE_0 src1_sel:DWORD
	s_and_saveexec_b64 s[28:29], vcc
	s_cbranch_execz .LBB6_1415
; %bb.1408:                             ;   in Loop: Header=BB6_1188 Depth=4
	v_cmp_ne_u16_sdwa vcc, v17, s97 src0_sel:BYTE_0 src1_sel:DWORD
	v_bfrev_b32_e32 v13, 1
	s_and_saveexec_b64 s[30:31], vcc
	s_cbranch_execz .LBB6_1414
; %bb.1409:                             ;   in Loop: Header=BB6_1188 Depth=4
	v_and_b32_e32 v13, 0x7c, v17
	v_and_b32_e32 v14, 3, v17
	v_cmp_ne_u32_e32 vcc, s95, v13
                                        ; implicit-def: $vgpr13
	s_and_saveexec_b64 s[68:69], vcc
	s_xor_b64 s[68:69], exec, s[68:69]
	s_cbranch_execz .LBB6_1411
; %bb.1410:                             ;   in Loop: Header=BB6_1188 Depth=4
	v_ffbh_u32_e32 v15, v14
	v_min_u32_e32 v15, 32, v15
	v_subrev_u32_e32 v30, 29, v15
	v_bfe_u32 v13, v17, 2, 5
	v_lshlrev_b64 v[30:31], v30, v[6:7]
	v_sub_u32_e32 v7, 30, v15
	v_and_b32_e32 v15, 3, v30
	v_cmp_eq_u32_e32 vcc, 0, v13
	v_cndmask_b32_e32 v7, v13, v7, vcc
	v_cndmask_b32_e32 v13, v14, v15, vcc
	v_bfrev_b32_e32 v15, 28
	v_lshlrev_b32_e32 v14, 24, v17
	v_lshl_add_u32 v7, v7, 23, v15
	v_and_or_b32 v7, v14, s96, v7
	v_lshl_or_b32 v13, v13, 21, v7
                                        ; implicit-def: $vgpr14
.LBB6_1411:                             ;   in Loop: Header=BB6_1188 Depth=4
	s_andn2_saveexec_b64 s[68:69], s[68:69]
; %bb.1412:                             ;   in Loop: Header=BB6_1188 Depth=4
	v_mov_b32_e32 v7, -1
	v_cmp_gt_i16_sdwa vcc, sext(v17), v7 src0_sel:BYTE_0 src1_sel:DWORD
	v_mov_b32_e32 v7, 0xc7600000
	v_mov_b32_e32 v13, 0x47600000
	v_cndmask_b32_e32 v7, v7, v13, vcc
	v_cmp_eq_u32_e32 vcc, 0, v14
	v_mov_b32_e32 v13, 0x7f800001
	v_cndmask_b32_e32 v13, v13, v7, vcc
; %bb.1413:                             ;   in Loop: Header=BB6_1188 Depth=4
	s_or_b64 exec, exec, s[68:69]
.LBB6_1414:                             ;   in Loop: Header=BB6_1188 Depth=4
	s_or_b64 exec, exec, s[30:31]
.LBB6_1415:                             ;   in Loop: Header=BB6_1188 Depth=4
	s_or_b64 exec, exec, s[28:29]
	v_max_f32_e32 v7, v13, v13
	v_max_f32_e32 v12, v12, v12
	v_min_f32_e32 v14, v12, v7
.LBB6_1416:                             ;   in Loop: Header=BB6_1188 Depth=4
	v_and_b32_sdwa v7, v14, s97 dst_sel:DWORD dst_unused:UNUSED_PAD src0_sel:BYTE_3 src1_sel:DWORD
	v_and_b32_e32 v32, 0x7f800000, v14
	v_mov_b32_e32 v33, v51
	v_and_b32_e32 v12, 0x7fffff, v14
	v_mov_b32_e32 v13, v51
	v_or_b32_e32 v30, 0x7b, v7
	v_cmp_ne_u64_e32 vcc, s[52:53], v[32:33]
	s_and_saveexec_b64 s[28:29], vcc
	s_xor_b64 s[30:31], exec, s[28:29]
	s_cbranch_execz .LBB6_1426
; %bb.1417:                             ;   in Loop: Header=BB6_1188 Depth=4
	v_and_b32_e32 v32, 0x7fffffff, v14
	v_mov_b32_e32 v33, v51
	v_cmp_gt_u64_e32 vcc, s[54:55], v[32:33]
	s_and_saveexec_b64 s[68:69], vcc
	s_cbranch_execz .LBB6_1425
; %bb.1418:                             ;   in Loop: Header=BB6_1188 Depth=4
	v_cmp_ne_u32_e32 vcc, 0, v14
	v_mov_b32_e32 v30, 0
	s_and_saveexec_b64 s[70:71], vcc
	s_cbranch_execz .LBB6_1424
; %bb.1419:                             ;   in Loop: Header=BB6_1188 Depth=4
	v_bfe_u32 v14, v14, 23, 8
	v_cmp_eq_u32_e32 vcc, 0, v14
	v_add_u32_e32 v15, 0xffffff81, v14
	v_cmp_gt_u32_e64 s[28:29], s38, v14
	v_sub_u32_e32 v14, 0x71, v14
	v_mov_b32_e32 v31, 0xffffff82
	v_cndmask_b32_e64 v14, 0, v14, s[28:29]
	v_cndmask_b32_e32 v32, v15, v31, vcc
	v_mov_b32_e32 v15, 0x70
	v_cndmask_b32_e32 v33, v14, v15, vcc
	v_add_u32_e32 v14, 21, v33
	v_or_b32_e32 v30, 0x800000, v12
	v_lshlrev_b64 v[14:15], v14, -1
	v_cndmask_b32_e32 v12, v30, v12, vcc
	v_not_b32_e32 v15, v15
	v_not_b32_e32 v14, v14
	v_add_u32_e32 v30, 20, v33
	v_and_b32_e32 v15, 0, v15
	v_and_b32_e32 v14, v12, v14
	v_lshlrev_b64 v[30:31], v30, 1
	v_lshrrev_b64 v[12:13], v33, v[12:13]
	v_cmp_eq_u64_e32 vcc, v[14:15], v[30:31]
	v_lshrrev_b32_e32 v14, 23, v12
	v_add3_u32 v30, v33, v32, v14
	v_bfe_u32 v14, v12, 21, 1
	v_add_u32_e32 v14, -1, v14
	v_cndmask_b32_e32 v14, 0, v14, vcc
	v_add_u32_e32 v14, v14, v12
	v_and_b32_e32 v14, 0x1fffff, v14
	v_add_co_u32_e32 v12, vcc, v14, v12
	v_add_u32_e32 v15, 14, v30
	v_addc_co_u32_e32 v13, vcc, 0, v13, vcc
	v_cmp_ne_u32_e32 vcc, 0, v15
                                        ; implicit-def: $vgpr14
	s_and_saveexec_b64 s[28:29], vcc
	s_xor_b64 s[28:29], exec, s[28:29]
; %bb.1420:                             ;   in Loop: Header=BB6_1188 Depth=4
	v_add_u32_e32 v14, 15, v30
	v_cmp_lt_u64_e32 vcc, s[56:57], v[12:13]
	v_cndmask_b32_e32 v14, v15, v14, vcc
	v_cndmask_b32_e64 v15, 0, 1, vcc
	v_lshrrev_b64 v[12:13], v15, v[12:13]
; %bb.1421:                             ;   in Loop: Header=BB6_1188 Depth=4
	s_andn2_saveexec_b64 s[28:29], s[28:29]
; %bb.1422:                             ;   in Loop: Header=BB6_1188 Depth=4
	v_bfe_u32 v14, v12, 23, 1
; %bb.1423:                             ;   in Loop: Header=BB6_1188 Depth=4
	s_or_b64 exec, exec, s[28:29]
	v_lshrrev_b64 v[12:13], 21, v[12:13]
	v_cmp_gt_i32_e32 vcc, 32, v14
	v_cndmask_b32_e32 v13, 0, v13, vcc
	v_cndmask_b32_e32 v12, 3, v12, vcc
	v_cmp_eq_u64_e64 s[28:29], 0, v[12:13]
	v_min_i32_e32 v13, 31, v14
	v_cmp_eq_u32_e32 vcc, 0, v14
	v_lshlrev_b32_e32 v13, 2, v13
	v_and_or_b32 v12, v12, 3, v13
	s_and_b64 s[28:29], vcc, s[28:29]
	v_cndmask_b32_e64 v12, v12, 0, s[28:29]
	v_or_b32_e32 v30, v12, v7
.LBB6_1424:                             ;   in Loop: Header=BB6_1188 Depth=4
	s_or_b64 exec, exec, s[70:71]
.LBB6_1425:                             ;   in Loop: Header=BB6_1188 Depth=4
	s_or_b64 exec, exec, s[68:69]
                                        ; implicit-def: $vgpr14
                                        ; implicit-def: $vgpr12_vgpr13
.LBB6_1426:                             ;   in Loop: Header=BB6_1188 Depth=4
	s_andn2_saveexec_b64 s[28:29], s[30:31]
; %bb.1427:                             ;   in Loop: Header=BB6_1188 Depth=4
	v_or_b32_sdwa v7, v14, s39 dst_sel:DWORD dst_unused:UNUSED_PAD src0_sel:BYTE_3 src1_sel:DWORD
	v_cmp_eq_u64_e32 vcc, 0, v[12:13]
	v_cndmask_b32_e32 v30, v7, v30, vcc
; %bb.1428:                             ;   in Loop: Header=BB6_1188 Depth=4
	s_or_b64 exec, exec, s[28:29]
	v_lshrrev_b16_e32 v14, 8, v50
	v_lshrrev_b16_e32 v12, 8, v6
	v_cmp_ne_u16_e64 s[28:29], 0, v14
	s_and_b64 vcc, exec, s[66:67]
	s_cbranch_vccz .LBB6_1446
; %bb.1429:                             ;   in Loop: Header=BB6_1188 Depth=4
	v_mov_b32_e32 v13, 0
	v_mov_b32_e32 v7, 0
	s_and_saveexec_b64 s[30:31], s[28:29]
	s_cbranch_execz .LBB6_1437
; %bb.1430:                             ;   in Loop: Header=BB6_1188 Depth=4
	v_cmp_ne_u16_e32 vcc, s97, v14
	v_bfrev_b32_e32 v7, 1
	s_and_saveexec_b64 s[68:69], vcc
	s_cbranch_execz .LBB6_1436
; %bb.1431:                             ;   in Loop: Header=BB6_1188 Depth=4
	v_and_b32_e32 v7, 0x7c, v14
	v_and_b32_e32 v31, 3, v14
	v_cmp_ne_u32_e32 vcc, s95, v7
                                        ; implicit-def: $vgpr7
	s_and_saveexec_b64 s[70:71], vcc
	s_xor_b64 s[70:71], exec, s[70:71]
	s_cbranch_execz .LBB6_1433
; %bb.1432:                             ;   in Loop: Header=BB6_1188 Depth=4
	v_ffbh_u32_e32 v32, v31
	v_min_u32_e32 v34, 32, v32
	v_mov_b32_e32 v15, v51
	v_subrev_u32_e32 v32, 29, v34
	v_bfe_u32 v7, v14, 2, 5
	v_lshlrev_b64 v[32:33], v32, v[14:15]
	v_sub_u32_e32 v15, 30, v34
	v_and_b32_e32 v32, 3, v32
	v_cmp_eq_u32_e32 vcc, 0, v7
	v_cndmask_b32_e32 v7, v7, v15, vcc
	v_cndmask_b32_e32 v15, v31, v32, vcc
	v_bfrev_b32_e32 v32, 28
	v_lshlrev_b32_e32 v31, 16, v50
	v_lshl_add_u32 v7, v7, 23, v32
	v_and_or_b32 v7, v31, s96, v7
	v_lshl_or_b32 v7, v15, 21, v7
                                        ; implicit-def: $vgpr31
.LBB6_1433:                             ;   in Loop: Header=BB6_1188 Depth=4
	s_andn2_saveexec_b64 s[70:71], s[70:71]
; %bb.1434:                             ;   in Loop: Header=BB6_1188 Depth=4
	v_cmp_lt_i16_e32 vcc, -1, v50
	v_mov_b32_e32 v7, 0xc7600000
	v_mov_b32_e32 v15, 0x47600000
	v_cndmask_b32_e32 v7, v7, v15, vcc
	v_cmp_eq_u32_e32 vcc, 0, v31
	v_mov_b32_e32 v15, 0x7f800001
	v_cndmask_b32_e32 v7, v15, v7, vcc
; %bb.1435:                             ;   in Loop: Header=BB6_1188 Depth=4
	s_or_b64 exec, exec, s[70:71]
.LBB6_1436:                             ;   in Loop: Header=BB6_1188 Depth=4
	s_or_b64 exec, exec, s[68:69]
.LBB6_1437:                             ;   in Loop: Header=BB6_1188 Depth=4
	s_or_b64 exec, exec, s[30:31]
	v_cmp_ne_u16_e32 vcc, 0, v12
	s_and_saveexec_b64 s[30:31], vcc
	s_cbranch_execz .LBB6_1445
; %bb.1438:                             ;   in Loop: Header=BB6_1188 Depth=4
	v_cmp_ne_u16_e32 vcc, s97, v12
	v_bfrev_b32_e32 v13, 1
	s_and_saveexec_b64 s[68:69], vcc
	s_cbranch_execz .LBB6_1444
; %bb.1439:                             ;   in Loop: Header=BB6_1188 Depth=4
	v_and_b32_e32 v13, 0x7c, v12
	v_and_b32_e32 v15, 3, v12
	v_cmp_ne_u32_e32 vcc, s95, v13
                                        ; implicit-def: $vgpr13
	s_and_saveexec_b64 s[70:71], vcc
	s_xor_b64 s[70:71], exec, s[70:71]
	s_cbranch_execz .LBB6_1441
; %bb.1440:                             ;   in Loop: Header=BB6_1188 Depth=4
	v_ffbh_u32_e32 v32, v15
	v_min_u32_e32 v34, 32, v32
	v_mov_b32_e32 v13, v51
	v_subrev_u32_e32 v32, 29, v34
	v_bfe_u32 v31, v12, 2, 5
	v_lshlrev_b64 v[32:33], v32, v[12:13]
	v_sub_u32_e32 v13, 30, v34
	v_and_b32_e32 v32, 3, v32
	v_cmp_eq_u32_e32 vcc, 0, v31
	v_cndmask_b32_e32 v13, v31, v13, vcc
	v_cndmask_b32_e32 v15, v15, v32, vcc
	v_bfrev_b32_e32 v32, 28
	v_lshlrev_b32_e32 v31, 16, v6
	v_lshl_add_u32 v13, v13, 23, v32
	v_and_or_b32 v13, v31, s96, v13
	v_lshl_or_b32 v13, v15, 21, v13
                                        ; implicit-def: $vgpr15
.LBB6_1441:                             ;   in Loop: Header=BB6_1188 Depth=4
	s_andn2_saveexec_b64 s[70:71], s[70:71]
; %bb.1442:                             ;   in Loop: Header=BB6_1188 Depth=4
	v_cmp_lt_i16_e32 vcc, -1, v6
	v_mov_b32_e32 v13, 0xc7600000
	v_mov_b32_e32 v31, 0x47600000
	v_cndmask_b32_e32 v13, v13, v31, vcc
	v_cmp_eq_u32_e32 vcc, 0, v15
	v_mov_b32_e32 v15, 0x7f800001
	v_cndmask_b32_e32 v13, v15, v13, vcc
; %bb.1443:                             ;   in Loop: Header=BB6_1188 Depth=4
	s_or_b64 exec, exec, s[70:71]
.LBB6_1444:                             ;   in Loop: Header=BB6_1188 Depth=4
	s_or_b64 exec, exec, s[68:69]
.LBB6_1445:                             ;   in Loop: Header=BB6_1188 Depth=4
	s_or_b64 exec, exec, s[30:31]
	v_max_f32_e32 v13, v13, v13
	v_max_f32_e32 v7, v7, v7
	;; [unrolled: 1-line block ×3, first 2 shown]
	s_branch .LBB6_1464
.LBB6_1446:                             ;   in Loop: Header=BB6_1188 Depth=4
                                        ; implicit-def: $vgpr7
	s_cbranch_execz .LBB6_1464
; %bb.1447:                             ;   in Loop: Header=BB6_1188 Depth=4
	v_mov_b32_e32 v13, 0
	v_mov_b32_e32 v15, 0
	s_and_saveexec_b64 s[30:31], s[28:29]
	s_cbranch_execz .LBB6_1455
; %bb.1448:                             ;   in Loop: Header=BB6_1188 Depth=4
	v_cmp_ne_u16_e32 vcc, s97, v14
	v_bfrev_b32_e32 v15, 1
	s_and_saveexec_b64 s[28:29], vcc
	s_cbranch_execz .LBB6_1454
; %bb.1449:                             ;   in Loop: Header=BB6_1188 Depth=4
	v_and_b32_e32 v15, 0x7c, v14
	v_and_b32_e32 v7, 3, v14
	v_cmp_ne_u32_e32 vcc, s95, v15
                                        ; implicit-def: $vgpr15
	s_and_saveexec_b64 s[68:69], vcc
	s_xor_b64 s[68:69], exec, s[68:69]
	s_cbranch_execz .LBB6_1451
; %bb.1450:                             ;   in Loop: Header=BB6_1188 Depth=4
	v_ffbh_u32_e32 v32, v7
	v_min_u32_e32 v32, 32, v32
	v_mov_b32_e32 v15, v51
	v_subrev_u32_e32 v33, 29, v32
	v_bfe_u32 v31, v14, 2, 5
	v_lshlrev_b64 v[14:15], v33, v[14:15]
	v_sub_u32_e32 v15, 30, v32
	v_cmp_eq_u32_e32 vcc, 0, v31
	v_and_b32_e32 v14, 3, v14
	v_cndmask_b32_e32 v15, v31, v15, vcc
	v_bfrev_b32_e32 v31, 28
	v_cndmask_b32_e32 v7, v7, v14, vcc
	v_lshlrev_b32_e32 v14, 16, v50
	v_lshl_add_u32 v15, v15, 23, v31
	v_and_or_b32 v14, v14, s96, v15
	v_lshl_or_b32 v15, v7, 21, v14
                                        ; implicit-def: $vgpr7
.LBB6_1451:                             ;   in Loop: Header=BB6_1188 Depth=4
	s_andn2_saveexec_b64 s[68:69], s[68:69]
; %bb.1452:                             ;   in Loop: Header=BB6_1188 Depth=4
	v_cmp_lt_i16_e32 vcc, -1, v50
	v_mov_b32_e32 v14, 0xc7600000
	v_mov_b32_e32 v15, 0x47600000
	v_cndmask_b32_e32 v14, v14, v15, vcc
	v_cmp_eq_u32_e32 vcc, 0, v7
	v_mov_b32_e32 v7, 0x7f800001
	v_cndmask_b32_e32 v15, v7, v14, vcc
; %bb.1453:                             ;   in Loop: Header=BB6_1188 Depth=4
	s_or_b64 exec, exec, s[68:69]
.LBB6_1454:                             ;   in Loop: Header=BB6_1188 Depth=4
	s_or_b64 exec, exec, s[28:29]
.LBB6_1455:                             ;   in Loop: Header=BB6_1188 Depth=4
	s_or_b64 exec, exec, s[30:31]
	v_cmp_ne_u16_e32 vcc, 0, v12
	s_and_saveexec_b64 s[28:29], vcc
	s_cbranch_execz .LBB6_1463
; %bb.1456:                             ;   in Loop: Header=BB6_1188 Depth=4
	v_cmp_ne_u16_e32 vcc, s97, v12
	v_bfrev_b32_e32 v13, 1
	s_and_saveexec_b64 s[30:31], vcc
	s_cbranch_execz .LBB6_1462
; %bb.1457:                             ;   in Loop: Header=BB6_1188 Depth=4
	v_and_b32_e32 v7, 0x7c, v12
	v_and_b32_e32 v14, 3, v12
	v_cmp_ne_u32_e32 vcc, s95, v7
                                        ; implicit-def: $vgpr13
	s_and_saveexec_b64 s[68:69], vcc
	s_xor_b64 s[68:69], exec, s[68:69]
	s_cbranch_execz .LBB6_1459
; %bb.1458:                             ;   in Loop: Header=BB6_1188 Depth=4
	v_ffbh_u32_e32 v31, v14
	v_min_u32_e32 v31, 32, v31
	v_mov_b32_e32 v13, v51
	v_subrev_u32_e32 v32, 29, v31
	v_bfe_u32 v7, v12, 2, 5
	v_lshlrev_b64 v[12:13], v32, v[12:13]
	v_sub_u32_e32 v13, 30, v31
	v_cmp_eq_u32_e32 vcc, 0, v7
	v_cndmask_b32_e32 v7, v7, v13, vcc
	v_bfrev_b32_e32 v13, 28
	v_and_b32_e32 v12, 3, v12
	v_lshlrev_b32_e32 v6, 16, v6
	v_lshl_add_u32 v7, v7, 23, v13
	v_cndmask_b32_e32 v12, v14, v12, vcc
	v_and_or_b32 v6, v6, s96, v7
	v_lshl_or_b32 v13, v12, 21, v6
                                        ; implicit-def: $vgpr14
                                        ; implicit-def: $vgpr6_vgpr7
.LBB6_1459:                             ;   in Loop: Header=BB6_1188 Depth=4
	s_andn2_saveexec_b64 s[68:69], s[68:69]
; %bb.1460:                             ;   in Loop: Header=BB6_1188 Depth=4
	v_cmp_lt_i16_e32 vcc, -1, v6
	v_mov_b32_e32 v6, 0xc7600000
	v_mov_b32_e32 v7, 0x47600000
	v_cndmask_b32_e32 v6, v6, v7, vcc
	v_cmp_eq_u32_e32 vcc, 0, v14
	v_mov_b32_e32 v7, 0x7f800001
	v_cndmask_b32_e32 v13, v7, v6, vcc
; %bb.1461:                             ;   in Loop: Header=BB6_1188 Depth=4
	s_or_b64 exec, exec, s[68:69]
.LBB6_1462:                             ;   in Loop: Header=BB6_1188 Depth=4
	s_or_b64 exec, exec, s[30:31]
.LBB6_1463:                             ;   in Loop: Header=BB6_1188 Depth=4
	s_or_b64 exec, exec, s[28:29]
	v_max_f32_e32 v6, v13, v13
	v_max_f32_e32 v7, v15, v15
	v_min_f32_e32 v7, v7, v6
.LBB6_1464:                             ;   in Loop: Header=BB6_1188 Depth=4
	v_and_b32_sdwa v12, v7, s97 dst_sel:DWORD dst_unused:UNUSED_PAD src0_sel:BYTE_3 src1_sel:DWORD
	v_and_b32_e32 v14, 0x7f800000, v7
	v_mov_b32_e32 v15, v51
	v_and_b32_e32 v50, 0x7fffff, v7
	v_or_b32_e32 v31, 0x7b, v12
	v_cmp_ne_u64_e32 vcc, s[52:53], v[14:15]
	s_and_saveexec_b64 s[28:29], vcc
	s_xor_b64 s[30:31], exec, s[28:29]
	s_cbranch_execz .LBB6_1474
; %bb.1465:                             ;   in Loop: Header=BB6_1188 Depth=4
	v_and_b32_e32 v14, 0x7fffffff, v7
	v_mov_b32_e32 v15, v51
	v_cmp_gt_u64_e32 vcc, s[54:55], v[14:15]
	s_and_saveexec_b64 s[68:69], vcc
	s_cbranch_execz .LBB6_1473
; %bb.1466:                             ;   in Loop: Header=BB6_1188 Depth=4
	v_cmp_ne_u32_e32 vcc, 0, v7
	v_mov_b32_e32 v31, 0
	s_and_saveexec_b64 s[70:71], vcc
	s_cbranch_execz .LBB6_1472
; %bb.1467:                             ;   in Loop: Header=BB6_1188 Depth=4
	v_bfe_u32 v6, v7, 23, 8
	v_cmp_eq_u32_e32 vcc, 0, v6
	v_add_u32_e32 v7, 0xffffff81, v6
	v_cmp_gt_u32_e64 s[28:29], s38, v6
	v_sub_u32_e32 v6, 0x71, v6
	v_mov_b32_e32 v14, 0xffffff82
	v_cndmask_b32_e64 v6, 0, v6, s[28:29]
	v_cndmask_b32_e32 v31, v7, v14, vcc
	v_mov_b32_e32 v7, 0x70
	v_cndmask_b32_e32 v32, v6, v7, vcc
	v_add_u32_e32 v6, 21, v32
	v_or_b32_e32 v13, 0x800000, v50
	v_lshlrev_b64 v[6:7], v6, -1
	v_cndmask_b32_e32 v50, v13, v50, vcc
	v_not_b32_e32 v7, v7
	v_not_b32_e32 v6, v6
	v_add_u32_e32 v13, 20, v32
	v_and_b32_e32 v7, 0, v7
	v_and_b32_e32 v6, v50, v6
	v_lshlrev_b64 v[14:15], v13, 1
	v_cmp_eq_u64_e32 vcc, v[6:7], v[14:15]
	v_lshrrev_b64 v[6:7], v32, v[50:51]
	v_lshrrev_b32_e32 v13, 23, v6
	v_add3_u32 v15, v32, v31, v13
	v_bfe_u32 v13, v6, 21, 1
	v_add_u32_e32 v13, -1, v13
	v_cndmask_b32_e32 v13, 0, v13, vcc
	v_add_u32_e32 v13, v13, v6
	v_and_b32_e32 v13, 0x1fffff, v13
	v_add_co_u32_e32 v6, vcc, v13, v6
	v_add_u32_e32 v14, 14, v15
	v_addc_co_u32_e32 v7, vcc, 0, v7, vcc
	v_cmp_ne_u32_e32 vcc, 0, v14
                                        ; implicit-def: $vgpr13
	s_and_saveexec_b64 s[28:29], vcc
	s_xor_b64 s[28:29], exec, s[28:29]
; %bb.1468:                             ;   in Loop: Header=BB6_1188 Depth=4
	v_add_u32_e32 v13, 15, v15
	v_cmp_lt_u64_e32 vcc, s[56:57], v[6:7]
	v_cndmask_b32_e32 v13, v14, v13, vcc
	v_cndmask_b32_e64 v14, 0, 1, vcc
	v_lshrrev_b64 v[6:7], v14, v[6:7]
; %bb.1469:                             ;   in Loop: Header=BB6_1188 Depth=4
	s_andn2_saveexec_b64 s[28:29], s[28:29]
; %bb.1470:                             ;   in Loop: Header=BB6_1188 Depth=4
	v_bfe_u32 v13, v6, 23, 1
; %bb.1471:                             ;   in Loop: Header=BB6_1188 Depth=4
	s_or_b64 exec, exec, s[28:29]
	v_lshrrev_b64 v[6:7], 21, v[6:7]
	v_cmp_gt_i32_e32 vcc, 32, v13
	v_cndmask_b32_e32 v7, 0, v7, vcc
	v_cndmask_b32_e32 v6, 3, v6, vcc
	v_cmp_eq_u64_e64 s[28:29], 0, v[6:7]
	v_min_i32_e32 v7, 31, v13
	v_cmp_eq_u32_e32 vcc, 0, v13
	v_lshlrev_b32_e32 v7, 2, v7
	v_and_or_b32 v6, v6, 3, v7
	s_and_b64 s[28:29], vcc, s[28:29]
	v_cndmask_b32_e64 v6, v6, 0, s[28:29]
	v_or_b32_e32 v31, v6, v12
.LBB6_1472:                             ;   in Loop: Header=BB6_1188 Depth=4
	s_or_b64 exec, exec, s[70:71]
.LBB6_1473:                             ;   in Loop: Header=BB6_1188 Depth=4
	s_or_b64 exec, exec, s[68:69]
                                        ; implicit-def: $vgpr7
.LBB6_1474:                             ;   in Loop: Header=BB6_1188 Depth=4
	s_andn2_saveexec_b64 s[28:29], s[30:31]
; %bb.1475:                             ;   in Loop: Header=BB6_1188 Depth=4
	v_or_b32_sdwa v6, v7, s39 dst_sel:DWORD dst_unused:UNUSED_PAD src0_sel:BYTE_3 src1_sel:DWORD
	v_cmp_eq_u64_e32 vcc, 0, v[50:51]
	v_cndmask_b32_e32 v31, v6, v31, vcc
; %bb.1476:                             ;   in Loop: Header=BB6_1188 Depth=4
	s_or_b64 exec, exec, s[28:29]
	v_lshrrev_b32_e32 v12, 16, v21
	v_lshrrev_b32_e32 v6, 16, v17
	v_cmp_ne_u16_sdwa s[28:29], v12, v51 src0_sel:BYTE_0 src1_sel:DWORD
	s_and_b64 vcc, exec, s[66:67]
	s_cbranch_vccz .LBB6_1494
; %bb.1477:                             ;   in Loop: Header=BB6_1188 Depth=4
	v_mov_b32_e32 v13, 0
	v_mov_b32_e32 v7, 0
	s_and_saveexec_b64 s[30:31], s[28:29]
	s_cbranch_execz .LBB6_1485
; %bb.1478:                             ;   in Loop: Header=BB6_1188 Depth=4
	v_cmp_ne_u16_sdwa vcc, v12, s97 src0_sel:BYTE_0 src1_sel:DWORD
	v_bfrev_b32_e32 v7, 1
	s_and_saveexec_b64 s[68:69], vcc
	s_cbranch_execz .LBB6_1484
; %bb.1479:                             ;   in Loop: Header=BB6_1188 Depth=4
	v_and_b32_e32 v7, 0x7c0000, v21
	v_bfe_u32 v14, v21, 16, 2
	v_cmp_ne_u32_e32 vcc, s36, v7
                                        ; implicit-def: $vgpr7
	s_and_saveexec_b64 s[70:71], vcc
	s_xor_b64 s[70:71], exec, s[70:71]
	s_cbranch_execz .LBB6_1481
; %bb.1480:                             ;   in Loop: Header=BB6_1188 Depth=4
	v_ffbh_u32_e32 v15, v14
	v_min_u32_e32 v15, 32, v15
	v_subrev_u32_e32 v32, 29, v15
	v_bfe_u32 v7, v21, 18, 5
	v_lshlrev_b64 v[32:33], v32, v[12:13]
	v_sub_u32_e32 v15, 30, v15
	v_and_b32_e32 v32, 3, v32
	v_cmp_eq_u32_e32 vcc, 0, v7
	v_cndmask_b32_e32 v7, v7, v15, vcc
	v_cndmask_b32_e32 v14, v14, v32, vcc
	v_bfrev_b32_e32 v32, 28
	v_lshlrev_b32_e32 v15, 24, v12
	v_lshl_add_u32 v7, v7, 23, v32
	v_and_or_b32 v7, v15, s96, v7
	v_lshl_or_b32 v7, v14, 21, v7
                                        ; implicit-def: $vgpr14
.LBB6_1481:                             ;   in Loop: Header=BB6_1188 Depth=4
	s_andn2_saveexec_b64 s[70:71], s[70:71]
; %bb.1482:                             ;   in Loop: Header=BB6_1188 Depth=4
	v_mov_b32_e32 v7, -1
	v_cmp_gt_i16_sdwa vcc, sext(v12), v7 src0_sel:BYTE_0 src1_sel:DWORD
	v_mov_b32_e32 v7, 0xc7600000
	v_mov_b32_e32 v15, 0x47600000
	v_cndmask_b32_e32 v7, v7, v15, vcc
	v_cmp_eq_u32_e32 vcc, 0, v14
	v_mov_b32_e32 v14, 0x7f800001
	v_cndmask_b32_e32 v7, v14, v7, vcc
; %bb.1483:                             ;   in Loop: Header=BB6_1188 Depth=4
	s_or_b64 exec, exec, s[70:71]
.LBB6_1484:                             ;   in Loop: Header=BB6_1188 Depth=4
	s_or_b64 exec, exec, s[68:69]
.LBB6_1485:                             ;   in Loop: Header=BB6_1188 Depth=4
	s_or_b64 exec, exec, s[30:31]
	v_cmp_ne_u16_sdwa vcc, v6, v51 src0_sel:BYTE_0 src1_sel:DWORD
	s_and_saveexec_b64 s[30:31], vcc
	s_cbranch_execz .LBB6_1493
; %bb.1486:                             ;   in Loop: Header=BB6_1188 Depth=4
	v_cmp_ne_u16_sdwa vcc, v6, s97 src0_sel:BYTE_0 src1_sel:DWORD
	v_bfrev_b32_e32 v13, 1
	s_and_saveexec_b64 s[68:69], vcc
	s_cbranch_execz .LBB6_1492
; %bb.1487:                             ;   in Loop: Header=BB6_1188 Depth=4
	v_and_b32_e32 v13, 0x7c0000, v17
	v_bfe_u32 v14, v17, 16, 2
	v_cmp_ne_u32_e32 vcc, s36, v13
                                        ; implicit-def: $vgpr13
	s_and_saveexec_b64 s[70:71], vcc
	s_xor_b64 s[70:71], exec, s[70:71]
	s_cbranch_execz .LBB6_1489
; %bb.1488:                             ;   in Loop: Header=BB6_1188 Depth=4
	v_ffbh_u32_e32 v15, v14
	v_min_u32_e32 v15, 32, v15
	v_subrev_u32_e32 v32, 29, v15
	v_bfe_u32 v13, v17, 18, 5
	v_lshlrev_b64 v[32:33], v32, v[6:7]
	v_sub_u32_e32 v15, 30, v15
	v_and_b32_e32 v32, 3, v32
	v_cmp_eq_u32_e32 vcc, 0, v13
	v_cndmask_b32_e32 v13, v13, v15, vcc
	v_cndmask_b32_e32 v14, v14, v32, vcc
	v_bfrev_b32_e32 v32, 28
	v_lshlrev_b32_e32 v15, 24, v6
	v_lshl_add_u32 v13, v13, 23, v32
	v_and_or_b32 v13, v15, s96, v13
	v_lshl_or_b32 v13, v14, 21, v13
                                        ; implicit-def: $vgpr14
.LBB6_1489:                             ;   in Loop: Header=BB6_1188 Depth=4
	s_andn2_saveexec_b64 s[70:71], s[70:71]
; %bb.1490:                             ;   in Loop: Header=BB6_1188 Depth=4
	v_mov_b32_e32 v13, -1
	v_cmp_gt_i16_sdwa vcc, sext(v6), v13 src0_sel:BYTE_0 src1_sel:DWORD
	v_mov_b32_e32 v13, 0xc7600000
	v_mov_b32_e32 v15, 0x47600000
	v_cndmask_b32_e32 v13, v13, v15, vcc
	v_cmp_eq_u32_e32 vcc, 0, v14
	v_mov_b32_e32 v14, 0x7f800001
	v_cndmask_b32_e32 v13, v14, v13, vcc
; %bb.1491:                             ;   in Loop: Header=BB6_1188 Depth=4
	s_or_b64 exec, exec, s[70:71]
.LBB6_1492:                             ;   in Loop: Header=BB6_1188 Depth=4
	s_or_b64 exec, exec, s[68:69]
.LBB6_1493:                             ;   in Loop: Header=BB6_1188 Depth=4
	s_or_b64 exec, exec, s[30:31]
	v_max_f32_e32 v13, v13, v13
	v_max_f32_e32 v7, v7, v7
	;; [unrolled: 1-line block ×3, first 2 shown]
	s_branch .LBB6_1512
.LBB6_1494:                             ;   in Loop: Header=BB6_1188 Depth=4
                                        ; implicit-def: $vgpr7
	s_cbranch_execz .LBB6_1512
; %bb.1495:                             ;   in Loop: Header=BB6_1188 Depth=4
	v_mov_b32_e32 v13, 0
	v_mov_b32_e32 v7, 0
	s_and_saveexec_b64 s[30:31], s[28:29]
	s_cbranch_execz .LBB6_1503
; %bb.1496:                             ;   in Loop: Header=BB6_1188 Depth=4
	v_cmp_ne_u16_sdwa vcc, v12, s97 src0_sel:BYTE_0 src1_sel:DWORD
	v_bfrev_b32_e32 v7, 1
	s_and_saveexec_b64 s[28:29], vcc
	s_cbranch_execz .LBB6_1502
; %bb.1497:                             ;   in Loop: Header=BB6_1188 Depth=4
	v_and_b32_e32 v7, 0x7c0000, v21
	v_bfe_u32 v14, v21, 16, 2
	v_cmp_ne_u32_e32 vcc, s36, v7
                                        ; implicit-def: $vgpr7
	s_and_saveexec_b64 s[68:69], vcc
	s_xor_b64 s[68:69], exec, s[68:69]
	s_cbranch_execz .LBB6_1499
; %bb.1498:                             ;   in Loop: Header=BB6_1188 Depth=4
	v_ffbh_u32_e32 v15, v14
	v_bfe_u32 v7, v21, 18, 5
	v_min_u32_e32 v15, 32, v15
	v_subrev_u32_e32 v32, 29, v15
	v_sub_u32_e32 v15, 30, v15
	v_cmp_eq_u32_e32 vcc, 0, v7
	v_lshlrev_b64 v[32:33], v32, v[12:13]
	v_cndmask_b32_e32 v7, v7, v15, vcc
	v_bfrev_b32_e32 v15, 28
	v_and_b32_e32 v32, 3, v32
	v_lshlrev_b32_e32 v12, 24, v12
	v_lshl_add_u32 v7, v7, 23, v15
	v_cndmask_b32_e32 v14, v14, v32, vcc
	v_and_or_b32 v7, v12, s96, v7
	v_lshl_or_b32 v7, v14, 21, v7
                                        ; implicit-def: $vgpr14
                                        ; implicit-def: $vgpr12
.LBB6_1499:                             ;   in Loop: Header=BB6_1188 Depth=4
	s_andn2_saveexec_b64 s[68:69], s[68:69]
; %bb.1500:                             ;   in Loop: Header=BB6_1188 Depth=4
	v_mov_b32_e32 v7, -1
	v_cmp_gt_i16_sdwa vcc, sext(v12), v7 src0_sel:BYTE_0 src1_sel:DWORD
	v_mov_b32_e32 v7, 0xc7600000
	v_mov_b32_e32 v12, 0x47600000
	v_cndmask_b32_e32 v7, v7, v12, vcc
	v_cmp_eq_u32_e32 vcc, 0, v14
	v_mov_b32_e32 v12, 0x7f800001
	v_cndmask_b32_e32 v7, v12, v7, vcc
; %bb.1501:                             ;   in Loop: Header=BB6_1188 Depth=4
	s_or_b64 exec, exec, s[68:69]
.LBB6_1502:                             ;   in Loop: Header=BB6_1188 Depth=4
	s_or_b64 exec, exec, s[28:29]
.LBB6_1503:                             ;   in Loop: Header=BB6_1188 Depth=4
	s_or_b64 exec, exec, s[30:31]
	v_cmp_ne_u16_sdwa vcc, v6, v51 src0_sel:BYTE_0 src1_sel:DWORD
	s_and_saveexec_b64 s[28:29], vcc
	s_cbranch_execz .LBB6_1511
; %bb.1504:                             ;   in Loop: Header=BB6_1188 Depth=4
	v_cmp_ne_u16_sdwa vcc, v6, s97 src0_sel:BYTE_0 src1_sel:DWORD
	v_bfrev_b32_e32 v13, 1
	s_and_saveexec_b64 s[30:31], vcc
	s_cbranch_execz .LBB6_1510
; %bb.1505:                             ;   in Loop: Header=BB6_1188 Depth=4
	v_and_b32_e32 v13, 0x7c0000, v17
	v_bfe_u32 v12, v17, 16, 2
	v_cmp_ne_u32_e32 vcc, s36, v13
                                        ; implicit-def: $vgpr13
	s_and_saveexec_b64 s[68:69], vcc
	s_xor_b64 s[68:69], exec, s[68:69]
	s_cbranch_execz .LBB6_1507
; %bb.1506:                             ;   in Loop: Header=BB6_1188 Depth=4
	v_ffbh_u32_e32 v14, v12
	v_min_u32_e32 v32, 32, v14
	v_subrev_u32_e32 v14, 29, v32
	v_bfe_u32 v13, v17, 18, 5
	v_lshlrev_b64 v[14:15], v14, v[6:7]
	v_sub_u32_e32 v15, 30, v32
	v_and_b32_e32 v14, 3, v14
	v_cmp_eq_u32_e32 vcc, 0, v13
	v_cndmask_b32_e32 v13, v13, v15, vcc
	v_cndmask_b32_e32 v12, v12, v14, vcc
	v_bfrev_b32_e32 v14, 28
	v_lshlrev_b32_e32 v6, 24, v6
	v_lshl_add_u32 v13, v13, 23, v14
	v_and_or_b32 v6, v6, s96, v13
	v_lshl_or_b32 v13, v12, 21, v6
                                        ; implicit-def: $vgpr12
                                        ; implicit-def: $vgpr6
.LBB6_1507:                             ;   in Loop: Header=BB6_1188 Depth=4
	s_andn2_saveexec_b64 s[68:69], s[68:69]
; %bb.1508:                             ;   in Loop: Header=BB6_1188 Depth=4
	v_mov_b32_e32 v13, -1
	v_cmp_gt_i16_sdwa vcc, sext(v6), v13 src0_sel:BYTE_0 src1_sel:DWORD
	v_mov_b32_e32 v6, 0xc7600000
	v_mov_b32_e32 v13, 0x47600000
	v_cndmask_b32_e32 v6, v6, v13, vcc
	v_cmp_eq_u32_e32 vcc, 0, v12
	v_mov_b32_e32 v12, 0x7f800001
	v_cndmask_b32_e32 v13, v12, v6, vcc
; %bb.1509:                             ;   in Loop: Header=BB6_1188 Depth=4
	s_or_b64 exec, exec, s[68:69]
.LBB6_1510:                             ;   in Loop: Header=BB6_1188 Depth=4
	s_or_b64 exec, exec, s[30:31]
.LBB6_1511:                             ;   in Loop: Header=BB6_1188 Depth=4
	s_or_b64 exec, exec, s[28:29]
	v_max_f32_e32 v6, v13, v13
	v_max_f32_e32 v7, v7, v7
	v_min_f32_e32 v7, v7, v6
.LBB6_1512:                             ;   in Loop: Header=BB6_1188 Depth=4
	v_and_b32_sdwa v12, v7, s97 dst_sel:DWORD dst_unused:UNUSED_PAD src0_sel:BYTE_3 src1_sel:DWORD
	v_and_b32_e32 v14, 0x7f800000, v7
	v_mov_b32_e32 v15, v51
	v_and_b32_e32 v50, 0x7fffff, v7
	v_or_b32_e32 v32, 0x7b, v12
	v_cmp_ne_u64_e32 vcc, s[52:53], v[14:15]
	s_and_saveexec_b64 s[28:29], vcc
	s_xor_b64 s[30:31], exec, s[28:29]
	s_cbranch_execz .LBB6_1522
; %bb.1513:                             ;   in Loop: Header=BB6_1188 Depth=4
	v_and_b32_e32 v14, 0x7fffffff, v7
	v_mov_b32_e32 v15, v51
	v_cmp_gt_u64_e32 vcc, s[54:55], v[14:15]
	s_and_saveexec_b64 s[68:69], vcc
	s_cbranch_execz .LBB6_1521
; %bb.1514:                             ;   in Loop: Header=BB6_1188 Depth=4
	v_cmp_ne_u32_e32 vcc, 0, v7
	v_mov_b32_e32 v32, 0
	s_and_saveexec_b64 s[70:71], vcc
	s_cbranch_execz .LBB6_1520
; %bb.1515:                             ;   in Loop: Header=BB6_1188 Depth=4
	v_bfe_u32 v6, v7, 23, 8
	v_cmp_eq_u32_e32 vcc, 0, v6
	v_add_u32_e32 v7, 0xffffff81, v6
	v_cmp_gt_u32_e64 s[28:29], s38, v6
	v_sub_u32_e32 v6, 0x71, v6
	v_mov_b32_e32 v14, 0xffffff82
	v_cndmask_b32_e64 v6, 0, v6, s[28:29]
	v_cndmask_b32_e32 v32, v7, v14, vcc
	v_mov_b32_e32 v7, 0x70
	v_cndmask_b32_e32 v33, v6, v7, vcc
	v_add_u32_e32 v6, 21, v33
	v_or_b32_e32 v13, 0x800000, v50
	v_lshlrev_b64 v[6:7], v6, -1
	v_cndmask_b32_e32 v50, v13, v50, vcc
	v_not_b32_e32 v7, v7
	v_not_b32_e32 v6, v6
	v_add_u32_e32 v13, 20, v33
	v_and_b32_e32 v7, 0, v7
	v_and_b32_e32 v6, v50, v6
	v_lshlrev_b64 v[14:15], v13, 1
	v_cmp_eq_u64_e32 vcc, v[6:7], v[14:15]
	v_lshrrev_b64 v[6:7], v33, v[50:51]
	v_lshrrev_b32_e32 v13, 23, v6
	v_add3_u32 v15, v33, v32, v13
	v_bfe_u32 v13, v6, 21, 1
	v_add_u32_e32 v13, -1, v13
	v_cndmask_b32_e32 v13, 0, v13, vcc
	v_add_u32_e32 v13, v13, v6
	v_and_b32_e32 v13, 0x1fffff, v13
	v_add_co_u32_e32 v6, vcc, v13, v6
	v_add_u32_e32 v14, 14, v15
	v_addc_co_u32_e32 v7, vcc, 0, v7, vcc
	v_cmp_ne_u32_e32 vcc, 0, v14
                                        ; implicit-def: $vgpr13
	s_and_saveexec_b64 s[28:29], vcc
	s_xor_b64 s[28:29], exec, s[28:29]
; %bb.1516:                             ;   in Loop: Header=BB6_1188 Depth=4
	v_add_u32_e32 v13, 15, v15
	v_cmp_lt_u64_e32 vcc, s[56:57], v[6:7]
	v_cndmask_b32_e32 v13, v14, v13, vcc
	v_cndmask_b32_e64 v14, 0, 1, vcc
	v_lshrrev_b64 v[6:7], v14, v[6:7]
; %bb.1517:                             ;   in Loop: Header=BB6_1188 Depth=4
	s_andn2_saveexec_b64 s[28:29], s[28:29]
; %bb.1518:                             ;   in Loop: Header=BB6_1188 Depth=4
	v_bfe_u32 v13, v6, 23, 1
; %bb.1519:                             ;   in Loop: Header=BB6_1188 Depth=4
	s_or_b64 exec, exec, s[28:29]
	v_lshrrev_b64 v[6:7], 21, v[6:7]
	v_cmp_gt_i32_e32 vcc, 32, v13
	v_cndmask_b32_e32 v7, 0, v7, vcc
	v_cndmask_b32_e32 v6, 3, v6, vcc
	v_cmp_eq_u64_e64 s[28:29], 0, v[6:7]
	v_min_i32_e32 v7, 31, v13
	v_cmp_eq_u32_e32 vcc, 0, v13
	v_lshlrev_b32_e32 v7, 2, v7
	v_and_or_b32 v6, v6, 3, v7
	s_and_b64 s[28:29], vcc, s[28:29]
	v_cndmask_b32_e64 v6, v6, 0, s[28:29]
	v_or_b32_e32 v32, v6, v12
.LBB6_1520:                             ;   in Loop: Header=BB6_1188 Depth=4
	s_or_b64 exec, exec, s[70:71]
.LBB6_1521:                             ;   in Loop: Header=BB6_1188 Depth=4
	s_or_b64 exec, exec, s[68:69]
                                        ; implicit-def: $vgpr7
.LBB6_1522:                             ;   in Loop: Header=BB6_1188 Depth=4
	s_andn2_saveexec_b64 s[28:29], s[30:31]
; %bb.1523:                             ;   in Loop: Header=BB6_1188 Depth=4
	v_or_b32_sdwa v6, v7, s39 dst_sel:DWORD dst_unused:UNUSED_PAD src0_sel:BYTE_3 src1_sel:DWORD
	v_cmp_eq_u64_e32 vcc, 0, v[50:51]
	v_cndmask_b32_e32 v32, v6, v32, vcc
; %bb.1524:                             ;   in Loop: Header=BB6_1188 Depth=4
	s_or_b64 exec, exec, s[28:29]
	v_lshrrev_b32_e32 v12, 24, v21
	v_lshrrev_b32_e32 v6, 24, v17
	v_cmp_lt_u64_e64 s[28:29], s[42:43], v[20:21]
	s_and_b64 vcc, exec, s[66:67]
	s_cbranch_vccz .LBB6_1542
; %bb.1525:                             ;   in Loop: Header=BB6_1188 Depth=4
	v_mov_b32_e32 v13, 0
	v_mov_b32_e32 v7, 0
	s_and_saveexec_b64 s[30:31], s[28:29]
	s_cbranch_execz .LBB6_1533
; %bb.1526:                             ;   in Loop: Header=BB6_1188 Depth=4
	v_cmp_ne_u32_e32 vcc, s97, v12
	v_bfrev_b32_e32 v7, 1
	s_and_saveexec_b64 s[68:69], vcc
	s_cbranch_execz .LBB6_1532
; %bb.1527:                             ;   in Loop: Header=BB6_1188 Depth=4
	v_and_b32_e32 v7, 0x7c000000, v21
	v_bfe_u32 v14, v21, 24, 2
	v_cmp_ne_u32_e32 vcc, s37, v7
                                        ; implicit-def: $vgpr7
	s_and_saveexec_b64 s[70:71], vcc
	s_xor_b64 s[70:71], exec, s[70:71]
	s_cbranch_execz .LBB6_1529
; %bb.1528:                             ;   in Loop: Header=BB6_1188 Depth=4
	v_ffbh_u32_e32 v15, v14
	v_bfe_u32 v7, v21, 26, 5
	v_min_u32_e32 v15, 32, v15
	v_subrev_u32_e32 v33, 29, v15
	v_sub_u32_e32 v15, 30, v15
	v_cmp_eq_u32_e32 vcc, 0, v7
	v_lshlrev_b64 v[34:35], v33, v[12:13]
	v_cndmask_b32_e32 v7, v7, v15, vcc
	v_bfrev_b32_e32 v15, 28
	v_and_b32_e32 v33, 3, v34
	v_lshl_add_u32 v7, v7, 23, v15
	v_cndmask_b32_e32 v14, v14, v33, vcc
	v_and_or_b32 v7, v21, s96, v7
	v_lshl_or_b32 v7, v14, 21, v7
                                        ; implicit-def: $vgpr14
.LBB6_1529:                             ;   in Loop: Header=BB6_1188 Depth=4
	s_andn2_saveexec_b64 s[70:71], s[70:71]
; %bb.1530:                             ;   in Loop: Header=BB6_1188 Depth=4
	v_cmp_lt_i64_e32 vcc, -1, v[20:21]
	v_mov_b32_e32 v7, 0xc7600000
	v_mov_b32_e32 v15, 0x47600000
	v_cndmask_b32_e32 v7, v7, v15, vcc
	v_cmp_eq_u32_e32 vcc, 0, v14
	v_mov_b32_e32 v14, 0x7f800001
	v_cndmask_b32_e32 v7, v14, v7, vcc
; %bb.1531:                             ;   in Loop: Header=BB6_1188 Depth=4
	s_or_b64 exec, exec, s[70:71]
.LBB6_1532:                             ;   in Loop: Header=BB6_1188 Depth=4
	s_or_b64 exec, exec, s[68:69]
.LBB6_1533:                             ;   in Loop: Header=BB6_1188 Depth=4
	s_or_b64 exec, exec, s[30:31]
	v_cmp_lt_u64_e32 vcc, s[42:43], v[16:17]
	s_and_saveexec_b64 s[30:31], vcc
	s_cbranch_execz .LBB6_1541
; %bb.1534:                             ;   in Loop: Header=BB6_1188 Depth=4
	v_cmp_ne_u32_e32 vcc, s97, v6
	v_bfrev_b32_e32 v13, 1
	s_and_saveexec_b64 s[68:69], vcc
	s_cbranch_execz .LBB6_1540
; %bb.1535:                             ;   in Loop: Header=BB6_1188 Depth=4
	v_and_b32_e32 v13, 0x7c000000, v17
	v_bfe_u32 v14, v17, 24, 2
	v_cmp_ne_u32_e32 vcc, s37, v13
                                        ; implicit-def: $vgpr13
	s_and_saveexec_b64 s[70:71], vcc
	s_xor_b64 s[70:71], exec, s[70:71]
	s_cbranch_execz .LBB6_1537
; %bb.1536:                             ;   in Loop: Header=BB6_1188 Depth=4
	v_ffbh_u32_e32 v15, v14
	v_bfe_u32 v13, v17, 26, 5
	v_min_u32_e32 v15, 32, v15
	v_subrev_u32_e32 v33, 29, v15
	v_sub_u32_e32 v15, 30, v15
	v_cmp_eq_u32_e32 vcc, 0, v13
	v_lshlrev_b64 v[34:35], v33, v[6:7]
	v_cndmask_b32_e32 v13, v13, v15, vcc
	v_bfrev_b32_e32 v15, 28
	v_and_b32_e32 v33, 3, v34
	v_lshl_add_u32 v13, v13, 23, v15
	v_cndmask_b32_e32 v14, v14, v33, vcc
	v_and_or_b32 v13, v17, s96, v13
	v_lshl_or_b32 v13, v14, 21, v13
                                        ; implicit-def: $vgpr14
.LBB6_1537:                             ;   in Loop: Header=BB6_1188 Depth=4
	s_andn2_saveexec_b64 s[70:71], s[70:71]
; %bb.1538:                             ;   in Loop: Header=BB6_1188 Depth=4
	v_cmp_lt_i64_e32 vcc, -1, v[16:17]
	v_mov_b32_e32 v13, 0xc7600000
	v_mov_b32_e32 v15, 0x47600000
	v_cndmask_b32_e32 v13, v13, v15, vcc
	v_cmp_eq_u32_e32 vcc, 0, v14
	v_mov_b32_e32 v14, 0x7f800001
	v_cndmask_b32_e32 v13, v14, v13, vcc
; %bb.1539:                             ;   in Loop: Header=BB6_1188 Depth=4
	s_or_b64 exec, exec, s[70:71]
.LBB6_1540:                             ;   in Loop: Header=BB6_1188 Depth=4
	s_or_b64 exec, exec, s[68:69]
.LBB6_1541:                             ;   in Loop: Header=BB6_1188 Depth=4
	s_or_b64 exec, exec, s[30:31]
	v_max_f32_e32 v13, v13, v13
	v_max_f32_e32 v7, v7, v7
	;; [unrolled: 1-line block ×3, first 2 shown]
	s_branch .LBB6_1560
.LBB6_1542:                             ;   in Loop: Header=BB6_1188 Depth=4
                                        ; implicit-def: $vgpr7
	s_cbranch_execz .LBB6_1560
; %bb.1543:                             ;   in Loop: Header=BB6_1188 Depth=4
	v_mov_b32_e32 v13, 0
	v_mov_b32_e32 v7, 0
	s_and_saveexec_b64 s[30:31], s[28:29]
	s_cbranch_execz .LBB6_1551
; %bb.1544:                             ;   in Loop: Header=BB6_1188 Depth=4
	v_cmp_ne_u32_e32 vcc, s97, v12
	v_bfrev_b32_e32 v7, 1
	s_and_saveexec_b64 s[28:29], vcc
	s_cbranch_execz .LBB6_1550
; %bb.1545:                             ;   in Loop: Header=BB6_1188 Depth=4
	v_and_b32_e32 v7, 0x7c000000, v21
	v_bfe_u32 v14, v21, 24, 2
	v_cmp_ne_u32_e32 vcc, s37, v7
                                        ; implicit-def: $vgpr7
	s_and_saveexec_b64 s[68:69], vcc
	s_xor_b64 s[68:69], exec, s[68:69]
	s_cbranch_execz .LBB6_1547
; %bb.1546:                             ;   in Loop: Header=BB6_1188 Depth=4
	v_ffbh_u32_e32 v15, v14
	v_min_u32_e32 v15, 32, v15
	v_subrev_u32_e32 v20, 29, v15
	v_bfe_u32 v7, v21, 26, 5
	v_lshlrev_b64 v[34:35], v20, v[12:13]
	v_sub_u32_e32 v12, 30, v15
	v_and_b32_e32 v15, 3, v34
	v_cmp_eq_u32_e32 vcc, 0, v7
	v_cndmask_b32_e32 v7, v7, v12, vcc
	v_cndmask_b32_e32 v12, v14, v15, vcc
	v_bfrev_b32_e32 v14, 28
	v_lshl_add_u32 v7, v7, 23, v14
	v_and_or_b32 v7, v21, s96, v7
	v_lshl_or_b32 v7, v12, 21, v7
                                        ; implicit-def: $vgpr14
.LBB6_1547:                             ;   in Loop: Header=BB6_1188 Depth=4
	s_andn2_saveexec_b64 s[68:69], s[68:69]
; %bb.1548:                             ;   in Loop: Header=BB6_1188 Depth=4
	v_cmp_lt_i64_e32 vcc, -1, v[20:21]
	v_mov_b32_e32 v7, 0xc7600000
	v_mov_b32_e32 v12, 0x47600000
	v_cndmask_b32_e32 v7, v7, v12, vcc
	v_cmp_eq_u32_e32 vcc, 0, v14
	v_mov_b32_e32 v12, 0x7f800001
	v_cndmask_b32_e32 v7, v12, v7, vcc
; %bb.1549:                             ;   in Loop: Header=BB6_1188 Depth=4
	s_or_b64 exec, exec, s[68:69]
.LBB6_1550:                             ;   in Loop: Header=BB6_1188 Depth=4
	s_or_b64 exec, exec, s[28:29]
.LBB6_1551:                             ;   in Loop: Header=BB6_1188 Depth=4
	s_or_b64 exec, exec, s[30:31]
	v_cmp_lt_u64_e32 vcc, s[42:43], v[16:17]
	s_and_saveexec_b64 s[28:29], vcc
	s_cbranch_execz .LBB6_1559
; %bb.1552:                             ;   in Loop: Header=BB6_1188 Depth=4
	v_cmp_ne_u32_e32 vcc, s97, v6
	v_bfrev_b32_e32 v13, 1
	s_and_saveexec_b64 s[30:31], vcc
	s_cbranch_execz .LBB6_1558
; %bb.1553:                             ;   in Loop: Header=BB6_1188 Depth=4
	v_and_b32_e32 v13, 0x7c000000, v17
	v_bfe_u32 v12, v17, 24, 2
	v_cmp_ne_u32_e32 vcc, s37, v13
                                        ; implicit-def: $vgpr13
	s_and_saveexec_b64 s[68:69], vcc
	s_xor_b64 s[68:69], exec, s[68:69]
	s_cbranch_execz .LBB6_1555
; %bb.1554:                             ;   in Loop: Header=BB6_1188 Depth=4
	v_ffbh_u32_e32 v14, v12
	v_min_u32_e32 v16, 32, v14
	v_bfe_u32 v13, v17, 26, 5
	v_subrev_u32_e32 v14, 29, v16
	v_lshlrev_b64 v[14:15], v14, v[6:7]
	v_sub_u32_e32 v6, 30, v16
	v_cmp_eq_u32_e32 vcc, 0, v13
	v_cndmask_b32_e32 v6, v13, v6, vcc
	v_bfrev_b32_e32 v13, 28
	v_and_b32_e32 v14, 3, v14
	v_lshl_add_u32 v6, v6, 23, v13
	v_cndmask_b32_e32 v12, v12, v14, vcc
	v_and_or_b32 v6, v17, s96, v6
	v_lshl_or_b32 v13, v12, 21, v6
                                        ; implicit-def: $vgpr12
.LBB6_1555:                             ;   in Loop: Header=BB6_1188 Depth=4
	s_andn2_saveexec_b64 s[68:69], s[68:69]
; %bb.1556:                             ;   in Loop: Header=BB6_1188 Depth=4
	v_cmp_lt_i64_e32 vcc, -1, v[16:17]
	v_mov_b32_e32 v6, 0xc7600000
	v_mov_b32_e32 v13, 0x47600000
	v_cndmask_b32_e32 v6, v6, v13, vcc
	v_cmp_eq_u32_e32 vcc, 0, v12
	v_mov_b32_e32 v12, 0x7f800001
	v_cndmask_b32_e32 v13, v12, v6, vcc
; %bb.1557:                             ;   in Loop: Header=BB6_1188 Depth=4
	s_or_b64 exec, exec, s[68:69]
.LBB6_1558:                             ;   in Loop: Header=BB6_1188 Depth=4
	s_or_b64 exec, exec, s[30:31]
.LBB6_1559:                             ;   in Loop: Header=BB6_1188 Depth=4
	s_or_b64 exec, exec, s[28:29]
	v_max_f32_e32 v6, v13, v13
	v_max_f32_e32 v7, v7, v7
	v_min_f32_e32 v7, v7, v6
.LBB6_1560:                             ;   in Loop: Header=BB6_1188 Depth=4
	v_and_b32_sdwa v12, v7, s97 dst_sel:DWORD dst_unused:UNUSED_PAD src0_sel:BYTE_3 src1_sel:DWORD
	v_and_b32_e32 v14, 0x7f800000, v7
	v_mov_b32_e32 v15, v51
	v_and_b32_e32 v50, 0x7fffff, v7
	v_or_b32_e32 v16, 0x7b, v12
	v_cmp_ne_u64_e32 vcc, s[52:53], v[14:15]
	s_and_saveexec_b64 s[28:29], vcc
	s_xor_b64 s[30:31], exec, s[28:29]
	s_cbranch_execz .LBB6_1588
; %bb.1561:                             ;   in Loop: Header=BB6_1188 Depth=4
	v_and_b32_e32 v14, 0x7fffffff, v7
	v_mov_b32_e32 v15, v51
	v_cmp_gt_u64_e32 vcc, s[54:55], v[14:15]
	s_and_saveexec_b64 s[68:69], vcc
	s_cbranch_execz .LBB6_1569
; %bb.1562:                             ;   in Loop: Header=BB6_1188 Depth=4
	v_cmp_ne_u32_e32 vcc, 0, v7
	v_mov_b32_e32 v16, 0
	s_and_saveexec_b64 s[70:71], vcc
	s_cbranch_execz .LBB6_1568
; %bb.1563:                             ;   in Loop: Header=BB6_1188 Depth=4
	v_bfe_u32 v6, v7, 23, 8
	v_cmp_eq_u32_e32 vcc, 0, v6
	v_add_u32_e32 v7, 0xffffff81, v6
	v_cmp_gt_u32_e64 s[28:29], s38, v6
	v_sub_u32_e32 v6, 0x71, v6
	v_mov_b32_e32 v14, 0xffffff82
	v_cndmask_b32_e64 v6, 0, v6, s[28:29]
	v_cndmask_b32_e32 v16, v7, v14, vcc
	v_mov_b32_e32 v7, 0x70
	v_cndmask_b32_e32 v17, v6, v7, vcc
	v_add_u32_e32 v6, 21, v17
	v_or_b32_e32 v13, 0x800000, v50
	v_lshlrev_b64 v[6:7], v6, -1
	v_cndmask_b32_e32 v50, v13, v50, vcc
	v_not_b32_e32 v7, v7
	v_not_b32_e32 v6, v6
	v_add_u32_e32 v13, 20, v17
	v_and_b32_e32 v7, 0, v7
	v_and_b32_e32 v6, v50, v6
	v_lshlrev_b64 v[14:15], v13, 1
	v_cmp_eq_u64_e32 vcc, v[6:7], v[14:15]
	v_lshrrev_b64 v[6:7], v17, v[50:51]
	v_lshrrev_b32_e32 v13, 23, v6
	v_add3_u32 v15, v17, v16, v13
	v_bfe_u32 v13, v6, 21, 1
	v_add_u32_e32 v13, -1, v13
	v_cndmask_b32_e32 v13, 0, v13, vcc
	v_add_u32_e32 v13, v13, v6
	v_and_b32_e32 v13, 0x1fffff, v13
	v_add_co_u32_e32 v6, vcc, v13, v6
	v_add_u32_e32 v14, 14, v15
	v_addc_co_u32_e32 v7, vcc, 0, v7, vcc
	v_cmp_ne_u32_e32 vcc, 0, v14
                                        ; implicit-def: $vgpr13
	s_and_saveexec_b64 s[28:29], vcc
	s_xor_b64 s[28:29], exec, s[28:29]
; %bb.1564:                             ;   in Loop: Header=BB6_1188 Depth=4
	v_add_u32_e32 v13, 15, v15
	v_cmp_lt_u64_e32 vcc, s[56:57], v[6:7]
	v_cndmask_b32_e32 v13, v14, v13, vcc
	v_cndmask_b32_e64 v14, 0, 1, vcc
	v_lshrrev_b64 v[6:7], v14, v[6:7]
; %bb.1565:                             ;   in Loop: Header=BB6_1188 Depth=4
	s_andn2_saveexec_b64 s[28:29], s[28:29]
; %bb.1566:                             ;   in Loop: Header=BB6_1188 Depth=4
	v_bfe_u32 v13, v6, 23, 1
; %bb.1567:                             ;   in Loop: Header=BB6_1188 Depth=4
	s_or_b64 exec, exec, s[28:29]
	v_lshrrev_b64 v[6:7], 21, v[6:7]
	v_cmp_gt_i32_e32 vcc, 32, v13
	v_cndmask_b32_e32 v7, 0, v7, vcc
	v_cndmask_b32_e32 v6, 3, v6, vcc
	v_cmp_eq_u64_e64 s[28:29], 0, v[6:7]
	v_min_i32_e32 v7, 31, v13
	v_lshlrev_b32_e32 v7, 2, v7
	v_cmp_eq_u32_e32 vcc, 0, v13
	v_and_b32_e32 v7, 0xfc, v7
	v_and_or_b32 v6, v6, 3, v7
	s_and_b64 s[28:29], vcc, s[28:29]
	v_cndmask_b32_e64 v6, v6, 0, s[28:29]
	v_or_b32_e32 v16, v6, v12
.LBB6_1568:                             ;   in Loop: Header=BB6_1188 Depth=4
	s_or_b64 exec, exec, s[70:71]
.LBB6_1569:                             ;   in Loop: Header=BB6_1188 Depth=4
	s_or_b64 exec, exec, s[68:69]
                                        ; implicit-def: $vgpr7
	s_andn2_saveexec_b64 s[28:29], s[30:31]
	s_cbranch_execnz .LBB6_1589
.LBB6_1570:                             ;   in Loop: Header=BB6_1188 Depth=4
	s_or_b64 exec, exec, s[28:29]
	v_cmp_ne_u16_sdwa s[28:29], v22, v51 src0_sel:BYTE_0 src1_sel:DWORD
	s_and_b64 vcc, exec, s[66:67]
	s_cbranch_vccz .LBB6_1590
.LBB6_1571:                             ;   in Loop: Header=BB6_1188 Depth=4
	v_mov_b32_e32 v7, 0
	v_mov_b32_e32 v6, 0
	s_and_saveexec_b64 s[30:31], s[28:29]
	s_cbranch_execz .LBB6_1579
; %bb.1572:                             ;   in Loop: Header=BB6_1188 Depth=4
	v_cmp_ne_u16_sdwa vcc, sext(v22), s94 src0_sel:BYTE_0 src1_sel:DWORD
	v_bfrev_b32_e32 v6, 1
	s_and_saveexec_b64 s[68:69], vcc
	s_cbranch_execz .LBB6_1578
; %bb.1573:                             ;   in Loop: Header=BB6_1188 Depth=4
	v_and_b32_e32 v6, 0x7c, v22
	v_and_b32_e32 v12, 3, v22
	v_cmp_ne_u32_e32 vcc, s95, v6
                                        ; implicit-def: $vgpr6
	s_and_saveexec_b64 s[70:71], vcc
	s_xor_b64 s[70:71], exec, s[70:71]
	s_cbranch_execz .LBB6_1575
; %bb.1574:                             ;   in Loop: Header=BB6_1188 Depth=4
	v_ffbh_u32_e32 v13, v12
	v_min_u32_e32 v13, 32, v13
	v_subrev_u32_e32 v14, 29, v13
	v_bfe_u32 v6, v22, 2, 5
	v_lshlrev_b64 v[14:15], v14, v[22:23]
	v_sub_u32_e32 v13, 30, v13
	v_and_b32_e32 v14, 3, v14
	v_cmp_eq_u32_e32 vcc, 0, v6
	v_cndmask_b32_e32 v6, v6, v13, vcc
	v_cndmask_b32_e32 v12, v12, v14, vcc
	v_bfrev_b32_e32 v14, 28
	v_lshlrev_b32_e32 v13, 24, v22
	v_lshl_add_u32 v6, v6, 23, v14
	v_and_or_b32 v6, v13, s96, v6
	v_lshl_or_b32 v6, v12, 21, v6
                                        ; implicit-def: $vgpr12
.LBB6_1575:                             ;   in Loop: Header=BB6_1188 Depth=4
	s_andn2_saveexec_b64 s[70:71], s[70:71]
; %bb.1576:                             ;   in Loop: Header=BB6_1188 Depth=4
	v_mov_b32_e32 v6, -1
	v_cmp_gt_i16_sdwa vcc, sext(v22), v6 src0_sel:BYTE_0 src1_sel:DWORD
	v_mov_b32_e32 v6, 0xc7600000
	v_mov_b32_e32 v13, 0x47600000
	v_cndmask_b32_e32 v6, v6, v13, vcc
	v_cmp_eq_u32_e32 vcc, 0, v12
	v_mov_b32_e32 v12, 0x7f800001
	v_cndmask_b32_e32 v6, v12, v6, vcc
; %bb.1577:                             ;   in Loop: Header=BB6_1188 Depth=4
	s_or_b64 exec, exec, s[70:71]
.LBB6_1578:                             ;   in Loop: Header=BB6_1188 Depth=4
	s_or_b64 exec, exec, s[68:69]
.LBB6_1579:                             ;   in Loop: Header=BB6_1188 Depth=4
	s_or_b64 exec, exec, s[30:31]
	v_cmp_ne_u16_sdwa vcc, sext(v18), v51 src0_sel:BYTE_0 src1_sel:DWORD
	s_and_saveexec_b64 s[30:31], vcc
	s_cbranch_execz .LBB6_1587
; %bb.1580:                             ;   in Loop: Header=BB6_1188 Depth=4
	v_cmp_ne_u16_sdwa vcc, sext(v18), s94 src0_sel:BYTE_0 src1_sel:DWORD
	v_bfrev_b32_e32 v7, 1
	s_and_saveexec_b64 s[68:69], vcc
	s_cbranch_execz .LBB6_1586
; %bb.1581:                             ;   in Loop: Header=BB6_1188 Depth=4
	v_and_b32_e32 v7, 0x7c, v18
	v_and_b32_e32 v12, 3, v18
	v_cmp_ne_u32_e32 vcc, s95, v7
                                        ; implicit-def: $vgpr7
	s_and_saveexec_b64 s[70:71], vcc
	s_xor_b64 s[70:71], exec, s[70:71]
	s_cbranch_execz .LBB6_1583
; %bb.1582:                             ;   in Loop: Header=BB6_1188 Depth=4
	v_ffbh_u32_e32 v13, v12
	v_min_u32_e32 v13, 32, v13
	v_subrev_u32_e32 v14, 29, v13
	v_bfe_u32 v7, v18, 2, 5
	v_lshlrev_b64 v[14:15], v14, v[18:19]
	v_sub_u32_e32 v13, 30, v13
	v_and_b32_e32 v14, 3, v14
	v_cmp_eq_u32_e32 vcc, 0, v7
	v_cndmask_b32_e32 v7, v7, v13, vcc
	v_cndmask_b32_e32 v12, v12, v14, vcc
	v_bfrev_b32_e32 v14, 28
	v_lshlrev_b32_e32 v13, 24, v18
	v_lshl_add_u32 v7, v7, 23, v14
	v_and_or_b32 v7, v13, s96, v7
	v_lshl_or_b32 v7, v12, 21, v7
                                        ; implicit-def: $vgpr12
.LBB6_1583:                             ;   in Loop: Header=BB6_1188 Depth=4
	s_andn2_saveexec_b64 s[70:71], s[70:71]
; %bb.1584:                             ;   in Loop: Header=BB6_1188 Depth=4
	v_mov_b32_e32 v7, -1
	v_cmp_gt_i16_sdwa vcc, sext(v18), v7 src0_sel:BYTE_0 src1_sel:DWORD
	v_mov_b32_e32 v7, 0xc7600000
	v_mov_b32_e32 v13, 0x47600000
	v_cndmask_b32_e32 v7, v7, v13, vcc
	v_cmp_eq_u32_e32 vcc, 0, v12
	v_mov_b32_e32 v12, 0x7f800001
	v_cndmask_b32_e32 v7, v12, v7, vcc
; %bb.1585:                             ;   in Loop: Header=BB6_1188 Depth=4
	s_or_b64 exec, exec, s[70:71]
.LBB6_1586:                             ;   in Loop: Header=BB6_1188 Depth=4
	s_or_b64 exec, exec, s[68:69]
.LBB6_1587:                             ;   in Loop: Header=BB6_1188 Depth=4
	s_or_b64 exec, exec, s[30:31]
	v_max_f32_e32 v7, v7, v7
	v_max_f32_e32 v6, v6, v6
	;; [unrolled: 1-line block ×3, first 2 shown]
	s_branch .LBB6_1608
.LBB6_1588:                             ;   in Loop: Header=BB6_1188 Depth=4
	s_andn2_saveexec_b64 s[28:29], s[30:31]
	s_cbranch_execz .LBB6_1570
.LBB6_1589:                             ;   in Loop: Header=BB6_1188 Depth=4
	v_or_b32_sdwa v6, v7, s39 dst_sel:DWORD dst_unused:UNUSED_PAD src0_sel:BYTE_3 src1_sel:DWORD
	v_cmp_eq_u64_e32 vcc, 0, v[50:51]
	v_cndmask_b32_e32 v16, v6, v16, vcc
	s_or_b64 exec, exec, s[28:29]
	v_cmp_ne_u16_sdwa s[28:29], v22, v51 src0_sel:BYTE_0 src1_sel:DWORD
	s_and_b64 vcc, exec, s[66:67]
	s_cbranch_vccnz .LBB6_1571
.LBB6_1590:                             ;   in Loop: Header=BB6_1188 Depth=4
                                        ; implicit-def: $vgpr6
	s_cbranch_execz .LBB6_1608
; %bb.1591:                             ;   in Loop: Header=BB6_1188 Depth=4
	v_mov_b32_e32 v7, 0
	v_mov_b32_e32 v6, 0
	s_and_saveexec_b64 s[30:31], s[28:29]
	s_cbranch_execz .LBB6_1599
; %bb.1592:                             ;   in Loop: Header=BB6_1188 Depth=4
	v_cmp_ne_u16_sdwa vcc, sext(v22), s94 src0_sel:BYTE_0 src1_sel:DWORD
	v_bfrev_b32_e32 v6, 1
	s_and_saveexec_b64 s[28:29], vcc
	s_cbranch_execz .LBB6_1598
; %bb.1593:                             ;   in Loop: Header=BB6_1188 Depth=4
	v_and_b32_e32 v6, 0x7c, v22
	v_and_b32_e32 v12, 3, v22
	v_cmp_ne_u32_e32 vcc, s95, v6
                                        ; implicit-def: $vgpr6
	s_and_saveexec_b64 s[68:69], vcc
	s_xor_b64 s[68:69], exec, s[68:69]
	s_cbranch_execz .LBB6_1595
; %bb.1594:                             ;   in Loop: Header=BB6_1188 Depth=4
	v_ffbh_u32_e32 v13, v12
	v_min_u32_e32 v13, 32, v13
	v_subrev_u32_e32 v14, 29, v13
	v_bfe_u32 v6, v22, 2, 5
	v_lshlrev_b64 v[14:15], v14, v[22:23]
	v_sub_u32_e32 v13, 30, v13
	v_and_b32_e32 v14, 3, v14
	v_cmp_eq_u32_e32 vcc, 0, v6
	v_cndmask_b32_e32 v6, v6, v13, vcc
	v_cndmask_b32_e32 v12, v12, v14, vcc
	v_bfrev_b32_e32 v14, 28
	v_lshlrev_b32_e32 v13, 24, v22
	v_lshl_add_u32 v6, v6, 23, v14
	v_and_or_b32 v6, v13, s96, v6
	v_lshl_or_b32 v6, v12, 21, v6
                                        ; implicit-def: $vgpr12
.LBB6_1595:                             ;   in Loop: Header=BB6_1188 Depth=4
	s_andn2_saveexec_b64 s[68:69], s[68:69]
; %bb.1596:                             ;   in Loop: Header=BB6_1188 Depth=4
	v_mov_b32_e32 v6, -1
	v_cmp_gt_i16_sdwa vcc, sext(v22), v6 src0_sel:BYTE_0 src1_sel:DWORD
	v_mov_b32_e32 v6, 0xc7600000
	v_mov_b32_e32 v13, 0x47600000
	v_cndmask_b32_e32 v6, v6, v13, vcc
	v_cmp_eq_u32_e32 vcc, 0, v12
	v_mov_b32_e32 v12, 0x7f800001
	v_cndmask_b32_e32 v6, v12, v6, vcc
; %bb.1597:                             ;   in Loop: Header=BB6_1188 Depth=4
	s_or_b64 exec, exec, s[68:69]
.LBB6_1598:                             ;   in Loop: Header=BB6_1188 Depth=4
	s_or_b64 exec, exec, s[28:29]
.LBB6_1599:                             ;   in Loop: Header=BB6_1188 Depth=4
	s_or_b64 exec, exec, s[30:31]
	v_cmp_ne_u16_sdwa vcc, sext(v18), v51 src0_sel:BYTE_0 src1_sel:DWORD
	s_and_saveexec_b64 s[28:29], vcc
	s_cbranch_execz .LBB6_1607
; %bb.1600:                             ;   in Loop: Header=BB6_1188 Depth=4
	v_cmp_ne_u16_sdwa vcc, sext(v18), s94 src0_sel:BYTE_0 src1_sel:DWORD
	v_bfrev_b32_e32 v7, 1
	s_and_saveexec_b64 s[30:31], vcc
	s_cbranch_execz .LBB6_1606
; %bb.1601:                             ;   in Loop: Header=BB6_1188 Depth=4
	v_and_b32_e32 v7, 0x7c, v18
	v_and_b32_e32 v12, 3, v18
	v_cmp_ne_u32_e32 vcc, s95, v7
                                        ; implicit-def: $vgpr7
	s_and_saveexec_b64 s[68:69], vcc
	s_xor_b64 s[68:69], exec, s[68:69]
	s_cbranch_execz .LBB6_1603
; %bb.1602:                             ;   in Loop: Header=BB6_1188 Depth=4
	v_ffbh_u32_e32 v13, v12
	v_min_u32_e32 v13, 32, v13
	v_subrev_u32_e32 v14, 29, v13
	v_bfe_u32 v7, v18, 2, 5
	v_lshlrev_b64 v[14:15], v14, v[18:19]
	v_sub_u32_e32 v13, 30, v13
	v_and_b32_e32 v14, 3, v14
	v_cmp_eq_u32_e32 vcc, 0, v7
	v_cndmask_b32_e32 v7, v7, v13, vcc
	v_cndmask_b32_e32 v12, v12, v14, vcc
	v_bfrev_b32_e32 v14, 28
	v_lshlrev_b32_e32 v13, 24, v18
	v_lshl_add_u32 v7, v7, 23, v14
	v_and_or_b32 v7, v13, s96, v7
	v_lshl_or_b32 v7, v12, 21, v7
                                        ; implicit-def: $vgpr12
.LBB6_1603:                             ;   in Loop: Header=BB6_1188 Depth=4
	s_andn2_saveexec_b64 s[68:69], s[68:69]
; %bb.1604:                             ;   in Loop: Header=BB6_1188 Depth=4
	v_mov_b32_e32 v7, -1
	v_cmp_gt_i16_sdwa vcc, sext(v18), v7 src0_sel:BYTE_0 src1_sel:DWORD
	v_mov_b32_e32 v7, 0xc7600000
	v_mov_b32_e32 v13, 0x47600000
	v_cndmask_b32_e32 v7, v7, v13, vcc
	v_cmp_eq_u32_e32 vcc, 0, v12
	v_mov_b32_e32 v12, 0x7f800001
	v_cndmask_b32_e32 v7, v12, v7, vcc
; %bb.1605:                             ;   in Loop: Header=BB6_1188 Depth=4
	s_or_b64 exec, exec, s[68:69]
.LBB6_1606:                             ;   in Loop: Header=BB6_1188 Depth=4
	s_or_b64 exec, exec, s[30:31]
.LBB6_1607:                             ;   in Loop: Header=BB6_1188 Depth=4
	s_or_b64 exec, exec, s[28:29]
	v_max_f32_e32 v7, v7, v7
	v_max_f32_e32 v6, v6, v6
	v_min_f32_e32 v6, v6, v7
.LBB6_1608:                             ;   in Loop: Header=BB6_1188 Depth=4
	v_and_b32_sdwa v12, v6, s97 dst_sel:DWORD dst_unused:UNUSED_PAD src0_sel:BYTE_3 src1_sel:DWORD
	v_and_b32_e32 v14, 0x7f800000, v6
	v_mov_b32_e32 v15, v51
	v_and_b32_e32 v50, 0x7fffff, v6
	v_or_b32_e32 v17, 0x7b, v12
	v_cmp_ne_u64_e32 vcc, s[52:53], v[14:15]
	s_and_saveexec_b64 s[28:29], vcc
	s_xor_b64 s[30:31], exec, s[28:29]
	s_cbranch_execz .LBB6_1618
; %bb.1609:                             ;   in Loop: Header=BB6_1188 Depth=4
	v_and_b32_e32 v14, 0x7fffffff, v6
	v_mov_b32_e32 v15, v51
	v_cmp_gt_u64_e32 vcc, s[54:55], v[14:15]
	s_and_saveexec_b64 s[68:69], vcc
	s_cbranch_execz .LBB6_1617
; %bb.1610:                             ;   in Loop: Header=BB6_1188 Depth=4
	v_cmp_ne_u32_e32 vcc, 0, v6
	v_mov_b32_e32 v17, 0
	s_and_saveexec_b64 s[70:71], vcc
	s_cbranch_execz .LBB6_1616
; %bb.1611:                             ;   in Loop: Header=BB6_1188 Depth=4
	v_bfe_u32 v6, v6, 23, 8
	v_cmp_eq_u32_e32 vcc, 0, v6
	v_add_u32_e32 v7, 0xffffff81, v6
	v_cmp_gt_u32_e64 s[28:29], s38, v6
	v_sub_u32_e32 v6, 0x71, v6
	v_mov_b32_e32 v14, 0xffffff82
	v_cndmask_b32_e64 v6, 0, v6, s[28:29]
	v_cndmask_b32_e32 v17, v7, v14, vcc
	v_mov_b32_e32 v7, 0x70
	v_cndmask_b32_e32 v20, v6, v7, vcc
	v_add_u32_e32 v6, 21, v20
	v_or_b32_e32 v13, 0x800000, v50
	v_lshlrev_b64 v[6:7], v6, -1
	v_cndmask_b32_e32 v50, v13, v50, vcc
	v_not_b32_e32 v7, v7
	v_not_b32_e32 v6, v6
	v_add_u32_e32 v13, 20, v20
	v_and_b32_e32 v7, 0, v7
	v_and_b32_e32 v6, v50, v6
	v_lshlrev_b64 v[14:15], v13, 1
	v_cmp_eq_u64_e32 vcc, v[6:7], v[14:15]
	v_lshrrev_b64 v[6:7], v20, v[50:51]
	v_lshrrev_b32_e32 v13, 23, v6
	v_add3_u32 v15, v20, v17, v13
	v_bfe_u32 v13, v6, 21, 1
	v_add_u32_e32 v13, -1, v13
	v_cndmask_b32_e32 v13, 0, v13, vcc
	v_add_u32_e32 v13, v13, v6
	v_and_b32_e32 v13, 0x1fffff, v13
	v_add_co_u32_e32 v6, vcc, v13, v6
	v_add_u32_e32 v14, 14, v15
	v_addc_co_u32_e32 v7, vcc, 0, v7, vcc
	v_cmp_ne_u32_e32 vcc, 0, v14
                                        ; implicit-def: $vgpr13
	s_and_saveexec_b64 s[28:29], vcc
	s_xor_b64 s[28:29], exec, s[28:29]
; %bb.1612:                             ;   in Loop: Header=BB6_1188 Depth=4
	v_add_u32_e32 v13, 15, v15
	v_cmp_lt_u64_e32 vcc, s[56:57], v[6:7]
	v_cndmask_b32_e32 v13, v14, v13, vcc
	v_cndmask_b32_e64 v14, 0, 1, vcc
	v_lshrrev_b64 v[6:7], v14, v[6:7]
; %bb.1613:                             ;   in Loop: Header=BB6_1188 Depth=4
	s_andn2_saveexec_b64 s[28:29], s[28:29]
; %bb.1614:                             ;   in Loop: Header=BB6_1188 Depth=4
	v_bfe_u32 v13, v6, 23, 1
; %bb.1615:                             ;   in Loop: Header=BB6_1188 Depth=4
	s_or_b64 exec, exec, s[28:29]
	v_lshrrev_b64 v[6:7], 21, v[6:7]
	v_cmp_gt_i32_e32 vcc, 32, v13
	v_cndmask_b32_e32 v7, 0, v7, vcc
	v_cndmask_b32_e32 v6, 3, v6, vcc
	v_cmp_eq_u64_e64 s[28:29], 0, v[6:7]
	v_min_i32_e32 v7, 31, v13
	v_cmp_eq_u32_e32 vcc, 0, v13
	v_lshlrev_b32_e32 v7, 2, v7
	v_and_or_b32 v6, v6, 3, v7
	s_and_b64 s[28:29], vcc, s[28:29]
	v_cndmask_b32_e64 v6, v6, 0, s[28:29]
	v_or_b32_e32 v17, v6, v12
.LBB6_1616:                             ;   in Loop: Header=BB6_1188 Depth=4
	s_or_b64 exec, exec, s[70:71]
.LBB6_1617:                             ;   in Loop: Header=BB6_1188 Depth=4
	s_or_b64 exec, exec, s[68:69]
                                        ; implicit-def: $vgpr6
.LBB6_1618:                             ;   in Loop: Header=BB6_1188 Depth=4
	s_andn2_saveexec_b64 s[28:29], s[30:31]
; %bb.1619:                             ;   in Loop: Header=BB6_1188 Depth=4
	v_or_b32_sdwa v6, v6, s39 dst_sel:DWORD dst_unused:UNUSED_PAD src0_sel:BYTE_3 src1_sel:DWORD
	v_cmp_eq_u64_e32 vcc, 0, v[50:51]
	v_cndmask_b32_e32 v17, v6, v17, vcc
; %bb.1620:                             ;   in Loop: Header=BB6_1188 Depth=4
	s_or_b64 exec, exec, s[28:29]
	v_lshrrev_b16_e32 v50, 8, v22
	v_lshrrev_b16_e32 v6, 8, v18
	v_cmp_ne_u16_e64 s[28:29], 0, v50
	s_and_b64 vcc, exec, s[66:67]
	s_cbranch_vccz .LBB6_1638
; %bb.1621:                             ;   in Loop: Header=BB6_1188 Depth=4
	v_mov_b32_e32 v7, 0
	v_mov_b32_e32 v12, 0
	s_and_saveexec_b64 s[30:31], s[28:29]
	s_cbranch_execz .LBB6_1629
; %bb.1622:                             ;   in Loop: Header=BB6_1188 Depth=4
	v_cmp_ne_u16_e32 vcc, s97, v50
	v_bfrev_b32_e32 v12, 1
	s_and_saveexec_b64 s[68:69], vcc
	s_cbranch_execz .LBB6_1628
; %bb.1623:                             ;   in Loop: Header=BB6_1188 Depth=4
	v_and_b32_e32 v12, 0x7c, v50
	v_and_b32_e32 v13, 3, v50
	v_cmp_ne_u32_e32 vcc, s95, v12
                                        ; implicit-def: $vgpr12
	s_and_saveexec_b64 s[70:71], vcc
	s_xor_b64 s[70:71], exec, s[70:71]
	s_cbranch_execz .LBB6_1625
; %bb.1624:                             ;   in Loop: Header=BB6_1188 Depth=4
	v_ffbh_u32_e32 v14, v13
	v_min_u32_e32 v20, 32, v14
	v_subrev_u32_e32 v14, 29, v20
	v_bfe_u32 v12, v50, 2, 5
	v_lshlrev_b64 v[14:15], v14, v[50:51]
	v_sub_u32_e32 v15, 30, v20
	v_cmp_eq_u32_e32 vcc, 0, v12
	v_and_b32_e32 v14, 3, v14
	v_cndmask_b32_e32 v12, v12, v15, vcc
	v_bfrev_b32_e32 v15, 28
	v_cndmask_b32_e32 v13, v13, v14, vcc
	v_lshlrev_b32_e32 v14, 16, v22
	v_lshl_add_u32 v12, v12, 23, v15
	v_and_or_b32 v12, v14, s96, v12
	v_lshl_or_b32 v12, v13, 21, v12
                                        ; implicit-def: $vgpr13
.LBB6_1625:                             ;   in Loop: Header=BB6_1188 Depth=4
	s_andn2_saveexec_b64 s[70:71], s[70:71]
; %bb.1626:                             ;   in Loop: Header=BB6_1188 Depth=4
	v_cmp_lt_i16_e32 vcc, -1, v22
	v_mov_b32_e32 v12, 0xc7600000
	v_mov_b32_e32 v14, 0x47600000
	v_cndmask_b32_e32 v12, v12, v14, vcc
	v_cmp_eq_u32_e32 vcc, 0, v13
	v_mov_b32_e32 v13, 0x7f800001
	v_cndmask_b32_e32 v12, v13, v12, vcc
; %bb.1627:                             ;   in Loop: Header=BB6_1188 Depth=4
	s_or_b64 exec, exec, s[70:71]
.LBB6_1628:                             ;   in Loop: Header=BB6_1188 Depth=4
	s_or_b64 exec, exec, s[68:69]
.LBB6_1629:                             ;   in Loop: Header=BB6_1188 Depth=4
	s_or_b64 exec, exec, s[30:31]
	v_cmp_ne_u16_e32 vcc, 0, v6
	s_and_saveexec_b64 s[30:31], vcc
	s_cbranch_execz .LBB6_1637
; %bb.1630:                             ;   in Loop: Header=BB6_1188 Depth=4
	v_cmp_ne_u16_e32 vcc, s97, v6
	v_bfrev_b32_e32 v7, 1
	s_and_saveexec_b64 s[68:69], vcc
	s_cbranch_execz .LBB6_1636
; %bb.1631:                             ;   in Loop: Header=BB6_1188 Depth=4
	v_and_b32_e32 v7, 0x7c, v6
	v_and_b32_e32 v13, 3, v6
	v_cmp_ne_u32_e32 vcc, s95, v7
                                        ; implicit-def: $vgpr7
	s_and_saveexec_b64 s[70:71], vcc
	s_xor_b64 s[70:71], exec, s[70:71]
	s_cbranch_execz .LBB6_1633
; %bb.1632:                             ;   in Loop: Header=BB6_1188 Depth=4
	v_ffbh_u32_e32 v14, v13
	v_min_u32_e32 v21, 32, v14
	v_mov_b32_e32 v7, v51
	v_bfe_u32 v20, v6, 2, 5
	v_subrev_u32_e32 v14, 29, v21
	v_lshlrev_b64 v[14:15], v14, v[6:7]
	v_sub_u32_e32 v7, 30, v21
	v_cmp_eq_u32_e32 vcc, 0, v20
	v_and_b32_e32 v14, 3, v14
	v_cndmask_b32_e32 v7, v20, v7, vcc
	v_bfrev_b32_e32 v15, 28
	v_cndmask_b32_e32 v13, v13, v14, vcc
	v_lshlrev_b32_e32 v14, 16, v18
	v_lshl_add_u32 v7, v7, 23, v15
	v_and_or_b32 v7, v14, s96, v7
	v_lshl_or_b32 v7, v13, 21, v7
                                        ; implicit-def: $vgpr13
.LBB6_1633:                             ;   in Loop: Header=BB6_1188 Depth=4
	s_andn2_saveexec_b64 s[70:71], s[70:71]
; %bb.1634:                             ;   in Loop: Header=BB6_1188 Depth=4
	v_cmp_lt_i16_e32 vcc, -1, v18
	v_mov_b32_e32 v7, 0xc7600000
	v_mov_b32_e32 v14, 0x47600000
	v_cndmask_b32_e32 v7, v7, v14, vcc
	v_cmp_eq_u32_e32 vcc, 0, v13
	v_mov_b32_e32 v13, 0x7f800001
	v_cndmask_b32_e32 v7, v13, v7, vcc
; %bb.1635:                             ;   in Loop: Header=BB6_1188 Depth=4
	s_or_b64 exec, exec, s[70:71]
.LBB6_1636:                             ;   in Loop: Header=BB6_1188 Depth=4
	s_or_b64 exec, exec, s[68:69]
.LBB6_1637:                             ;   in Loop: Header=BB6_1188 Depth=4
	s_or_b64 exec, exec, s[30:31]
	v_max_f32_e32 v7, v7, v7
	v_max_f32_e32 v12, v12, v12
	;; [unrolled: 1-line block ×3, first 2 shown]
	s_branch .LBB6_1656
.LBB6_1638:                             ;   in Loop: Header=BB6_1188 Depth=4
                                        ; implicit-def: $vgpr7
	s_cbranch_execz .LBB6_1656
; %bb.1639:                             ;   in Loop: Header=BB6_1188 Depth=4
	v_mov_b32_e32 v7, 0
	v_mov_b32_e32 v12, 0
	s_and_saveexec_b64 s[30:31], s[28:29]
	s_cbranch_execz .LBB6_1647
; %bb.1640:                             ;   in Loop: Header=BB6_1188 Depth=4
	v_cmp_ne_u16_e32 vcc, s97, v50
	v_bfrev_b32_e32 v12, 1
	s_and_saveexec_b64 s[28:29], vcc
	s_cbranch_execz .LBB6_1646
; %bb.1641:                             ;   in Loop: Header=BB6_1188 Depth=4
	v_and_b32_e32 v12, 0x7c, v50
	v_and_b32_e32 v13, 3, v50
	v_cmp_ne_u32_e32 vcc, s95, v12
                                        ; implicit-def: $vgpr12
	s_and_saveexec_b64 s[68:69], vcc
	s_xor_b64 s[68:69], exec, s[68:69]
	s_cbranch_execz .LBB6_1643
; %bb.1642:                             ;   in Loop: Header=BB6_1188 Depth=4
	v_ffbh_u32_e32 v14, v13
	v_min_u32_e32 v20, 32, v14
	v_subrev_u32_e32 v14, 29, v20
	v_bfe_u32 v12, v50, 2, 5
	v_lshlrev_b64 v[14:15], v14, v[50:51]
	v_sub_u32_e32 v15, 30, v20
	v_cmp_eq_u32_e32 vcc, 0, v12
	v_and_b32_e32 v14, 3, v14
	v_cndmask_b32_e32 v12, v12, v15, vcc
	v_bfrev_b32_e32 v15, 28
	v_cndmask_b32_e32 v13, v13, v14, vcc
	v_lshlrev_b32_e32 v14, 16, v22
	v_lshl_add_u32 v12, v12, 23, v15
	v_and_or_b32 v12, v14, s96, v12
	v_lshl_or_b32 v12, v13, 21, v12
                                        ; implicit-def: $vgpr13
.LBB6_1643:                             ;   in Loop: Header=BB6_1188 Depth=4
	s_andn2_saveexec_b64 s[68:69], s[68:69]
; %bb.1644:                             ;   in Loop: Header=BB6_1188 Depth=4
	v_cmp_lt_i16_e32 vcc, -1, v22
	v_mov_b32_e32 v12, 0xc7600000
	v_mov_b32_e32 v14, 0x47600000
	v_cndmask_b32_e32 v12, v12, v14, vcc
	v_cmp_eq_u32_e32 vcc, 0, v13
	v_mov_b32_e32 v13, 0x7f800001
	v_cndmask_b32_e32 v12, v13, v12, vcc
; %bb.1645:                             ;   in Loop: Header=BB6_1188 Depth=4
	s_or_b64 exec, exec, s[68:69]
.LBB6_1646:                             ;   in Loop: Header=BB6_1188 Depth=4
	s_or_b64 exec, exec, s[28:29]
.LBB6_1647:                             ;   in Loop: Header=BB6_1188 Depth=4
	s_or_b64 exec, exec, s[30:31]
	v_cmp_ne_u16_e32 vcc, 0, v6
	s_and_saveexec_b64 s[28:29], vcc
	s_cbranch_execz .LBB6_1655
; %bb.1648:                             ;   in Loop: Header=BB6_1188 Depth=4
	v_cmp_ne_u16_e32 vcc, s97, v6
	v_bfrev_b32_e32 v7, 1
	s_and_saveexec_b64 s[30:31], vcc
	s_cbranch_execz .LBB6_1654
; %bb.1649:                             ;   in Loop: Header=BB6_1188 Depth=4
	v_and_b32_e32 v7, 0x7c, v6
	v_and_b32_e32 v13, 3, v6
	v_cmp_ne_u32_e32 vcc, s95, v7
                                        ; implicit-def: $vgpr7
	s_and_saveexec_b64 s[68:69], vcc
	s_xor_b64 s[68:69], exec, s[68:69]
	s_cbranch_execz .LBB6_1651
; %bb.1650:                             ;   in Loop: Header=BB6_1188 Depth=4
	v_ffbh_u32_e32 v15, v13
	v_min_u32_e32 v15, 32, v15
	v_mov_b32_e32 v7, v51
	v_subrev_u32_e32 v20, 29, v15
	v_bfe_u32 v14, v6, 2, 5
	v_lshlrev_b64 v[6:7], v20, v[6:7]
	v_sub_u32_e32 v7, 30, v15
	v_cmp_eq_u32_e32 vcc, 0, v14
	v_and_b32_e32 v6, 3, v6
	v_cndmask_b32_e32 v7, v14, v7, vcc
	v_bfrev_b32_e32 v14, 28
	v_cndmask_b32_e32 v6, v13, v6, vcc
	v_lshlrev_b32_e32 v13, 16, v18
	v_lshl_add_u32 v7, v7, 23, v14
	v_and_or_b32 v7, v13, s96, v7
	v_lshl_or_b32 v7, v6, 21, v7
                                        ; implicit-def: $vgpr13
.LBB6_1651:                             ;   in Loop: Header=BB6_1188 Depth=4
	s_andn2_saveexec_b64 s[68:69], s[68:69]
; %bb.1652:                             ;   in Loop: Header=BB6_1188 Depth=4
	v_cmp_lt_i16_e32 vcc, -1, v18
	v_mov_b32_e32 v6, 0xc7600000
	v_mov_b32_e32 v7, 0x47600000
	v_cndmask_b32_e32 v6, v6, v7, vcc
	v_cmp_eq_u32_e32 vcc, 0, v13
	v_mov_b32_e32 v7, 0x7f800001
	v_cndmask_b32_e32 v7, v7, v6, vcc
; %bb.1653:                             ;   in Loop: Header=BB6_1188 Depth=4
	s_or_b64 exec, exec, s[68:69]
.LBB6_1654:                             ;   in Loop: Header=BB6_1188 Depth=4
	s_or_b64 exec, exec, s[30:31]
.LBB6_1655:                             ;   in Loop: Header=BB6_1188 Depth=4
	s_or_b64 exec, exec, s[28:29]
	v_max_f32_e32 v6, v7, v7
	v_max_f32_e32 v7, v12, v12
	v_min_f32_e32 v7, v7, v6
.LBB6_1656:                             ;   in Loop: Header=BB6_1188 Depth=4
	v_and_b32_sdwa v12, v7, s97 dst_sel:DWORD dst_unused:UNUSED_PAD src0_sel:BYTE_3 src1_sel:DWORD
	v_and_b32_e32 v14, 0x7f800000, v7
	v_mov_b32_e32 v15, v51
	v_and_b32_e32 v50, 0x7fffff, v7
	v_or_b32_e32 v20, 0x7b, v12
	v_cmp_ne_u64_e32 vcc, s[52:53], v[14:15]
	s_and_saveexec_b64 s[28:29], vcc
	s_xor_b64 s[30:31], exec, s[28:29]
	s_cbranch_execz .LBB6_1666
; %bb.1657:                             ;   in Loop: Header=BB6_1188 Depth=4
	v_and_b32_e32 v14, 0x7fffffff, v7
	v_mov_b32_e32 v15, v51
	v_cmp_gt_u64_e32 vcc, s[54:55], v[14:15]
	s_and_saveexec_b64 s[68:69], vcc
	s_cbranch_execz .LBB6_1665
; %bb.1658:                             ;   in Loop: Header=BB6_1188 Depth=4
	v_cmp_ne_u32_e32 vcc, 0, v7
	v_mov_b32_e32 v20, 0
	s_and_saveexec_b64 s[70:71], vcc
	s_cbranch_execz .LBB6_1664
; %bb.1659:                             ;   in Loop: Header=BB6_1188 Depth=4
	v_bfe_u32 v6, v7, 23, 8
	v_cmp_eq_u32_e32 vcc, 0, v6
	v_add_u32_e32 v7, 0xffffff81, v6
	v_cmp_gt_u32_e64 s[28:29], s38, v6
	v_sub_u32_e32 v6, 0x71, v6
	v_mov_b32_e32 v14, 0xffffff82
	v_cndmask_b32_e64 v6, 0, v6, s[28:29]
	v_cndmask_b32_e32 v20, v7, v14, vcc
	v_mov_b32_e32 v7, 0x70
	v_cndmask_b32_e32 v21, v6, v7, vcc
	v_add_u32_e32 v6, 21, v21
	v_or_b32_e32 v13, 0x800000, v50
	v_lshlrev_b64 v[6:7], v6, -1
	v_cndmask_b32_e32 v50, v13, v50, vcc
	v_not_b32_e32 v7, v7
	v_not_b32_e32 v6, v6
	v_add_u32_e32 v13, 20, v21
	v_and_b32_e32 v7, 0, v7
	v_and_b32_e32 v6, v50, v6
	v_lshlrev_b64 v[14:15], v13, 1
	v_cmp_eq_u64_e32 vcc, v[6:7], v[14:15]
	v_lshrrev_b64 v[6:7], v21, v[50:51]
	v_lshrrev_b32_e32 v13, 23, v6
	v_add3_u32 v15, v21, v20, v13
	v_bfe_u32 v13, v6, 21, 1
	v_add_u32_e32 v13, -1, v13
	v_cndmask_b32_e32 v13, 0, v13, vcc
	v_add_u32_e32 v13, v13, v6
	v_and_b32_e32 v13, 0x1fffff, v13
	v_add_co_u32_e32 v6, vcc, v13, v6
	v_add_u32_e32 v14, 14, v15
	v_addc_co_u32_e32 v7, vcc, 0, v7, vcc
	v_cmp_ne_u32_e32 vcc, 0, v14
                                        ; implicit-def: $vgpr13
	s_and_saveexec_b64 s[28:29], vcc
	s_xor_b64 s[28:29], exec, s[28:29]
; %bb.1660:                             ;   in Loop: Header=BB6_1188 Depth=4
	v_add_u32_e32 v13, 15, v15
	v_cmp_lt_u64_e32 vcc, s[56:57], v[6:7]
	v_cndmask_b32_e32 v13, v14, v13, vcc
	v_cndmask_b32_e64 v14, 0, 1, vcc
	v_lshrrev_b64 v[6:7], v14, v[6:7]
; %bb.1661:                             ;   in Loop: Header=BB6_1188 Depth=4
	s_andn2_saveexec_b64 s[28:29], s[28:29]
; %bb.1662:                             ;   in Loop: Header=BB6_1188 Depth=4
	v_bfe_u32 v13, v6, 23, 1
; %bb.1663:                             ;   in Loop: Header=BB6_1188 Depth=4
	s_or_b64 exec, exec, s[28:29]
	v_lshrrev_b64 v[6:7], 21, v[6:7]
	v_cmp_gt_i32_e32 vcc, 32, v13
	v_cndmask_b32_e32 v7, 0, v7, vcc
	v_cndmask_b32_e32 v6, 3, v6, vcc
	v_cmp_eq_u64_e64 s[28:29], 0, v[6:7]
	v_min_i32_e32 v7, 31, v13
	v_cmp_eq_u32_e32 vcc, 0, v13
	v_lshlrev_b32_e32 v7, 2, v7
	v_and_or_b32 v6, v6, 3, v7
	s_and_b64 s[28:29], vcc, s[28:29]
	v_cndmask_b32_e64 v6, v6, 0, s[28:29]
	v_or_b32_e32 v20, v6, v12
.LBB6_1664:                             ;   in Loop: Header=BB6_1188 Depth=4
	s_or_b64 exec, exec, s[70:71]
.LBB6_1665:                             ;   in Loop: Header=BB6_1188 Depth=4
	s_or_b64 exec, exec, s[68:69]
                                        ; implicit-def: $vgpr7
.LBB6_1666:                             ;   in Loop: Header=BB6_1188 Depth=4
	s_andn2_saveexec_b64 s[28:29], s[30:31]
; %bb.1667:                             ;   in Loop: Header=BB6_1188 Depth=4
	v_or_b32_sdwa v6, v7, s39 dst_sel:DWORD dst_unused:UNUSED_PAD src0_sel:BYTE_3 src1_sel:DWORD
	v_cmp_eq_u64_e32 vcc, 0, v[50:51]
	v_cndmask_b32_e32 v20, v6, v20, vcc
; %bb.1668:                             ;   in Loop: Header=BB6_1188 Depth=4
	s_or_b64 exec, exec, s[28:29]
	v_lshrrev_b32_e32 v12, 16, v22
	v_lshrrev_b32_e32 v6, 16, v18
	v_cmp_ne_u16_sdwa s[28:29], v12, v51 src0_sel:BYTE_0 src1_sel:DWORD
	s_and_b64 vcc, exec, s[66:67]
	s_cbranch_vccz .LBB6_1686
; %bb.1669:                             ;   in Loop: Header=BB6_1188 Depth=4
	v_mov_b32_e32 v13, 0
	v_mov_b32_e32 v7, 0
	s_and_saveexec_b64 s[30:31], s[28:29]
	s_cbranch_execz .LBB6_1677
; %bb.1670:                             ;   in Loop: Header=BB6_1188 Depth=4
	v_cmp_ne_u16_sdwa vcc, v12, s97 src0_sel:BYTE_0 src1_sel:DWORD
	v_bfrev_b32_e32 v7, 1
	s_and_saveexec_b64 s[68:69], vcc
	s_cbranch_execz .LBB6_1676
; %bb.1671:                             ;   in Loop: Header=BB6_1188 Depth=4
	v_and_b32_e32 v7, 0x7c0000, v22
	v_bfe_u32 v14, v22, 16, 2
	v_cmp_ne_u32_e32 vcc, s36, v7
                                        ; implicit-def: $vgpr7
	s_and_saveexec_b64 s[70:71], vcc
	s_xor_b64 s[70:71], exec, s[70:71]
	s_cbranch_execz .LBB6_1673
; %bb.1672:                             ;   in Loop: Header=BB6_1188 Depth=4
	v_ffbh_u32_e32 v15, v14
	v_min_u32_e32 v15, 32, v15
	v_subrev_u32_e32 v21, 29, v15
	v_bfe_u32 v7, v22, 18, 5
	v_lshlrev_b64 v[34:35], v21, v[12:13]
	v_sub_u32_e32 v15, 30, v15
	v_and_b32_e32 v21, 3, v34
	v_cmp_eq_u32_e32 vcc, 0, v7
	v_cndmask_b32_e32 v7, v7, v15, vcc
	v_cndmask_b32_e32 v14, v14, v21, vcc
	v_bfrev_b32_e32 v21, 28
	v_lshlrev_b32_e32 v15, 24, v12
	v_lshl_add_u32 v7, v7, 23, v21
	v_and_or_b32 v7, v15, s96, v7
	v_lshl_or_b32 v7, v14, 21, v7
                                        ; implicit-def: $vgpr14
.LBB6_1673:                             ;   in Loop: Header=BB6_1188 Depth=4
	s_andn2_saveexec_b64 s[70:71], s[70:71]
; %bb.1674:                             ;   in Loop: Header=BB6_1188 Depth=4
	v_mov_b32_e32 v7, -1
	v_cmp_gt_i16_sdwa vcc, sext(v12), v7 src0_sel:BYTE_0 src1_sel:DWORD
	v_mov_b32_e32 v7, 0xc7600000
	v_mov_b32_e32 v15, 0x47600000
	v_cndmask_b32_e32 v7, v7, v15, vcc
	v_cmp_eq_u32_e32 vcc, 0, v14
	v_mov_b32_e32 v14, 0x7f800001
	v_cndmask_b32_e32 v7, v14, v7, vcc
; %bb.1675:                             ;   in Loop: Header=BB6_1188 Depth=4
	s_or_b64 exec, exec, s[70:71]
.LBB6_1676:                             ;   in Loop: Header=BB6_1188 Depth=4
	s_or_b64 exec, exec, s[68:69]
.LBB6_1677:                             ;   in Loop: Header=BB6_1188 Depth=4
	s_or_b64 exec, exec, s[30:31]
	v_cmp_ne_u16_sdwa vcc, v6, v51 src0_sel:BYTE_0 src1_sel:DWORD
	s_and_saveexec_b64 s[30:31], vcc
	s_cbranch_execz .LBB6_1685
; %bb.1678:                             ;   in Loop: Header=BB6_1188 Depth=4
	v_cmp_ne_u16_sdwa vcc, v6, s97 src0_sel:BYTE_0 src1_sel:DWORD
	v_bfrev_b32_e32 v13, 1
	s_and_saveexec_b64 s[68:69], vcc
	s_cbranch_execz .LBB6_1684
; %bb.1679:                             ;   in Loop: Header=BB6_1188 Depth=4
	v_and_b32_e32 v13, 0x7c0000, v18
	v_bfe_u32 v14, v18, 16, 2
	v_cmp_ne_u32_e32 vcc, s36, v13
                                        ; implicit-def: $vgpr13
	s_and_saveexec_b64 s[70:71], vcc
	s_xor_b64 s[70:71], exec, s[70:71]
	s_cbranch_execz .LBB6_1681
; %bb.1680:                             ;   in Loop: Header=BB6_1188 Depth=4
	v_ffbh_u32_e32 v15, v14
	v_min_u32_e32 v15, 32, v15
	v_subrev_u32_e32 v21, 29, v15
	v_bfe_u32 v13, v18, 18, 5
	v_lshlrev_b64 v[34:35], v21, v[6:7]
	v_sub_u32_e32 v15, 30, v15
	v_and_b32_e32 v21, 3, v34
	v_cmp_eq_u32_e32 vcc, 0, v13
	v_cndmask_b32_e32 v13, v13, v15, vcc
	v_cndmask_b32_e32 v14, v14, v21, vcc
	v_bfrev_b32_e32 v21, 28
	v_lshlrev_b32_e32 v15, 24, v6
	v_lshl_add_u32 v13, v13, 23, v21
	v_and_or_b32 v13, v15, s96, v13
	v_lshl_or_b32 v13, v14, 21, v13
                                        ; implicit-def: $vgpr14
.LBB6_1681:                             ;   in Loop: Header=BB6_1188 Depth=4
	s_andn2_saveexec_b64 s[70:71], s[70:71]
; %bb.1682:                             ;   in Loop: Header=BB6_1188 Depth=4
	v_mov_b32_e32 v13, -1
	v_cmp_gt_i16_sdwa vcc, sext(v6), v13 src0_sel:BYTE_0 src1_sel:DWORD
	v_mov_b32_e32 v13, 0xc7600000
	v_mov_b32_e32 v15, 0x47600000
	v_cndmask_b32_e32 v13, v13, v15, vcc
	v_cmp_eq_u32_e32 vcc, 0, v14
	v_mov_b32_e32 v14, 0x7f800001
	v_cndmask_b32_e32 v13, v14, v13, vcc
; %bb.1683:                             ;   in Loop: Header=BB6_1188 Depth=4
	s_or_b64 exec, exec, s[70:71]
.LBB6_1684:                             ;   in Loop: Header=BB6_1188 Depth=4
	s_or_b64 exec, exec, s[68:69]
.LBB6_1685:                             ;   in Loop: Header=BB6_1188 Depth=4
	s_or_b64 exec, exec, s[30:31]
	v_max_f32_e32 v13, v13, v13
	v_max_f32_e32 v7, v7, v7
	;; [unrolled: 1-line block ×3, first 2 shown]
	s_branch .LBB6_1704
.LBB6_1686:                             ;   in Loop: Header=BB6_1188 Depth=4
                                        ; implicit-def: $vgpr7
	s_cbranch_execz .LBB6_1704
; %bb.1687:                             ;   in Loop: Header=BB6_1188 Depth=4
	v_mov_b32_e32 v13, 0
	v_mov_b32_e32 v7, 0
	s_and_saveexec_b64 s[30:31], s[28:29]
	s_cbranch_execz .LBB6_1695
; %bb.1688:                             ;   in Loop: Header=BB6_1188 Depth=4
	v_cmp_ne_u16_sdwa vcc, v12, s97 src0_sel:BYTE_0 src1_sel:DWORD
	v_bfrev_b32_e32 v7, 1
	s_and_saveexec_b64 s[28:29], vcc
	s_cbranch_execz .LBB6_1694
; %bb.1689:                             ;   in Loop: Header=BB6_1188 Depth=4
	v_and_b32_e32 v7, 0x7c0000, v22
	v_bfe_u32 v14, v22, 16, 2
	v_cmp_ne_u32_e32 vcc, s36, v7
                                        ; implicit-def: $vgpr7
	s_and_saveexec_b64 s[68:69], vcc
	s_xor_b64 s[68:69], exec, s[68:69]
	s_cbranch_execz .LBB6_1691
; %bb.1690:                             ;   in Loop: Header=BB6_1188 Depth=4
	v_ffbh_u32_e32 v15, v14
	v_bfe_u32 v7, v22, 18, 5
	v_min_u32_e32 v15, 32, v15
	v_subrev_u32_e32 v21, 29, v15
	v_sub_u32_e32 v15, 30, v15
	v_cmp_eq_u32_e32 vcc, 0, v7
	v_lshlrev_b64 v[34:35], v21, v[12:13]
	v_cndmask_b32_e32 v7, v7, v15, vcc
	v_bfrev_b32_e32 v15, 28
	v_and_b32_e32 v21, 3, v34
	v_lshlrev_b32_e32 v12, 24, v12
	v_lshl_add_u32 v7, v7, 23, v15
	v_cndmask_b32_e32 v14, v14, v21, vcc
	v_and_or_b32 v7, v12, s96, v7
	v_lshl_or_b32 v7, v14, 21, v7
                                        ; implicit-def: $vgpr14
                                        ; implicit-def: $vgpr12
.LBB6_1691:                             ;   in Loop: Header=BB6_1188 Depth=4
	s_andn2_saveexec_b64 s[68:69], s[68:69]
; %bb.1692:                             ;   in Loop: Header=BB6_1188 Depth=4
	v_mov_b32_e32 v7, -1
	v_cmp_gt_i16_sdwa vcc, sext(v12), v7 src0_sel:BYTE_0 src1_sel:DWORD
	v_mov_b32_e32 v7, 0xc7600000
	v_mov_b32_e32 v12, 0x47600000
	v_cndmask_b32_e32 v7, v7, v12, vcc
	v_cmp_eq_u32_e32 vcc, 0, v14
	v_mov_b32_e32 v12, 0x7f800001
	v_cndmask_b32_e32 v7, v12, v7, vcc
; %bb.1693:                             ;   in Loop: Header=BB6_1188 Depth=4
	s_or_b64 exec, exec, s[68:69]
.LBB6_1694:                             ;   in Loop: Header=BB6_1188 Depth=4
	s_or_b64 exec, exec, s[28:29]
.LBB6_1695:                             ;   in Loop: Header=BB6_1188 Depth=4
	s_or_b64 exec, exec, s[30:31]
	v_cmp_ne_u16_sdwa vcc, v6, v51 src0_sel:BYTE_0 src1_sel:DWORD
	s_and_saveexec_b64 s[28:29], vcc
	s_cbranch_execz .LBB6_1703
; %bb.1696:                             ;   in Loop: Header=BB6_1188 Depth=4
	v_cmp_ne_u16_sdwa vcc, v6, s97 src0_sel:BYTE_0 src1_sel:DWORD
	v_bfrev_b32_e32 v13, 1
	s_and_saveexec_b64 s[30:31], vcc
	s_cbranch_execz .LBB6_1702
; %bb.1697:                             ;   in Loop: Header=BB6_1188 Depth=4
	v_and_b32_e32 v13, 0x7c0000, v18
	v_bfe_u32 v12, v18, 16, 2
	v_cmp_ne_u32_e32 vcc, s36, v13
                                        ; implicit-def: $vgpr13
	s_and_saveexec_b64 s[68:69], vcc
	s_xor_b64 s[68:69], exec, s[68:69]
	s_cbranch_execz .LBB6_1699
; %bb.1698:                             ;   in Loop: Header=BB6_1188 Depth=4
	v_ffbh_u32_e32 v14, v12
	v_min_u32_e32 v21, 32, v14
	v_subrev_u32_e32 v14, 29, v21
	v_bfe_u32 v13, v18, 18, 5
	v_lshlrev_b64 v[14:15], v14, v[6:7]
	v_sub_u32_e32 v15, 30, v21
	v_and_b32_e32 v14, 3, v14
	v_cmp_eq_u32_e32 vcc, 0, v13
	v_cndmask_b32_e32 v13, v13, v15, vcc
	v_cndmask_b32_e32 v12, v12, v14, vcc
	v_bfrev_b32_e32 v14, 28
	v_lshlrev_b32_e32 v6, 24, v6
	v_lshl_add_u32 v13, v13, 23, v14
	v_and_or_b32 v6, v6, s96, v13
	v_lshl_or_b32 v13, v12, 21, v6
                                        ; implicit-def: $vgpr12
                                        ; implicit-def: $vgpr6
.LBB6_1699:                             ;   in Loop: Header=BB6_1188 Depth=4
	s_andn2_saveexec_b64 s[68:69], s[68:69]
; %bb.1700:                             ;   in Loop: Header=BB6_1188 Depth=4
	v_mov_b32_e32 v13, -1
	v_cmp_gt_i16_sdwa vcc, sext(v6), v13 src0_sel:BYTE_0 src1_sel:DWORD
	v_mov_b32_e32 v6, 0xc7600000
	v_mov_b32_e32 v13, 0x47600000
	v_cndmask_b32_e32 v6, v6, v13, vcc
	v_cmp_eq_u32_e32 vcc, 0, v12
	v_mov_b32_e32 v12, 0x7f800001
	v_cndmask_b32_e32 v13, v12, v6, vcc
; %bb.1701:                             ;   in Loop: Header=BB6_1188 Depth=4
	s_or_b64 exec, exec, s[68:69]
.LBB6_1702:                             ;   in Loop: Header=BB6_1188 Depth=4
	s_or_b64 exec, exec, s[30:31]
.LBB6_1703:                             ;   in Loop: Header=BB6_1188 Depth=4
	s_or_b64 exec, exec, s[28:29]
	v_max_f32_e32 v6, v13, v13
	v_max_f32_e32 v7, v7, v7
	v_min_f32_e32 v7, v7, v6
.LBB6_1704:                             ;   in Loop: Header=BB6_1188 Depth=4
	v_and_b32_sdwa v12, v7, s97 dst_sel:DWORD dst_unused:UNUSED_PAD src0_sel:BYTE_3 src1_sel:DWORD
	v_and_b32_e32 v14, 0x7f800000, v7
	v_mov_b32_e32 v15, v51
	v_and_b32_e32 v50, 0x7fffff, v7
	v_or_b32_e32 v21, 0x7b, v12
	v_cmp_ne_u64_e32 vcc, s[52:53], v[14:15]
	s_and_saveexec_b64 s[28:29], vcc
	s_xor_b64 s[30:31], exec, s[28:29]
	s_cbranch_execz .LBB6_1714
; %bb.1705:                             ;   in Loop: Header=BB6_1188 Depth=4
	v_and_b32_e32 v14, 0x7fffffff, v7
	v_mov_b32_e32 v15, v51
	v_cmp_gt_u64_e32 vcc, s[54:55], v[14:15]
	s_and_saveexec_b64 s[68:69], vcc
	s_cbranch_execz .LBB6_1713
; %bb.1706:                             ;   in Loop: Header=BB6_1188 Depth=4
	v_cmp_ne_u32_e32 vcc, 0, v7
	v_mov_b32_e32 v21, 0
	s_and_saveexec_b64 s[70:71], vcc
	s_cbranch_execz .LBB6_1712
; %bb.1707:                             ;   in Loop: Header=BB6_1188 Depth=4
	v_bfe_u32 v6, v7, 23, 8
	v_cmp_eq_u32_e32 vcc, 0, v6
	v_add_u32_e32 v7, 0xffffff81, v6
	v_cmp_gt_u32_e64 s[28:29], s38, v6
	v_sub_u32_e32 v6, 0x71, v6
	v_mov_b32_e32 v14, 0xffffff82
	v_cndmask_b32_e64 v6, 0, v6, s[28:29]
	v_cndmask_b32_e32 v21, v7, v14, vcc
	v_mov_b32_e32 v7, 0x70
	v_cndmask_b32_e32 v33, v6, v7, vcc
	v_add_u32_e32 v6, 21, v33
	v_or_b32_e32 v13, 0x800000, v50
	v_lshlrev_b64 v[6:7], v6, -1
	v_cndmask_b32_e32 v50, v13, v50, vcc
	v_not_b32_e32 v7, v7
	v_not_b32_e32 v6, v6
	v_add_u32_e32 v13, 20, v33
	v_and_b32_e32 v7, 0, v7
	v_and_b32_e32 v6, v50, v6
	v_lshlrev_b64 v[14:15], v13, 1
	v_cmp_eq_u64_e32 vcc, v[6:7], v[14:15]
	v_lshrrev_b64 v[6:7], v33, v[50:51]
	v_lshrrev_b32_e32 v13, 23, v6
	v_add3_u32 v15, v33, v21, v13
	v_bfe_u32 v13, v6, 21, 1
	v_add_u32_e32 v13, -1, v13
	v_cndmask_b32_e32 v13, 0, v13, vcc
	v_add_u32_e32 v13, v13, v6
	v_and_b32_e32 v13, 0x1fffff, v13
	v_add_co_u32_e32 v6, vcc, v13, v6
	v_add_u32_e32 v14, 14, v15
	v_addc_co_u32_e32 v7, vcc, 0, v7, vcc
	v_cmp_ne_u32_e32 vcc, 0, v14
                                        ; implicit-def: $vgpr13
	s_and_saveexec_b64 s[28:29], vcc
	s_xor_b64 s[28:29], exec, s[28:29]
; %bb.1708:                             ;   in Loop: Header=BB6_1188 Depth=4
	v_add_u32_e32 v13, 15, v15
	v_cmp_lt_u64_e32 vcc, s[56:57], v[6:7]
	v_cndmask_b32_e32 v13, v14, v13, vcc
	v_cndmask_b32_e64 v14, 0, 1, vcc
	v_lshrrev_b64 v[6:7], v14, v[6:7]
; %bb.1709:                             ;   in Loop: Header=BB6_1188 Depth=4
	s_andn2_saveexec_b64 s[28:29], s[28:29]
; %bb.1710:                             ;   in Loop: Header=BB6_1188 Depth=4
	v_bfe_u32 v13, v6, 23, 1
; %bb.1711:                             ;   in Loop: Header=BB6_1188 Depth=4
	s_or_b64 exec, exec, s[28:29]
	v_lshrrev_b64 v[6:7], 21, v[6:7]
	v_cmp_gt_i32_e32 vcc, 32, v13
	v_cndmask_b32_e32 v7, 0, v7, vcc
	v_cndmask_b32_e32 v6, 3, v6, vcc
	v_cmp_eq_u64_e64 s[28:29], 0, v[6:7]
	v_min_i32_e32 v7, 31, v13
	v_cmp_eq_u32_e32 vcc, 0, v13
	v_lshlrev_b32_e32 v7, 2, v7
	v_and_or_b32 v6, v6, 3, v7
	s_and_b64 s[28:29], vcc, s[28:29]
	v_cndmask_b32_e64 v6, v6, 0, s[28:29]
	v_or_b32_e32 v21, v6, v12
.LBB6_1712:                             ;   in Loop: Header=BB6_1188 Depth=4
	s_or_b64 exec, exec, s[70:71]
.LBB6_1713:                             ;   in Loop: Header=BB6_1188 Depth=4
	s_or_b64 exec, exec, s[68:69]
                                        ; implicit-def: $vgpr7
.LBB6_1714:                             ;   in Loop: Header=BB6_1188 Depth=4
	s_andn2_saveexec_b64 s[28:29], s[30:31]
; %bb.1715:                             ;   in Loop: Header=BB6_1188 Depth=4
	v_or_b32_sdwa v6, v7, s39 dst_sel:DWORD dst_unused:UNUSED_PAD src0_sel:BYTE_3 src1_sel:DWORD
	v_cmp_eq_u64_e32 vcc, 0, v[50:51]
	v_cndmask_b32_e32 v21, v6, v21, vcc
; %bb.1716:                             ;   in Loop: Header=BB6_1188 Depth=4
	s_or_b64 exec, exec, s[28:29]
	v_lshrrev_b32_e32 v12, 24, v22
	v_lshrrev_b32_e32 v6, 24, v18
	v_cmp_lt_u32_e64 s[28:29], s43, v22
	s_and_b64 vcc, exec, s[66:67]
	s_cbranch_vccz .LBB6_1734
; %bb.1717:                             ;   in Loop: Header=BB6_1188 Depth=4
	v_mov_b32_e32 v13, 0
	v_mov_b32_e32 v7, 0
	s_and_saveexec_b64 s[30:31], s[28:29]
	s_cbranch_execz .LBB6_1725
; %bb.1718:                             ;   in Loop: Header=BB6_1188 Depth=4
	v_cmp_ne_u32_e32 vcc, s97, v12
	v_bfrev_b32_e32 v7, 1
	s_and_saveexec_b64 s[68:69], vcc
	s_cbranch_execz .LBB6_1724
; %bb.1719:                             ;   in Loop: Header=BB6_1188 Depth=4
	v_and_b32_e32 v7, 0x7c000000, v22
	v_bfe_u32 v14, v22, 24, 2
	v_cmp_ne_u32_e32 vcc, s37, v7
                                        ; implicit-def: $vgpr7
	s_and_saveexec_b64 s[70:71], vcc
	s_xor_b64 s[70:71], exec, s[70:71]
	s_cbranch_execz .LBB6_1721
; %bb.1720:                             ;   in Loop: Header=BB6_1188 Depth=4
	v_ffbh_u32_e32 v15, v14
	v_bfe_u32 v7, v22, 26, 5
	v_min_u32_e32 v15, 32, v15
	v_subrev_u32_e32 v33, 29, v15
	v_sub_u32_e32 v15, 30, v15
	v_cmp_eq_u32_e32 vcc, 0, v7
	v_lshlrev_b64 v[34:35], v33, v[12:13]
	v_cndmask_b32_e32 v7, v7, v15, vcc
	v_bfrev_b32_e32 v15, 28
	v_and_b32_e32 v33, 3, v34
	v_lshl_add_u32 v7, v7, 23, v15
	v_cndmask_b32_e32 v14, v14, v33, vcc
	v_and_or_b32 v7, v22, s96, v7
	v_lshl_or_b32 v7, v14, 21, v7
                                        ; implicit-def: $vgpr14
.LBB6_1721:                             ;   in Loop: Header=BB6_1188 Depth=4
	s_andn2_saveexec_b64 s[70:71], s[70:71]
; %bb.1722:                             ;   in Loop: Header=BB6_1188 Depth=4
	v_cmp_lt_i32_e32 vcc, -1, v22
	v_mov_b32_e32 v7, 0xc7600000
	v_mov_b32_e32 v15, 0x47600000
	v_cndmask_b32_e32 v7, v7, v15, vcc
	v_cmp_eq_u32_e32 vcc, 0, v14
	v_mov_b32_e32 v14, 0x7f800001
	v_cndmask_b32_e32 v7, v14, v7, vcc
; %bb.1723:                             ;   in Loop: Header=BB6_1188 Depth=4
	s_or_b64 exec, exec, s[70:71]
.LBB6_1724:                             ;   in Loop: Header=BB6_1188 Depth=4
	s_or_b64 exec, exec, s[68:69]
.LBB6_1725:                             ;   in Loop: Header=BB6_1188 Depth=4
	s_or_b64 exec, exec, s[30:31]
	v_cmp_lt_u32_e32 vcc, s43, v18
	s_and_saveexec_b64 s[30:31], vcc
	s_cbranch_execz .LBB6_1733
; %bb.1726:                             ;   in Loop: Header=BB6_1188 Depth=4
	v_cmp_ne_u32_e32 vcc, s97, v6
	v_bfrev_b32_e32 v13, 1
	s_and_saveexec_b64 s[68:69], vcc
	s_cbranch_execz .LBB6_1732
; %bb.1727:                             ;   in Loop: Header=BB6_1188 Depth=4
	v_and_b32_e32 v13, 0x7c000000, v18
	v_bfe_u32 v14, v18, 24, 2
	v_cmp_ne_u32_e32 vcc, s37, v13
                                        ; implicit-def: $vgpr13
	s_and_saveexec_b64 s[70:71], vcc
	s_xor_b64 s[70:71], exec, s[70:71]
	s_cbranch_execz .LBB6_1729
; %bb.1728:                             ;   in Loop: Header=BB6_1188 Depth=4
	v_ffbh_u32_e32 v15, v14
	v_bfe_u32 v13, v18, 26, 5
	v_min_u32_e32 v15, 32, v15
	v_subrev_u32_e32 v33, 29, v15
	v_sub_u32_e32 v15, 30, v15
	v_cmp_eq_u32_e32 vcc, 0, v13
	v_lshlrev_b64 v[34:35], v33, v[6:7]
	v_cndmask_b32_e32 v13, v13, v15, vcc
	v_bfrev_b32_e32 v15, 28
	v_and_b32_e32 v33, 3, v34
	v_lshl_add_u32 v13, v13, 23, v15
	v_cndmask_b32_e32 v14, v14, v33, vcc
	v_and_or_b32 v13, v18, s96, v13
	v_lshl_or_b32 v13, v14, 21, v13
                                        ; implicit-def: $vgpr14
.LBB6_1729:                             ;   in Loop: Header=BB6_1188 Depth=4
	s_andn2_saveexec_b64 s[70:71], s[70:71]
; %bb.1730:                             ;   in Loop: Header=BB6_1188 Depth=4
	v_cmp_lt_i32_e32 vcc, -1, v18
	v_mov_b32_e32 v13, 0xc7600000
	v_mov_b32_e32 v15, 0x47600000
	v_cndmask_b32_e32 v13, v13, v15, vcc
	v_cmp_eq_u32_e32 vcc, 0, v14
	v_mov_b32_e32 v14, 0x7f800001
	v_cndmask_b32_e32 v13, v14, v13, vcc
; %bb.1731:                             ;   in Loop: Header=BB6_1188 Depth=4
	s_or_b64 exec, exec, s[70:71]
.LBB6_1732:                             ;   in Loop: Header=BB6_1188 Depth=4
	s_or_b64 exec, exec, s[68:69]
.LBB6_1733:                             ;   in Loop: Header=BB6_1188 Depth=4
	s_or_b64 exec, exec, s[30:31]
	v_max_f32_e32 v13, v13, v13
	v_max_f32_e32 v7, v7, v7
	;; [unrolled: 1-line block ×3, first 2 shown]
	s_branch .LBB6_1752
.LBB6_1734:                             ;   in Loop: Header=BB6_1188 Depth=4
                                        ; implicit-def: $vgpr7
	s_cbranch_execz .LBB6_1752
; %bb.1735:                             ;   in Loop: Header=BB6_1188 Depth=4
	v_mov_b32_e32 v13, 0
	v_mov_b32_e32 v7, 0
	s_and_saveexec_b64 s[30:31], s[28:29]
	s_cbranch_execz .LBB6_1743
; %bb.1736:                             ;   in Loop: Header=BB6_1188 Depth=4
	v_cmp_ne_u32_e32 vcc, s97, v12
	v_bfrev_b32_e32 v7, 1
	s_and_saveexec_b64 s[28:29], vcc
	s_cbranch_execz .LBB6_1742
; %bb.1737:                             ;   in Loop: Header=BB6_1188 Depth=4
	v_and_b32_e32 v7, 0x7c000000, v22
	v_bfe_u32 v14, v22, 24, 2
	v_cmp_ne_u32_e32 vcc, s37, v7
                                        ; implicit-def: $vgpr7
	s_and_saveexec_b64 s[68:69], vcc
	s_xor_b64 s[68:69], exec, s[68:69]
	s_cbranch_execz .LBB6_1739
; %bb.1738:                             ;   in Loop: Header=BB6_1188 Depth=4
	v_ffbh_u32_e32 v15, v14
	v_min_u32_e32 v15, 32, v15
	v_subrev_u32_e32 v33, 29, v15
	v_bfe_u32 v7, v22, 26, 5
	v_lshlrev_b64 v[34:35], v33, v[12:13]
	v_sub_u32_e32 v12, 30, v15
	v_and_b32_e32 v15, 3, v34
	v_cmp_eq_u32_e32 vcc, 0, v7
	v_cndmask_b32_e32 v7, v7, v12, vcc
	v_cndmask_b32_e32 v12, v14, v15, vcc
	v_bfrev_b32_e32 v14, 28
	v_lshl_add_u32 v7, v7, 23, v14
	v_and_or_b32 v7, v22, s96, v7
	v_lshl_or_b32 v7, v12, 21, v7
                                        ; implicit-def: $vgpr14
.LBB6_1739:                             ;   in Loop: Header=BB6_1188 Depth=4
	s_andn2_saveexec_b64 s[68:69], s[68:69]
; %bb.1740:                             ;   in Loop: Header=BB6_1188 Depth=4
	v_cmp_lt_i32_e32 vcc, -1, v22
	v_mov_b32_e32 v7, 0xc7600000
	v_mov_b32_e32 v12, 0x47600000
	v_cndmask_b32_e32 v7, v7, v12, vcc
	v_cmp_eq_u32_e32 vcc, 0, v14
	v_mov_b32_e32 v12, 0x7f800001
	v_cndmask_b32_e32 v7, v12, v7, vcc
; %bb.1741:                             ;   in Loop: Header=BB6_1188 Depth=4
	s_or_b64 exec, exec, s[68:69]
.LBB6_1742:                             ;   in Loop: Header=BB6_1188 Depth=4
	s_or_b64 exec, exec, s[28:29]
.LBB6_1743:                             ;   in Loop: Header=BB6_1188 Depth=4
	s_or_b64 exec, exec, s[30:31]
	v_cmp_lt_u32_e32 vcc, s43, v18
	s_and_saveexec_b64 s[28:29], vcc
	s_cbranch_execz .LBB6_1751
; %bb.1744:                             ;   in Loop: Header=BB6_1188 Depth=4
	v_cmp_ne_u32_e32 vcc, s97, v6
	v_bfrev_b32_e32 v13, 1
	s_and_saveexec_b64 s[30:31], vcc
	s_cbranch_execz .LBB6_1750
; %bb.1745:                             ;   in Loop: Header=BB6_1188 Depth=4
	v_and_b32_e32 v13, 0x7c000000, v18
	v_bfe_u32 v12, v18, 24, 2
	v_cmp_ne_u32_e32 vcc, s37, v13
                                        ; implicit-def: $vgpr13
	s_and_saveexec_b64 s[68:69], vcc
	s_xor_b64 s[68:69], exec, s[68:69]
	s_cbranch_execz .LBB6_1747
; %bb.1746:                             ;   in Loop: Header=BB6_1188 Depth=4
	v_ffbh_u32_e32 v14, v12
	v_min_u32_e32 v33, 32, v14
	v_bfe_u32 v13, v18, 26, 5
	v_subrev_u32_e32 v14, 29, v33
	v_lshlrev_b64 v[14:15], v14, v[6:7]
	v_sub_u32_e32 v6, 30, v33
	v_cmp_eq_u32_e32 vcc, 0, v13
	v_cndmask_b32_e32 v6, v13, v6, vcc
	v_bfrev_b32_e32 v13, 28
	v_and_b32_e32 v14, 3, v14
	v_lshl_add_u32 v6, v6, 23, v13
	v_cndmask_b32_e32 v12, v12, v14, vcc
	v_and_or_b32 v6, v18, s96, v6
	v_lshl_or_b32 v13, v12, 21, v6
                                        ; implicit-def: $vgpr12
.LBB6_1747:                             ;   in Loop: Header=BB6_1188 Depth=4
	s_andn2_saveexec_b64 s[68:69], s[68:69]
; %bb.1748:                             ;   in Loop: Header=BB6_1188 Depth=4
	v_cmp_lt_i32_e32 vcc, -1, v18
	v_mov_b32_e32 v6, 0xc7600000
	v_mov_b32_e32 v13, 0x47600000
	v_cndmask_b32_e32 v6, v6, v13, vcc
	v_cmp_eq_u32_e32 vcc, 0, v12
	v_mov_b32_e32 v12, 0x7f800001
	v_cndmask_b32_e32 v13, v12, v6, vcc
; %bb.1749:                             ;   in Loop: Header=BB6_1188 Depth=4
	s_or_b64 exec, exec, s[68:69]
.LBB6_1750:                             ;   in Loop: Header=BB6_1188 Depth=4
	s_or_b64 exec, exec, s[30:31]
.LBB6_1751:                             ;   in Loop: Header=BB6_1188 Depth=4
	s_or_b64 exec, exec, s[28:29]
	v_max_f32_e32 v6, v13, v13
	v_max_f32_e32 v7, v7, v7
	v_min_f32_e32 v7, v7, v6
.LBB6_1752:                             ;   in Loop: Header=BB6_1188 Depth=4
	v_and_b32_sdwa v12, v7, s97 dst_sel:DWORD dst_unused:UNUSED_PAD src0_sel:BYTE_3 src1_sel:DWORD
	v_and_b32_e32 v14, 0x7f800000, v7
	v_mov_b32_e32 v15, v51
	v_and_b32_e32 v50, 0x7fffff, v7
	v_or_b32_e32 v33, 0x7b, v12
	v_cmp_ne_u64_e32 vcc, s[52:53], v[14:15]
	s_and_saveexec_b64 s[28:29], vcc
	s_xor_b64 s[30:31], exec, s[28:29]
	s_cbranch_execz .LBB6_1762
; %bb.1753:                             ;   in Loop: Header=BB6_1188 Depth=4
	v_and_b32_e32 v14, 0x7fffffff, v7
	v_mov_b32_e32 v15, v51
	v_cmp_gt_u64_e32 vcc, s[54:55], v[14:15]
	s_and_saveexec_b64 s[68:69], vcc
	s_cbranch_execz .LBB6_1761
; %bb.1754:                             ;   in Loop: Header=BB6_1188 Depth=4
	v_cmp_ne_u32_e32 vcc, 0, v7
	v_mov_b32_e32 v33, 0
	s_and_saveexec_b64 s[70:71], vcc
	s_cbranch_execz .LBB6_1760
; %bb.1755:                             ;   in Loop: Header=BB6_1188 Depth=4
	v_bfe_u32 v6, v7, 23, 8
	v_cmp_eq_u32_e32 vcc, 0, v6
	v_add_u32_e32 v7, 0xffffff81, v6
	v_cmp_gt_u32_e64 s[28:29], s38, v6
	v_sub_u32_e32 v6, 0x71, v6
	v_mov_b32_e32 v14, 0xffffff82
	v_cndmask_b32_e64 v6, 0, v6, s[28:29]
	v_cndmask_b32_e32 v33, v7, v14, vcc
	v_mov_b32_e32 v7, 0x70
	v_cndmask_b32_e32 v34, v6, v7, vcc
	v_add_u32_e32 v6, 21, v34
	v_or_b32_e32 v13, 0x800000, v50
	v_lshlrev_b64 v[6:7], v6, -1
	v_cndmask_b32_e32 v50, v13, v50, vcc
	v_not_b32_e32 v7, v7
	v_not_b32_e32 v6, v6
	v_add_u32_e32 v13, 20, v34
	v_and_b32_e32 v7, 0, v7
	v_and_b32_e32 v6, v50, v6
	v_lshlrev_b64 v[14:15], v13, 1
	v_cmp_eq_u64_e32 vcc, v[6:7], v[14:15]
	v_lshrrev_b64 v[6:7], v34, v[50:51]
	v_lshrrev_b32_e32 v13, 23, v6
	v_add3_u32 v15, v34, v33, v13
	v_bfe_u32 v13, v6, 21, 1
	v_add_u32_e32 v13, -1, v13
	v_cndmask_b32_e32 v13, 0, v13, vcc
	v_add_u32_e32 v13, v13, v6
	v_and_b32_e32 v13, 0x1fffff, v13
	v_add_co_u32_e32 v6, vcc, v13, v6
	v_add_u32_e32 v14, 14, v15
	v_addc_co_u32_e32 v7, vcc, 0, v7, vcc
	v_cmp_ne_u32_e32 vcc, 0, v14
                                        ; implicit-def: $vgpr13
	s_and_saveexec_b64 s[28:29], vcc
	s_xor_b64 s[28:29], exec, s[28:29]
; %bb.1756:                             ;   in Loop: Header=BB6_1188 Depth=4
	v_add_u32_e32 v13, 15, v15
	v_cmp_lt_u64_e32 vcc, s[56:57], v[6:7]
	v_cndmask_b32_e32 v13, v14, v13, vcc
	v_cndmask_b32_e64 v14, 0, 1, vcc
	v_lshrrev_b64 v[6:7], v14, v[6:7]
; %bb.1757:                             ;   in Loop: Header=BB6_1188 Depth=4
	s_andn2_saveexec_b64 s[28:29], s[28:29]
; %bb.1758:                             ;   in Loop: Header=BB6_1188 Depth=4
	v_bfe_u32 v13, v6, 23, 1
; %bb.1759:                             ;   in Loop: Header=BB6_1188 Depth=4
	s_or_b64 exec, exec, s[28:29]
	v_lshrrev_b64 v[6:7], 21, v[6:7]
	v_cmp_gt_i32_e32 vcc, 32, v13
	v_cndmask_b32_e32 v7, 0, v7, vcc
	v_cndmask_b32_e32 v6, 3, v6, vcc
	v_cmp_eq_u64_e64 s[28:29], 0, v[6:7]
	v_min_i32_e32 v7, 31, v13
	v_cmp_eq_u32_e32 vcc, 0, v13
	v_lshlrev_b32_e32 v7, 2, v7
	v_and_or_b32 v6, v6, 3, v7
	s_and_b64 s[28:29], vcc, s[28:29]
	v_cndmask_b32_e64 v6, v6, 0, s[28:29]
	v_or_b32_e32 v33, v6, v12
.LBB6_1760:                             ;   in Loop: Header=BB6_1188 Depth=4
	s_or_b64 exec, exec, s[70:71]
.LBB6_1761:                             ;   in Loop: Header=BB6_1188 Depth=4
	s_or_b64 exec, exec, s[68:69]
                                        ; implicit-def: $vgpr7
.LBB6_1762:                             ;   in Loop: Header=BB6_1188 Depth=4
	s_andn2_saveexec_b64 s[28:29], s[30:31]
; %bb.1763:                             ;   in Loop: Header=BB6_1188 Depth=4
	v_or_b32_sdwa v6, v7, s39 dst_sel:DWORD dst_unused:UNUSED_PAD src0_sel:BYTE_3 src1_sel:DWORD
	v_cmp_eq_u64_e32 vcc, 0, v[50:51]
	v_cndmask_b32_e32 v33, v6, v33, vcc
; %bb.1764:                             ;   in Loop: Header=BB6_1188 Depth=4
	s_or_b64 exec, exec, s[28:29]
	v_mov_b32_e32 v50, v23
	v_mov_b32_e32 v6, v19
	v_mov_b32_e32 v7, v51
	v_cmp_ne_u16_sdwa s[28:29], v23, v51 src0_sel:BYTE_0 src1_sel:DWORD
	s_and_b64 vcc, exec, s[66:67]
	s_cbranch_vccz .LBB6_1782
; %bb.1765:                             ;   in Loop: Header=BB6_1188 Depth=4
	v_mov_b32_e32 v13, 0
	v_mov_b32_e32 v12, 0
	s_and_saveexec_b64 s[30:31], s[28:29]
	s_cbranch_execz .LBB6_1773
; %bb.1766:                             ;   in Loop: Header=BB6_1188 Depth=4
	v_cmp_ne_u16_sdwa vcc, v23, s97 src0_sel:BYTE_0 src1_sel:DWORD
	v_bfrev_b32_e32 v12, 1
	s_and_saveexec_b64 s[68:69], vcc
	s_cbranch_execz .LBB6_1772
; %bb.1767:                             ;   in Loop: Header=BB6_1188 Depth=4
	v_and_b32_e32 v12, 0x7c, v23
	v_and_b32_e32 v14, 3, v23
	v_cmp_ne_u32_e32 vcc, s95, v12
                                        ; implicit-def: $vgpr12
	s_and_saveexec_b64 s[70:71], vcc
	s_xor_b64 s[70:71], exec, s[70:71]
	s_cbranch_execz .LBB6_1769
; %bb.1768:                             ;   in Loop: Header=BB6_1188 Depth=4
	v_ffbh_u32_e32 v15, v14
	v_min_u32_e32 v15, 32, v15
	v_subrev_u32_e32 v34, 29, v15
	v_bfe_u32 v12, v23, 2, 5
	v_lshlrev_b64 v[34:35], v34, v[50:51]
	v_sub_u32_e32 v15, 30, v15
	v_and_b32_e32 v34, 3, v34
	v_cmp_eq_u32_e32 vcc, 0, v12
	v_cndmask_b32_e32 v12, v12, v15, vcc
	v_cndmask_b32_e32 v14, v14, v34, vcc
	v_bfrev_b32_e32 v34, 28
	v_lshlrev_b32_e32 v15, 24, v23
	v_lshl_add_u32 v12, v12, 23, v34
	v_and_or_b32 v12, v15, s96, v12
	v_lshl_or_b32 v12, v14, 21, v12
                                        ; implicit-def: $vgpr14
.LBB6_1769:                             ;   in Loop: Header=BB6_1188 Depth=4
	s_andn2_saveexec_b64 s[70:71], s[70:71]
; %bb.1770:                             ;   in Loop: Header=BB6_1188 Depth=4
	v_mov_b32_e32 v12, -1
	v_cmp_gt_i16_sdwa vcc, sext(v23), v12 src0_sel:BYTE_0 src1_sel:DWORD
	v_mov_b32_e32 v12, 0xc7600000
	v_mov_b32_e32 v15, 0x47600000
	v_cndmask_b32_e32 v12, v12, v15, vcc
	v_cmp_eq_u32_e32 vcc, 0, v14
	v_mov_b32_e32 v14, 0x7f800001
	v_cndmask_b32_e32 v12, v14, v12, vcc
; %bb.1771:                             ;   in Loop: Header=BB6_1188 Depth=4
	s_or_b64 exec, exec, s[70:71]
.LBB6_1772:                             ;   in Loop: Header=BB6_1188 Depth=4
	s_or_b64 exec, exec, s[68:69]
.LBB6_1773:                             ;   in Loop: Header=BB6_1188 Depth=4
	s_or_b64 exec, exec, s[30:31]
	v_cmp_ne_u16_sdwa vcc, v19, v51 src0_sel:BYTE_0 src1_sel:DWORD
	s_and_saveexec_b64 s[30:31], vcc
	s_cbranch_execz .LBB6_1781
; %bb.1774:                             ;   in Loop: Header=BB6_1188 Depth=4
	v_cmp_ne_u16_sdwa vcc, v19, s97 src0_sel:BYTE_0 src1_sel:DWORD
	v_bfrev_b32_e32 v13, 1
	s_and_saveexec_b64 s[68:69], vcc
	s_cbranch_execz .LBB6_1780
; %bb.1775:                             ;   in Loop: Header=BB6_1188 Depth=4
	v_and_b32_e32 v13, 0x7c, v19
	v_and_b32_e32 v14, 3, v19
	v_cmp_ne_u32_e32 vcc, s95, v13
                                        ; implicit-def: $vgpr13
	s_and_saveexec_b64 s[70:71], vcc
	s_xor_b64 s[70:71], exec, s[70:71]
	s_cbranch_execz .LBB6_1777
; %bb.1776:                             ;   in Loop: Header=BB6_1188 Depth=4
	v_ffbh_u32_e32 v15, v14
	v_min_u32_e32 v15, 32, v15
	v_subrev_u32_e32 v34, 29, v15
	v_bfe_u32 v13, v19, 2, 5
	v_lshlrev_b64 v[34:35], v34, v[6:7]
	v_sub_u32_e32 v15, 30, v15
	v_and_b32_e32 v34, 3, v34
	v_cmp_eq_u32_e32 vcc, 0, v13
	v_cndmask_b32_e32 v13, v13, v15, vcc
	v_cndmask_b32_e32 v14, v14, v34, vcc
	v_bfrev_b32_e32 v34, 28
	v_lshlrev_b32_e32 v15, 24, v19
	v_lshl_add_u32 v13, v13, 23, v34
	v_and_or_b32 v13, v15, s96, v13
	v_lshl_or_b32 v13, v14, 21, v13
                                        ; implicit-def: $vgpr14
.LBB6_1777:                             ;   in Loop: Header=BB6_1188 Depth=4
	s_andn2_saveexec_b64 s[70:71], s[70:71]
; %bb.1778:                             ;   in Loop: Header=BB6_1188 Depth=4
	v_mov_b32_e32 v13, -1
	v_cmp_gt_i16_sdwa vcc, sext(v19), v13 src0_sel:BYTE_0 src1_sel:DWORD
	v_mov_b32_e32 v13, 0xc7600000
	v_mov_b32_e32 v15, 0x47600000
	v_cndmask_b32_e32 v13, v13, v15, vcc
	v_cmp_eq_u32_e32 vcc, 0, v14
	v_mov_b32_e32 v14, 0x7f800001
	v_cndmask_b32_e32 v13, v14, v13, vcc
; %bb.1779:                             ;   in Loop: Header=BB6_1188 Depth=4
	s_or_b64 exec, exec, s[70:71]
.LBB6_1780:                             ;   in Loop: Header=BB6_1188 Depth=4
	s_or_b64 exec, exec, s[68:69]
.LBB6_1781:                             ;   in Loop: Header=BB6_1188 Depth=4
	s_or_b64 exec, exec, s[30:31]
	v_max_f32_e32 v13, v13, v13
	v_max_f32_e32 v12, v12, v12
	;; [unrolled: 1-line block ×3, first 2 shown]
	s_branch .LBB6_1800
.LBB6_1782:                             ;   in Loop: Header=BB6_1188 Depth=4
                                        ; implicit-def: $vgpr14
	s_cbranch_execz .LBB6_1800
; %bb.1783:                             ;   in Loop: Header=BB6_1188 Depth=4
	v_mov_b32_e32 v13, 0
	v_mov_b32_e32 v12, 0
	s_and_saveexec_b64 s[30:31], s[28:29]
	s_cbranch_execz .LBB6_1791
; %bb.1784:                             ;   in Loop: Header=BB6_1188 Depth=4
	v_cmp_ne_u16_sdwa vcc, v23, s97 src0_sel:BYTE_0 src1_sel:DWORD
	v_bfrev_b32_e32 v12, 1
	s_and_saveexec_b64 s[28:29], vcc
	s_cbranch_execz .LBB6_1790
; %bb.1785:                             ;   in Loop: Header=BB6_1188 Depth=4
	v_and_b32_e32 v12, 0x7c, v23
	v_and_b32_e32 v14, 3, v23
	v_cmp_ne_u32_e32 vcc, s95, v12
                                        ; implicit-def: $vgpr12
	s_and_saveexec_b64 s[68:69], vcc
	s_xor_b64 s[68:69], exec, s[68:69]
	s_cbranch_execz .LBB6_1787
; %bb.1786:                             ;   in Loop: Header=BB6_1188 Depth=4
	v_ffbh_u32_e32 v15, v14
	v_min_u32_e32 v15, 32, v15
	v_subrev_u32_e32 v34, 29, v15
	v_bfe_u32 v12, v23, 2, 5
	v_lshlrev_b64 v[34:35], v34, v[50:51]
	v_sub_u32_e32 v15, 30, v15
	v_and_b32_e32 v34, 3, v34
	v_cmp_eq_u32_e32 vcc, 0, v12
	v_cndmask_b32_e32 v12, v12, v15, vcc
	v_cndmask_b32_e32 v14, v14, v34, vcc
	v_bfrev_b32_e32 v34, 28
	v_lshlrev_b32_e32 v15, 24, v23
	v_lshl_add_u32 v12, v12, 23, v34
	v_and_or_b32 v12, v15, s96, v12
	v_lshl_or_b32 v12, v14, 21, v12
                                        ; implicit-def: $vgpr14
.LBB6_1787:                             ;   in Loop: Header=BB6_1188 Depth=4
	s_andn2_saveexec_b64 s[68:69], s[68:69]
; %bb.1788:                             ;   in Loop: Header=BB6_1188 Depth=4
	v_mov_b32_e32 v12, -1
	v_cmp_gt_i16_sdwa vcc, sext(v23), v12 src0_sel:BYTE_0 src1_sel:DWORD
	v_mov_b32_e32 v12, 0xc7600000
	v_mov_b32_e32 v15, 0x47600000
	v_cndmask_b32_e32 v12, v12, v15, vcc
	v_cmp_eq_u32_e32 vcc, 0, v14
	v_mov_b32_e32 v14, 0x7f800001
	v_cndmask_b32_e32 v12, v14, v12, vcc
; %bb.1789:                             ;   in Loop: Header=BB6_1188 Depth=4
	s_or_b64 exec, exec, s[68:69]
.LBB6_1790:                             ;   in Loop: Header=BB6_1188 Depth=4
	s_or_b64 exec, exec, s[28:29]
.LBB6_1791:                             ;   in Loop: Header=BB6_1188 Depth=4
	s_or_b64 exec, exec, s[30:31]
	v_cmp_ne_u16_sdwa vcc, v19, v51 src0_sel:BYTE_0 src1_sel:DWORD
	s_and_saveexec_b64 s[28:29], vcc
	s_cbranch_execz .LBB6_1799
; %bb.1792:                             ;   in Loop: Header=BB6_1188 Depth=4
	v_cmp_ne_u16_sdwa vcc, v19, s97 src0_sel:BYTE_0 src1_sel:DWORD
	v_bfrev_b32_e32 v13, 1
	s_and_saveexec_b64 s[30:31], vcc
	s_cbranch_execz .LBB6_1798
; %bb.1793:                             ;   in Loop: Header=BB6_1188 Depth=4
	v_and_b32_e32 v13, 0x7c, v19
	v_and_b32_e32 v14, 3, v19
	v_cmp_ne_u32_e32 vcc, s95, v13
                                        ; implicit-def: $vgpr13
	s_and_saveexec_b64 s[68:69], vcc
	s_xor_b64 s[68:69], exec, s[68:69]
	s_cbranch_execz .LBB6_1795
; %bb.1794:                             ;   in Loop: Header=BB6_1188 Depth=4
	v_ffbh_u32_e32 v15, v14
	v_min_u32_e32 v15, 32, v15
	v_subrev_u32_e32 v34, 29, v15
	v_bfe_u32 v13, v19, 2, 5
	v_lshlrev_b64 v[34:35], v34, v[6:7]
	v_sub_u32_e32 v7, 30, v15
	v_and_b32_e32 v15, 3, v34
	v_cmp_eq_u32_e32 vcc, 0, v13
	v_cndmask_b32_e32 v7, v13, v7, vcc
	v_cndmask_b32_e32 v13, v14, v15, vcc
	v_bfrev_b32_e32 v15, 28
	v_lshlrev_b32_e32 v14, 24, v19
	v_lshl_add_u32 v7, v7, 23, v15
	v_and_or_b32 v7, v14, s96, v7
	v_lshl_or_b32 v13, v13, 21, v7
                                        ; implicit-def: $vgpr14
.LBB6_1795:                             ;   in Loop: Header=BB6_1188 Depth=4
	s_andn2_saveexec_b64 s[68:69], s[68:69]
; %bb.1796:                             ;   in Loop: Header=BB6_1188 Depth=4
	v_mov_b32_e32 v7, -1
	v_cmp_gt_i16_sdwa vcc, sext(v19), v7 src0_sel:BYTE_0 src1_sel:DWORD
	v_mov_b32_e32 v7, 0xc7600000
	v_mov_b32_e32 v13, 0x47600000
	v_cndmask_b32_e32 v7, v7, v13, vcc
	v_cmp_eq_u32_e32 vcc, 0, v14
	v_mov_b32_e32 v13, 0x7f800001
	v_cndmask_b32_e32 v13, v13, v7, vcc
; %bb.1797:                             ;   in Loop: Header=BB6_1188 Depth=4
	s_or_b64 exec, exec, s[68:69]
.LBB6_1798:                             ;   in Loop: Header=BB6_1188 Depth=4
	s_or_b64 exec, exec, s[30:31]
.LBB6_1799:                             ;   in Loop: Header=BB6_1188 Depth=4
	s_or_b64 exec, exec, s[28:29]
	v_max_f32_e32 v7, v13, v13
	v_max_f32_e32 v12, v12, v12
	v_min_f32_e32 v14, v12, v7
.LBB6_1800:                             ;   in Loop: Header=BB6_1188 Depth=4
	v_and_b32_sdwa v7, v14, s97 dst_sel:DWORD dst_unused:UNUSED_PAD src0_sel:BYTE_3 src1_sel:DWORD
	v_and_b32_e32 v36, 0x7f800000, v14
	v_mov_b32_e32 v37, v51
	v_and_b32_e32 v12, 0x7fffff, v14
	v_mov_b32_e32 v13, v51
	v_or_b32_e32 v34, 0x7b, v7
	v_cmp_ne_u64_e32 vcc, s[52:53], v[36:37]
	s_and_saveexec_b64 s[28:29], vcc
	s_xor_b64 s[30:31], exec, s[28:29]
	s_cbranch_execz .LBB6_1810
; %bb.1801:                             ;   in Loop: Header=BB6_1188 Depth=4
	v_and_b32_e32 v36, 0x7fffffff, v14
	v_mov_b32_e32 v37, v51
	v_cmp_gt_u64_e32 vcc, s[54:55], v[36:37]
	s_and_saveexec_b64 s[68:69], vcc
	s_cbranch_execz .LBB6_1809
; %bb.1802:                             ;   in Loop: Header=BB6_1188 Depth=4
	v_cmp_ne_u32_e32 vcc, 0, v14
	v_mov_b32_e32 v34, 0
	s_and_saveexec_b64 s[70:71], vcc
	s_cbranch_execz .LBB6_1808
; %bb.1803:                             ;   in Loop: Header=BB6_1188 Depth=4
	v_bfe_u32 v14, v14, 23, 8
	v_cmp_eq_u32_e32 vcc, 0, v14
	v_add_u32_e32 v15, 0xffffff81, v14
	v_cmp_gt_u32_e64 s[28:29], s38, v14
	v_sub_u32_e32 v14, 0x71, v14
	v_mov_b32_e32 v35, 0xffffff82
	v_cndmask_b32_e64 v14, 0, v14, s[28:29]
	v_cndmask_b32_e32 v36, v15, v35, vcc
	v_mov_b32_e32 v15, 0x70
	v_cndmask_b32_e32 v37, v14, v15, vcc
	v_add_u32_e32 v14, 21, v37
	v_or_b32_e32 v34, 0x800000, v12
	v_lshlrev_b64 v[14:15], v14, -1
	v_cndmask_b32_e32 v12, v34, v12, vcc
	v_not_b32_e32 v15, v15
	v_not_b32_e32 v14, v14
	v_add_u32_e32 v34, 20, v37
	v_and_b32_e32 v15, 0, v15
	v_and_b32_e32 v14, v12, v14
	v_lshlrev_b64 v[34:35], v34, 1
	v_lshrrev_b64 v[12:13], v37, v[12:13]
	v_cmp_eq_u64_e32 vcc, v[14:15], v[34:35]
	v_lshrrev_b32_e32 v14, 23, v12
	v_add3_u32 v34, v37, v36, v14
	v_bfe_u32 v14, v12, 21, 1
	v_add_u32_e32 v14, -1, v14
	v_cndmask_b32_e32 v14, 0, v14, vcc
	v_add_u32_e32 v14, v14, v12
	v_and_b32_e32 v14, 0x1fffff, v14
	v_add_co_u32_e32 v12, vcc, v14, v12
	v_add_u32_e32 v15, 14, v34
	v_addc_co_u32_e32 v13, vcc, 0, v13, vcc
	v_cmp_ne_u32_e32 vcc, 0, v15
                                        ; implicit-def: $vgpr14
	s_and_saveexec_b64 s[28:29], vcc
	s_xor_b64 s[28:29], exec, s[28:29]
; %bb.1804:                             ;   in Loop: Header=BB6_1188 Depth=4
	v_add_u32_e32 v14, 15, v34
	v_cmp_lt_u64_e32 vcc, s[56:57], v[12:13]
	v_cndmask_b32_e32 v14, v15, v14, vcc
	v_cndmask_b32_e64 v15, 0, 1, vcc
	v_lshrrev_b64 v[12:13], v15, v[12:13]
; %bb.1805:                             ;   in Loop: Header=BB6_1188 Depth=4
	s_andn2_saveexec_b64 s[28:29], s[28:29]
; %bb.1806:                             ;   in Loop: Header=BB6_1188 Depth=4
	v_bfe_u32 v14, v12, 23, 1
; %bb.1807:                             ;   in Loop: Header=BB6_1188 Depth=4
	s_or_b64 exec, exec, s[28:29]
	v_lshrrev_b64 v[12:13], 21, v[12:13]
	v_cmp_gt_i32_e32 vcc, 32, v14
	v_cndmask_b32_e32 v13, 0, v13, vcc
	v_cndmask_b32_e32 v12, 3, v12, vcc
	v_cmp_eq_u64_e64 s[28:29], 0, v[12:13]
	v_min_i32_e32 v13, 31, v14
	v_cmp_eq_u32_e32 vcc, 0, v14
	v_lshlrev_b32_e32 v13, 2, v13
	v_and_or_b32 v12, v12, 3, v13
	s_and_b64 s[28:29], vcc, s[28:29]
	v_cndmask_b32_e64 v12, v12, 0, s[28:29]
	v_or_b32_e32 v34, v12, v7
.LBB6_1808:                             ;   in Loop: Header=BB6_1188 Depth=4
	s_or_b64 exec, exec, s[70:71]
.LBB6_1809:                             ;   in Loop: Header=BB6_1188 Depth=4
	s_or_b64 exec, exec, s[68:69]
                                        ; implicit-def: $vgpr14
                                        ; implicit-def: $vgpr12_vgpr13
.LBB6_1810:                             ;   in Loop: Header=BB6_1188 Depth=4
	s_andn2_saveexec_b64 s[28:29], s[30:31]
; %bb.1811:                             ;   in Loop: Header=BB6_1188 Depth=4
	v_or_b32_sdwa v7, v14, s39 dst_sel:DWORD dst_unused:UNUSED_PAD src0_sel:BYTE_3 src1_sel:DWORD
	v_cmp_eq_u64_e32 vcc, 0, v[12:13]
	v_cndmask_b32_e32 v34, v7, v34, vcc
; %bb.1812:                             ;   in Loop: Header=BB6_1188 Depth=4
	s_or_b64 exec, exec, s[28:29]
	v_lshrrev_b16_e32 v14, 8, v50
	v_lshrrev_b16_e32 v12, 8, v6
	v_cmp_ne_u16_e64 s[28:29], 0, v14
	s_and_b64 vcc, exec, s[66:67]
	s_cbranch_vccz .LBB6_1830
; %bb.1813:                             ;   in Loop: Header=BB6_1188 Depth=4
	v_mov_b32_e32 v13, 0
	v_mov_b32_e32 v7, 0
	s_and_saveexec_b64 s[30:31], s[28:29]
	s_cbranch_execz .LBB6_1821
; %bb.1814:                             ;   in Loop: Header=BB6_1188 Depth=4
	v_cmp_ne_u16_e32 vcc, s97, v14
	v_bfrev_b32_e32 v7, 1
	s_and_saveexec_b64 s[68:69], vcc
	s_cbranch_execz .LBB6_1820
; %bb.1815:                             ;   in Loop: Header=BB6_1188 Depth=4
	v_and_b32_e32 v7, 0x7c, v14
	v_and_b32_e32 v35, 3, v14
	v_cmp_ne_u32_e32 vcc, s95, v7
                                        ; implicit-def: $vgpr7
	s_and_saveexec_b64 s[70:71], vcc
	s_xor_b64 s[70:71], exec, s[70:71]
	s_cbranch_execz .LBB6_1817
; %bb.1816:                             ;   in Loop: Header=BB6_1188 Depth=4
	v_ffbh_u32_e32 v36, v35
	v_min_u32_e32 v38, 32, v36
	v_mov_b32_e32 v15, v51
	v_subrev_u32_e32 v36, 29, v38
	v_bfe_u32 v7, v14, 2, 5
	v_lshlrev_b64 v[36:37], v36, v[14:15]
	v_sub_u32_e32 v15, 30, v38
	v_and_b32_e32 v36, 3, v36
	v_cmp_eq_u32_e32 vcc, 0, v7
	v_cndmask_b32_e32 v7, v7, v15, vcc
	v_cndmask_b32_e32 v15, v35, v36, vcc
	v_bfrev_b32_e32 v36, 28
	v_lshlrev_b32_e32 v35, 16, v50
	v_lshl_add_u32 v7, v7, 23, v36
	v_and_or_b32 v7, v35, s96, v7
	v_lshl_or_b32 v7, v15, 21, v7
                                        ; implicit-def: $vgpr35
.LBB6_1817:                             ;   in Loop: Header=BB6_1188 Depth=4
	s_andn2_saveexec_b64 s[70:71], s[70:71]
; %bb.1818:                             ;   in Loop: Header=BB6_1188 Depth=4
	v_cmp_lt_i16_e32 vcc, -1, v50
	v_mov_b32_e32 v7, 0xc7600000
	v_mov_b32_e32 v15, 0x47600000
	v_cndmask_b32_e32 v7, v7, v15, vcc
	v_cmp_eq_u32_e32 vcc, 0, v35
	v_mov_b32_e32 v15, 0x7f800001
	v_cndmask_b32_e32 v7, v15, v7, vcc
; %bb.1819:                             ;   in Loop: Header=BB6_1188 Depth=4
	s_or_b64 exec, exec, s[70:71]
.LBB6_1820:                             ;   in Loop: Header=BB6_1188 Depth=4
	s_or_b64 exec, exec, s[68:69]
.LBB6_1821:                             ;   in Loop: Header=BB6_1188 Depth=4
	s_or_b64 exec, exec, s[30:31]
	v_cmp_ne_u16_e32 vcc, 0, v12
	s_and_saveexec_b64 s[30:31], vcc
	s_cbranch_execz .LBB6_1829
; %bb.1822:                             ;   in Loop: Header=BB6_1188 Depth=4
	v_cmp_ne_u16_e32 vcc, s97, v12
	v_bfrev_b32_e32 v13, 1
	s_and_saveexec_b64 s[68:69], vcc
	s_cbranch_execz .LBB6_1828
; %bb.1823:                             ;   in Loop: Header=BB6_1188 Depth=4
	v_and_b32_e32 v13, 0x7c, v12
	v_and_b32_e32 v15, 3, v12
	v_cmp_ne_u32_e32 vcc, s95, v13
                                        ; implicit-def: $vgpr13
	s_and_saveexec_b64 s[70:71], vcc
	s_xor_b64 s[70:71], exec, s[70:71]
	s_cbranch_execz .LBB6_1825
; %bb.1824:                             ;   in Loop: Header=BB6_1188 Depth=4
	v_ffbh_u32_e32 v36, v15
	v_min_u32_e32 v38, 32, v36
	v_mov_b32_e32 v13, v51
	v_subrev_u32_e32 v36, 29, v38
	v_bfe_u32 v35, v12, 2, 5
	v_lshlrev_b64 v[36:37], v36, v[12:13]
	v_sub_u32_e32 v13, 30, v38
	v_and_b32_e32 v36, 3, v36
	v_cmp_eq_u32_e32 vcc, 0, v35
	v_cndmask_b32_e32 v13, v35, v13, vcc
	v_cndmask_b32_e32 v15, v15, v36, vcc
	v_bfrev_b32_e32 v36, 28
	v_lshlrev_b32_e32 v35, 16, v6
	v_lshl_add_u32 v13, v13, 23, v36
	v_and_or_b32 v13, v35, s96, v13
	v_lshl_or_b32 v13, v15, 21, v13
                                        ; implicit-def: $vgpr15
.LBB6_1825:                             ;   in Loop: Header=BB6_1188 Depth=4
	s_andn2_saveexec_b64 s[70:71], s[70:71]
; %bb.1826:                             ;   in Loop: Header=BB6_1188 Depth=4
	v_cmp_lt_i16_e32 vcc, -1, v6
	v_mov_b32_e32 v13, 0xc7600000
	v_mov_b32_e32 v35, 0x47600000
	v_cndmask_b32_e32 v13, v13, v35, vcc
	v_cmp_eq_u32_e32 vcc, 0, v15
	v_mov_b32_e32 v15, 0x7f800001
	v_cndmask_b32_e32 v13, v15, v13, vcc
; %bb.1827:                             ;   in Loop: Header=BB6_1188 Depth=4
	s_or_b64 exec, exec, s[70:71]
.LBB6_1828:                             ;   in Loop: Header=BB6_1188 Depth=4
	s_or_b64 exec, exec, s[68:69]
.LBB6_1829:                             ;   in Loop: Header=BB6_1188 Depth=4
	s_or_b64 exec, exec, s[30:31]
	v_max_f32_e32 v13, v13, v13
	v_max_f32_e32 v7, v7, v7
	;; [unrolled: 1-line block ×3, first 2 shown]
	s_branch .LBB6_1848
.LBB6_1830:                             ;   in Loop: Header=BB6_1188 Depth=4
                                        ; implicit-def: $vgpr7
	s_cbranch_execz .LBB6_1848
; %bb.1831:                             ;   in Loop: Header=BB6_1188 Depth=4
	v_mov_b32_e32 v13, 0
	v_mov_b32_e32 v15, 0
	s_and_saveexec_b64 s[30:31], s[28:29]
	s_cbranch_execz .LBB6_1839
; %bb.1832:                             ;   in Loop: Header=BB6_1188 Depth=4
	v_cmp_ne_u16_e32 vcc, s97, v14
	v_bfrev_b32_e32 v15, 1
	s_and_saveexec_b64 s[28:29], vcc
	s_cbranch_execz .LBB6_1838
; %bb.1833:                             ;   in Loop: Header=BB6_1188 Depth=4
	v_and_b32_e32 v15, 0x7c, v14
	v_and_b32_e32 v7, 3, v14
	v_cmp_ne_u32_e32 vcc, s95, v15
                                        ; implicit-def: $vgpr15
	s_and_saveexec_b64 s[68:69], vcc
	s_xor_b64 s[68:69], exec, s[68:69]
	s_cbranch_execz .LBB6_1835
; %bb.1834:                             ;   in Loop: Header=BB6_1188 Depth=4
	v_ffbh_u32_e32 v36, v7
	v_min_u32_e32 v36, 32, v36
	v_mov_b32_e32 v15, v51
	v_subrev_u32_e32 v37, 29, v36
	v_bfe_u32 v35, v14, 2, 5
	v_lshlrev_b64 v[14:15], v37, v[14:15]
	v_sub_u32_e32 v15, 30, v36
	v_cmp_eq_u32_e32 vcc, 0, v35
	v_and_b32_e32 v14, 3, v14
	v_cndmask_b32_e32 v15, v35, v15, vcc
	v_bfrev_b32_e32 v35, 28
	v_cndmask_b32_e32 v7, v7, v14, vcc
	v_lshlrev_b32_e32 v14, 16, v50
	v_lshl_add_u32 v15, v15, 23, v35
	v_and_or_b32 v14, v14, s96, v15
	v_lshl_or_b32 v15, v7, 21, v14
                                        ; implicit-def: $vgpr7
.LBB6_1835:                             ;   in Loop: Header=BB6_1188 Depth=4
	s_andn2_saveexec_b64 s[68:69], s[68:69]
; %bb.1836:                             ;   in Loop: Header=BB6_1188 Depth=4
	v_cmp_lt_i16_e32 vcc, -1, v50
	v_mov_b32_e32 v14, 0xc7600000
	v_mov_b32_e32 v15, 0x47600000
	v_cndmask_b32_e32 v14, v14, v15, vcc
	v_cmp_eq_u32_e32 vcc, 0, v7
	v_mov_b32_e32 v7, 0x7f800001
	v_cndmask_b32_e32 v15, v7, v14, vcc
; %bb.1837:                             ;   in Loop: Header=BB6_1188 Depth=4
	s_or_b64 exec, exec, s[68:69]
.LBB6_1838:                             ;   in Loop: Header=BB6_1188 Depth=4
	s_or_b64 exec, exec, s[28:29]
.LBB6_1839:                             ;   in Loop: Header=BB6_1188 Depth=4
	s_or_b64 exec, exec, s[30:31]
	v_cmp_ne_u16_e32 vcc, 0, v12
	s_and_saveexec_b64 s[28:29], vcc
	s_cbranch_execz .LBB6_1847
; %bb.1840:                             ;   in Loop: Header=BB6_1188 Depth=4
	v_cmp_ne_u16_e32 vcc, s97, v12
	v_bfrev_b32_e32 v13, 1
	s_and_saveexec_b64 s[30:31], vcc
	s_cbranch_execz .LBB6_1846
; %bb.1841:                             ;   in Loop: Header=BB6_1188 Depth=4
	v_and_b32_e32 v7, 0x7c, v12
	v_and_b32_e32 v14, 3, v12
	v_cmp_ne_u32_e32 vcc, s95, v7
                                        ; implicit-def: $vgpr13
	s_and_saveexec_b64 s[68:69], vcc
	s_xor_b64 s[68:69], exec, s[68:69]
	s_cbranch_execz .LBB6_1843
; %bb.1842:                             ;   in Loop: Header=BB6_1188 Depth=4
	v_ffbh_u32_e32 v35, v14
	v_min_u32_e32 v35, 32, v35
	v_mov_b32_e32 v13, v51
	v_subrev_u32_e32 v36, 29, v35
	v_bfe_u32 v7, v12, 2, 5
	v_lshlrev_b64 v[12:13], v36, v[12:13]
	v_sub_u32_e32 v13, 30, v35
	v_cmp_eq_u32_e32 vcc, 0, v7
	v_cndmask_b32_e32 v7, v7, v13, vcc
	v_bfrev_b32_e32 v13, 28
	v_and_b32_e32 v12, 3, v12
	v_lshlrev_b32_e32 v6, 16, v6
	v_lshl_add_u32 v7, v7, 23, v13
	v_cndmask_b32_e32 v12, v14, v12, vcc
	v_and_or_b32 v6, v6, s96, v7
	v_lshl_or_b32 v13, v12, 21, v6
                                        ; implicit-def: $vgpr14
                                        ; implicit-def: $vgpr6_vgpr7
.LBB6_1843:                             ;   in Loop: Header=BB6_1188 Depth=4
	s_andn2_saveexec_b64 s[68:69], s[68:69]
; %bb.1844:                             ;   in Loop: Header=BB6_1188 Depth=4
	v_cmp_lt_i16_e32 vcc, -1, v6
	v_mov_b32_e32 v6, 0xc7600000
	v_mov_b32_e32 v7, 0x47600000
	v_cndmask_b32_e32 v6, v6, v7, vcc
	v_cmp_eq_u32_e32 vcc, 0, v14
	v_mov_b32_e32 v7, 0x7f800001
	v_cndmask_b32_e32 v13, v7, v6, vcc
; %bb.1845:                             ;   in Loop: Header=BB6_1188 Depth=4
	s_or_b64 exec, exec, s[68:69]
.LBB6_1846:                             ;   in Loop: Header=BB6_1188 Depth=4
	s_or_b64 exec, exec, s[30:31]
.LBB6_1847:                             ;   in Loop: Header=BB6_1188 Depth=4
	s_or_b64 exec, exec, s[28:29]
	v_max_f32_e32 v6, v13, v13
	v_max_f32_e32 v7, v15, v15
	v_min_f32_e32 v7, v7, v6
.LBB6_1848:                             ;   in Loop: Header=BB6_1188 Depth=4
	v_and_b32_sdwa v12, v7, s97 dst_sel:DWORD dst_unused:UNUSED_PAD src0_sel:BYTE_3 src1_sel:DWORD
	v_and_b32_e32 v14, 0x7f800000, v7
	v_mov_b32_e32 v15, v51
	v_and_b32_e32 v50, 0x7fffff, v7
	v_or_b32_e32 v35, 0x7b, v12
	v_cmp_ne_u64_e32 vcc, s[52:53], v[14:15]
	s_and_saveexec_b64 s[28:29], vcc
	s_xor_b64 s[30:31], exec, s[28:29]
	s_cbranch_execz .LBB6_1858
; %bb.1849:                             ;   in Loop: Header=BB6_1188 Depth=4
	v_and_b32_e32 v14, 0x7fffffff, v7
	v_mov_b32_e32 v15, v51
	v_cmp_gt_u64_e32 vcc, s[54:55], v[14:15]
	s_and_saveexec_b64 s[68:69], vcc
	s_cbranch_execz .LBB6_1857
; %bb.1850:                             ;   in Loop: Header=BB6_1188 Depth=4
	v_cmp_ne_u32_e32 vcc, 0, v7
	v_mov_b32_e32 v35, 0
	s_and_saveexec_b64 s[70:71], vcc
	s_cbranch_execz .LBB6_1856
; %bb.1851:                             ;   in Loop: Header=BB6_1188 Depth=4
	v_bfe_u32 v6, v7, 23, 8
	v_cmp_eq_u32_e32 vcc, 0, v6
	v_add_u32_e32 v7, 0xffffff81, v6
	v_cmp_gt_u32_e64 s[28:29], s38, v6
	v_sub_u32_e32 v6, 0x71, v6
	v_mov_b32_e32 v14, 0xffffff82
	v_cndmask_b32_e64 v6, 0, v6, s[28:29]
	v_cndmask_b32_e32 v35, v7, v14, vcc
	v_mov_b32_e32 v7, 0x70
	v_cndmask_b32_e32 v36, v6, v7, vcc
	v_add_u32_e32 v6, 21, v36
	v_or_b32_e32 v13, 0x800000, v50
	v_lshlrev_b64 v[6:7], v6, -1
	v_cndmask_b32_e32 v50, v13, v50, vcc
	v_not_b32_e32 v7, v7
	v_not_b32_e32 v6, v6
	v_add_u32_e32 v13, 20, v36
	v_and_b32_e32 v7, 0, v7
	v_and_b32_e32 v6, v50, v6
	v_lshlrev_b64 v[14:15], v13, 1
	v_cmp_eq_u64_e32 vcc, v[6:7], v[14:15]
	v_lshrrev_b64 v[6:7], v36, v[50:51]
	v_lshrrev_b32_e32 v13, 23, v6
	v_add3_u32 v15, v36, v35, v13
	v_bfe_u32 v13, v6, 21, 1
	v_add_u32_e32 v13, -1, v13
	v_cndmask_b32_e32 v13, 0, v13, vcc
	v_add_u32_e32 v13, v13, v6
	v_and_b32_e32 v13, 0x1fffff, v13
	v_add_co_u32_e32 v6, vcc, v13, v6
	v_add_u32_e32 v14, 14, v15
	v_addc_co_u32_e32 v7, vcc, 0, v7, vcc
	v_cmp_ne_u32_e32 vcc, 0, v14
                                        ; implicit-def: $vgpr13
	s_and_saveexec_b64 s[28:29], vcc
	s_xor_b64 s[28:29], exec, s[28:29]
; %bb.1852:                             ;   in Loop: Header=BB6_1188 Depth=4
	v_add_u32_e32 v13, 15, v15
	v_cmp_lt_u64_e32 vcc, s[56:57], v[6:7]
	v_cndmask_b32_e32 v13, v14, v13, vcc
	v_cndmask_b32_e64 v14, 0, 1, vcc
	v_lshrrev_b64 v[6:7], v14, v[6:7]
; %bb.1853:                             ;   in Loop: Header=BB6_1188 Depth=4
	s_andn2_saveexec_b64 s[28:29], s[28:29]
; %bb.1854:                             ;   in Loop: Header=BB6_1188 Depth=4
	v_bfe_u32 v13, v6, 23, 1
; %bb.1855:                             ;   in Loop: Header=BB6_1188 Depth=4
	s_or_b64 exec, exec, s[28:29]
	v_lshrrev_b64 v[6:7], 21, v[6:7]
	v_cmp_gt_i32_e32 vcc, 32, v13
	v_cndmask_b32_e32 v7, 0, v7, vcc
	v_cndmask_b32_e32 v6, 3, v6, vcc
	v_cmp_eq_u64_e64 s[28:29], 0, v[6:7]
	v_min_i32_e32 v7, 31, v13
	v_cmp_eq_u32_e32 vcc, 0, v13
	v_lshlrev_b32_e32 v7, 2, v7
	v_and_or_b32 v6, v6, 3, v7
	s_and_b64 s[28:29], vcc, s[28:29]
	v_cndmask_b32_e64 v6, v6, 0, s[28:29]
	v_or_b32_e32 v35, v6, v12
.LBB6_1856:                             ;   in Loop: Header=BB6_1188 Depth=4
	s_or_b64 exec, exec, s[70:71]
.LBB6_1857:                             ;   in Loop: Header=BB6_1188 Depth=4
	s_or_b64 exec, exec, s[68:69]
                                        ; implicit-def: $vgpr7
.LBB6_1858:                             ;   in Loop: Header=BB6_1188 Depth=4
	s_andn2_saveexec_b64 s[28:29], s[30:31]
; %bb.1859:                             ;   in Loop: Header=BB6_1188 Depth=4
	v_or_b32_sdwa v6, v7, s39 dst_sel:DWORD dst_unused:UNUSED_PAD src0_sel:BYTE_3 src1_sel:DWORD
	v_cmp_eq_u64_e32 vcc, 0, v[50:51]
	v_cndmask_b32_e32 v35, v6, v35, vcc
; %bb.1860:                             ;   in Loop: Header=BB6_1188 Depth=4
	s_or_b64 exec, exec, s[28:29]
	v_lshrrev_b32_e32 v12, 16, v23
	v_lshrrev_b32_e32 v6, 16, v19
	v_cmp_ne_u16_sdwa s[28:29], v12, v51 src0_sel:BYTE_0 src1_sel:DWORD
	s_and_b64 vcc, exec, s[66:67]
	s_cbranch_vccz .LBB6_1878
; %bb.1861:                             ;   in Loop: Header=BB6_1188 Depth=4
	v_mov_b32_e32 v13, 0
	v_mov_b32_e32 v7, 0
	s_and_saveexec_b64 s[30:31], s[28:29]
	s_cbranch_execz .LBB6_1869
; %bb.1862:                             ;   in Loop: Header=BB6_1188 Depth=4
	v_cmp_ne_u16_sdwa vcc, v12, s97 src0_sel:BYTE_0 src1_sel:DWORD
	v_bfrev_b32_e32 v7, 1
	s_and_saveexec_b64 s[68:69], vcc
	s_cbranch_execz .LBB6_1868
; %bb.1863:                             ;   in Loop: Header=BB6_1188 Depth=4
	v_and_b32_e32 v7, 0x7c0000, v23
	v_bfe_u32 v14, v23, 16, 2
	v_cmp_ne_u32_e32 vcc, s36, v7
                                        ; implicit-def: $vgpr7
	s_and_saveexec_b64 s[70:71], vcc
	s_xor_b64 s[70:71], exec, s[70:71]
	s_cbranch_execz .LBB6_1865
; %bb.1864:                             ;   in Loop: Header=BB6_1188 Depth=4
	v_ffbh_u32_e32 v15, v14
	v_min_u32_e32 v15, 32, v15
	v_subrev_u32_e32 v36, 29, v15
	v_bfe_u32 v7, v23, 18, 5
	v_lshlrev_b64 v[36:37], v36, v[12:13]
	v_sub_u32_e32 v15, 30, v15
	v_and_b32_e32 v36, 3, v36
	v_cmp_eq_u32_e32 vcc, 0, v7
	v_cndmask_b32_e32 v7, v7, v15, vcc
	v_cndmask_b32_e32 v14, v14, v36, vcc
	v_bfrev_b32_e32 v36, 28
	v_lshlrev_b32_e32 v15, 24, v12
	v_lshl_add_u32 v7, v7, 23, v36
	v_and_or_b32 v7, v15, s96, v7
	v_lshl_or_b32 v7, v14, 21, v7
                                        ; implicit-def: $vgpr14
.LBB6_1865:                             ;   in Loop: Header=BB6_1188 Depth=4
	s_andn2_saveexec_b64 s[70:71], s[70:71]
; %bb.1866:                             ;   in Loop: Header=BB6_1188 Depth=4
	v_mov_b32_e32 v7, -1
	v_cmp_gt_i16_sdwa vcc, sext(v12), v7 src0_sel:BYTE_0 src1_sel:DWORD
	v_mov_b32_e32 v7, 0xc7600000
	v_mov_b32_e32 v15, 0x47600000
	v_cndmask_b32_e32 v7, v7, v15, vcc
	v_cmp_eq_u32_e32 vcc, 0, v14
	v_mov_b32_e32 v14, 0x7f800001
	v_cndmask_b32_e32 v7, v14, v7, vcc
; %bb.1867:                             ;   in Loop: Header=BB6_1188 Depth=4
	s_or_b64 exec, exec, s[70:71]
.LBB6_1868:                             ;   in Loop: Header=BB6_1188 Depth=4
	s_or_b64 exec, exec, s[68:69]
.LBB6_1869:                             ;   in Loop: Header=BB6_1188 Depth=4
	s_or_b64 exec, exec, s[30:31]
	v_cmp_ne_u16_sdwa vcc, v6, v51 src0_sel:BYTE_0 src1_sel:DWORD
	s_and_saveexec_b64 s[30:31], vcc
	s_cbranch_execz .LBB6_1877
; %bb.1870:                             ;   in Loop: Header=BB6_1188 Depth=4
	v_cmp_ne_u16_sdwa vcc, v6, s97 src0_sel:BYTE_0 src1_sel:DWORD
	v_bfrev_b32_e32 v13, 1
	s_and_saveexec_b64 s[68:69], vcc
	s_cbranch_execz .LBB6_1876
; %bb.1871:                             ;   in Loop: Header=BB6_1188 Depth=4
	v_and_b32_e32 v13, 0x7c0000, v19
	v_bfe_u32 v14, v19, 16, 2
	v_cmp_ne_u32_e32 vcc, s36, v13
                                        ; implicit-def: $vgpr13
	s_and_saveexec_b64 s[70:71], vcc
	s_xor_b64 s[70:71], exec, s[70:71]
	s_cbranch_execz .LBB6_1873
; %bb.1872:                             ;   in Loop: Header=BB6_1188 Depth=4
	v_ffbh_u32_e32 v15, v14
	v_min_u32_e32 v15, 32, v15
	v_subrev_u32_e32 v36, 29, v15
	v_bfe_u32 v13, v19, 18, 5
	v_lshlrev_b64 v[36:37], v36, v[6:7]
	v_sub_u32_e32 v15, 30, v15
	v_and_b32_e32 v36, 3, v36
	v_cmp_eq_u32_e32 vcc, 0, v13
	v_cndmask_b32_e32 v13, v13, v15, vcc
	v_cndmask_b32_e32 v14, v14, v36, vcc
	v_bfrev_b32_e32 v36, 28
	v_lshlrev_b32_e32 v15, 24, v6
	v_lshl_add_u32 v13, v13, 23, v36
	v_and_or_b32 v13, v15, s96, v13
	v_lshl_or_b32 v13, v14, 21, v13
                                        ; implicit-def: $vgpr14
.LBB6_1873:                             ;   in Loop: Header=BB6_1188 Depth=4
	s_andn2_saveexec_b64 s[70:71], s[70:71]
; %bb.1874:                             ;   in Loop: Header=BB6_1188 Depth=4
	v_mov_b32_e32 v13, -1
	v_cmp_gt_i16_sdwa vcc, sext(v6), v13 src0_sel:BYTE_0 src1_sel:DWORD
	v_mov_b32_e32 v13, 0xc7600000
	v_mov_b32_e32 v15, 0x47600000
	v_cndmask_b32_e32 v13, v13, v15, vcc
	v_cmp_eq_u32_e32 vcc, 0, v14
	v_mov_b32_e32 v14, 0x7f800001
	v_cndmask_b32_e32 v13, v14, v13, vcc
; %bb.1875:                             ;   in Loop: Header=BB6_1188 Depth=4
	s_or_b64 exec, exec, s[70:71]
.LBB6_1876:                             ;   in Loop: Header=BB6_1188 Depth=4
	s_or_b64 exec, exec, s[68:69]
.LBB6_1877:                             ;   in Loop: Header=BB6_1188 Depth=4
	s_or_b64 exec, exec, s[30:31]
	v_max_f32_e32 v13, v13, v13
	v_max_f32_e32 v7, v7, v7
	;; [unrolled: 1-line block ×3, first 2 shown]
	s_branch .LBB6_1896
.LBB6_1878:                             ;   in Loop: Header=BB6_1188 Depth=4
                                        ; implicit-def: $vgpr7
	s_cbranch_execz .LBB6_1896
; %bb.1879:                             ;   in Loop: Header=BB6_1188 Depth=4
	v_mov_b32_e32 v13, 0
	v_mov_b32_e32 v7, 0
	s_and_saveexec_b64 s[30:31], s[28:29]
	s_cbranch_execz .LBB6_1887
; %bb.1880:                             ;   in Loop: Header=BB6_1188 Depth=4
	v_cmp_ne_u16_sdwa vcc, v12, s97 src0_sel:BYTE_0 src1_sel:DWORD
	v_bfrev_b32_e32 v7, 1
	s_and_saveexec_b64 s[28:29], vcc
	s_cbranch_execz .LBB6_1886
; %bb.1881:                             ;   in Loop: Header=BB6_1188 Depth=4
	v_and_b32_e32 v7, 0x7c0000, v23
	v_bfe_u32 v14, v23, 16, 2
	v_cmp_ne_u32_e32 vcc, s36, v7
                                        ; implicit-def: $vgpr7
	s_and_saveexec_b64 s[68:69], vcc
	s_xor_b64 s[68:69], exec, s[68:69]
	s_cbranch_execz .LBB6_1883
; %bb.1882:                             ;   in Loop: Header=BB6_1188 Depth=4
	v_ffbh_u32_e32 v15, v14
	v_bfe_u32 v7, v23, 18, 5
	v_min_u32_e32 v15, 32, v15
	v_subrev_u32_e32 v36, 29, v15
	v_sub_u32_e32 v15, 30, v15
	v_cmp_eq_u32_e32 vcc, 0, v7
	v_lshlrev_b64 v[36:37], v36, v[12:13]
	v_cndmask_b32_e32 v7, v7, v15, vcc
	v_bfrev_b32_e32 v15, 28
	v_and_b32_e32 v36, 3, v36
	v_lshlrev_b32_e32 v12, 24, v12
	v_lshl_add_u32 v7, v7, 23, v15
	v_cndmask_b32_e32 v14, v14, v36, vcc
	v_and_or_b32 v7, v12, s96, v7
	v_lshl_or_b32 v7, v14, 21, v7
                                        ; implicit-def: $vgpr14
                                        ; implicit-def: $vgpr12
.LBB6_1883:                             ;   in Loop: Header=BB6_1188 Depth=4
	s_andn2_saveexec_b64 s[68:69], s[68:69]
; %bb.1884:                             ;   in Loop: Header=BB6_1188 Depth=4
	v_mov_b32_e32 v7, -1
	v_cmp_gt_i16_sdwa vcc, sext(v12), v7 src0_sel:BYTE_0 src1_sel:DWORD
	v_mov_b32_e32 v7, 0xc7600000
	v_mov_b32_e32 v12, 0x47600000
	v_cndmask_b32_e32 v7, v7, v12, vcc
	v_cmp_eq_u32_e32 vcc, 0, v14
	v_mov_b32_e32 v12, 0x7f800001
	v_cndmask_b32_e32 v7, v12, v7, vcc
; %bb.1885:                             ;   in Loop: Header=BB6_1188 Depth=4
	s_or_b64 exec, exec, s[68:69]
.LBB6_1886:                             ;   in Loop: Header=BB6_1188 Depth=4
	s_or_b64 exec, exec, s[28:29]
.LBB6_1887:                             ;   in Loop: Header=BB6_1188 Depth=4
	s_or_b64 exec, exec, s[30:31]
	v_cmp_ne_u16_sdwa vcc, v6, v51 src0_sel:BYTE_0 src1_sel:DWORD
	s_and_saveexec_b64 s[28:29], vcc
	s_cbranch_execz .LBB6_1895
; %bb.1888:                             ;   in Loop: Header=BB6_1188 Depth=4
	v_cmp_ne_u16_sdwa vcc, v6, s97 src0_sel:BYTE_0 src1_sel:DWORD
	v_bfrev_b32_e32 v13, 1
	s_and_saveexec_b64 s[30:31], vcc
	s_cbranch_execz .LBB6_1894
; %bb.1889:                             ;   in Loop: Header=BB6_1188 Depth=4
	v_and_b32_e32 v13, 0x7c0000, v19
	v_bfe_u32 v12, v19, 16, 2
	v_cmp_ne_u32_e32 vcc, s36, v13
                                        ; implicit-def: $vgpr13
	s_and_saveexec_b64 s[68:69], vcc
	s_xor_b64 s[68:69], exec, s[68:69]
	s_cbranch_execz .LBB6_1891
; %bb.1890:                             ;   in Loop: Header=BB6_1188 Depth=4
	v_ffbh_u32_e32 v14, v12
	v_min_u32_e32 v36, 32, v14
	v_subrev_u32_e32 v14, 29, v36
	v_bfe_u32 v13, v19, 18, 5
	v_lshlrev_b64 v[14:15], v14, v[6:7]
	v_sub_u32_e32 v15, 30, v36
	v_and_b32_e32 v14, 3, v14
	v_cmp_eq_u32_e32 vcc, 0, v13
	v_cndmask_b32_e32 v13, v13, v15, vcc
	v_cndmask_b32_e32 v12, v12, v14, vcc
	v_bfrev_b32_e32 v14, 28
	v_lshlrev_b32_e32 v6, 24, v6
	v_lshl_add_u32 v13, v13, 23, v14
	v_and_or_b32 v6, v6, s96, v13
	v_lshl_or_b32 v13, v12, 21, v6
                                        ; implicit-def: $vgpr12
                                        ; implicit-def: $vgpr6
.LBB6_1891:                             ;   in Loop: Header=BB6_1188 Depth=4
	s_andn2_saveexec_b64 s[68:69], s[68:69]
; %bb.1892:                             ;   in Loop: Header=BB6_1188 Depth=4
	v_mov_b32_e32 v13, -1
	v_cmp_gt_i16_sdwa vcc, sext(v6), v13 src0_sel:BYTE_0 src1_sel:DWORD
	v_mov_b32_e32 v6, 0xc7600000
	v_mov_b32_e32 v13, 0x47600000
	v_cndmask_b32_e32 v6, v6, v13, vcc
	v_cmp_eq_u32_e32 vcc, 0, v12
	v_mov_b32_e32 v12, 0x7f800001
	v_cndmask_b32_e32 v13, v12, v6, vcc
; %bb.1893:                             ;   in Loop: Header=BB6_1188 Depth=4
	s_or_b64 exec, exec, s[68:69]
.LBB6_1894:                             ;   in Loop: Header=BB6_1188 Depth=4
	s_or_b64 exec, exec, s[30:31]
.LBB6_1895:                             ;   in Loop: Header=BB6_1188 Depth=4
	s_or_b64 exec, exec, s[28:29]
	v_max_f32_e32 v6, v13, v13
	v_max_f32_e32 v7, v7, v7
	v_min_f32_e32 v7, v7, v6
.LBB6_1896:                             ;   in Loop: Header=BB6_1188 Depth=4
	v_and_b32_sdwa v12, v7, s97 dst_sel:DWORD dst_unused:UNUSED_PAD src0_sel:BYTE_3 src1_sel:DWORD
	v_and_b32_e32 v14, 0x7f800000, v7
	v_mov_b32_e32 v15, v51
	v_and_b32_e32 v50, 0x7fffff, v7
	v_or_b32_e32 v36, 0x7b, v12
	v_cmp_ne_u64_e32 vcc, s[52:53], v[14:15]
	s_and_saveexec_b64 s[28:29], vcc
	s_xor_b64 s[30:31], exec, s[28:29]
	s_cbranch_execz .LBB6_1906
; %bb.1897:                             ;   in Loop: Header=BB6_1188 Depth=4
	v_and_b32_e32 v14, 0x7fffffff, v7
	v_mov_b32_e32 v15, v51
	v_cmp_gt_u64_e32 vcc, s[54:55], v[14:15]
	s_and_saveexec_b64 s[68:69], vcc
	s_cbranch_execz .LBB6_1905
; %bb.1898:                             ;   in Loop: Header=BB6_1188 Depth=4
	v_cmp_ne_u32_e32 vcc, 0, v7
	v_mov_b32_e32 v36, 0
	s_and_saveexec_b64 s[70:71], vcc
	s_cbranch_execz .LBB6_1904
; %bb.1899:                             ;   in Loop: Header=BB6_1188 Depth=4
	v_bfe_u32 v6, v7, 23, 8
	v_cmp_eq_u32_e32 vcc, 0, v6
	v_add_u32_e32 v7, 0xffffff81, v6
	v_cmp_gt_u32_e64 s[28:29], s38, v6
	v_sub_u32_e32 v6, 0x71, v6
	v_mov_b32_e32 v14, 0xffffff82
	v_cndmask_b32_e64 v6, 0, v6, s[28:29]
	v_cndmask_b32_e32 v36, v7, v14, vcc
	v_mov_b32_e32 v7, 0x70
	v_cndmask_b32_e32 v37, v6, v7, vcc
	v_add_u32_e32 v6, 21, v37
	v_or_b32_e32 v13, 0x800000, v50
	v_lshlrev_b64 v[6:7], v6, -1
	v_cndmask_b32_e32 v50, v13, v50, vcc
	v_not_b32_e32 v7, v7
	v_not_b32_e32 v6, v6
	v_add_u32_e32 v13, 20, v37
	v_and_b32_e32 v7, 0, v7
	v_and_b32_e32 v6, v50, v6
	v_lshlrev_b64 v[14:15], v13, 1
	v_cmp_eq_u64_e32 vcc, v[6:7], v[14:15]
	v_lshrrev_b64 v[6:7], v37, v[50:51]
	v_lshrrev_b32_e32 v13, 23, v6
	v_add3_u32 v15, v37, v36, v13
	v_bfe_u32 v13, v6, 21, 1
	v_add_u32_e32 v13, -1, v13
	v_cndmask_b32_e32 v13, 0, v13, vcc
	v_add_u32_e32 v13, v13, v6
	v_and_b32_e32 v13, 0x1fffff, v13
	v_add_co_u32_e32 v6, vcc, v13, v6
	v_add_u32_e32 v14, 14, v15
	v_addc_co_u32_e32 v7, vcc, 0, v7, vcc
	v_cmp_ne_u32_e32 vcc, 0, v14
                                        ; implicit-def: $vgpr13
	s_and_saveexec_b64 s[28:29], vcc
	s_xor_b64 s[28:29], exec, s[28:29]
; %bb.1900:                             ;   in Loop: Header=BB6_1188 Depth=4
	v_add_u32_e32 v13, 15, v15
	v_cmp_lt_u64_e32 vcc, s[56:57], v[6:7]
	v_cndmask_b32_e32 v13, v14, v13, vcc
	v_cndmask_b32_e64 v14, 0, 1, vcc
	v_lshrrev_b64 v[6:7], v14, v[6:7]
; %bb.1901:                             ;   in Loop: Header=BB6_1188 Depth=4
	s_andn2_saveexec_b64 s[28:29], s[28:29]
; %bb.1902:                             ;   in Loop: Header=BB6_1188 Depth=4
	v_bfe_u32 v13, v6, 23, 1
; %bb.1903:                             ;   in Loop: Header=BB6_1188 Depth=4
	s_or_b64 exec, exec, s[28:29]
	v_lshrrev_b64 v[6:7], 21, v[6:7]
	v_cmp_gt_i32_e32 vcc, 32, v13
	v_cndmask_b32_e32 v7, 0, v7, vcc
	v_cndmask_b32_e32 v6, 3, v6, vcc
	v_cmp_eq_u64_e64 s[28:29], 0, v[6:7]
	v_min_i32_e32 v7, 31, v13
	v_cmp_eq_u32_e32 vcc, 0, v13
	v_lshlrev_b32_e32 v7, 2, v7
	v_and_or_b32 v6, v6, 3, v7
	s_and_b64 s[28:29], vcc, s[28:29]
	v_cndmask_b32_e64 v6, v6, 0, s[28:29]
	v_or_b32_e32 v36, v6, v12
.LBB6_1904:                             ;   in Loop: Header=BB6_1188 Depth=4
	s_or_b64 exec, exec, s[70:71]
.LBB6_1905:                             ;   in Loop: Header=BB6_1188 Depth=4
	s_or_b64 exec, exec, s[68:69]
                                        ; implicit-def: $vgpr7
.LBB6_1906:                             ;   in Loop: Header=BB6_1188 Depth=4
	s_andn2_saveexec_b64 s[28:29], s[30:31]
; %bb.1907:                             ;   in Loop: Header=BB6_1188 Depth=4
	v_or_b32_sdwa v6, v7, s39 dst_sel:DWORD dst_unused:UNUSED_PAD src0_sel:BYTE_3 src1_sel:DWORD
	v_cmp_eq_u64_e32 vcc, 0, v[50:51]
	v_cndmask_b32_e32 v36, v6, v36, vcc
; %bb.1908:                             ;   in Loop: Header=BB6_1188 Depth=4
	s_or_b64 exec, exec, s[28:29]
	v_lshrrev_b32_e32 v12, 24, v23
	v_lshrrev_b32_e32 v6, 24, v19
	v_cmp_lt_u64_e64 s[28:29], s[42:43], v[22:23]
	s_and_b64 vcc, exec, s[66:67]
	s_cbranch_vccz .LBB6_1926
; %bb.1909:                             ;   in Loop: Header=BB6_1188 Depth=4
	v_mov_b32_e32 v13, 0
	v_mov_b32_e32 v7, 0
	s_and_saveexec_b64 s[30:31], s[28:29]
	s_cbranch_execz .LBB6_1917
; %bb.1910:                             ;   in Loop: Header=BB6_1188 Depth=4
	v_cmp_ne_u32_e32 vcc, s97, v12
	v_bfrev_b32_e32 v7, 1
	s_and_saveexec_b64 s[68:69], vcc
	s_cbranch_execz .LBB6_1916
; %bb.1911:                             ;   in Loop: Header=BB6_1188 Depth=4
	v_and_b32_e32 v7, 0x7c000000, v23
	v_bfe_u32 v14, v23, 24, 2
	v_cmp_ne_u32_e32 vcc, s37, v7
                                        ; implicit-def: $vgpr7
	s_and_saveexec_b64 s[70:71], vcc
	s_xor_b64 s[70:71], exec, s[70:71]
	s_cbranch_execz .LBB6_1913
; %bb.1912:                             ;   in Loop: Header=BB6_1188 Depth=4
	v_ffbh_u32_e32 v15, v14
	v_bfe_u32 v7, v23, 26, 5
	v_min_u32_e32 v15, 32, v15
	v_subrev_u32_e32 v37, 29, v15
	v_sub_u32_e32 v15, 30, v15
	v_cmp_eq_u32_e32 vcc, 0, v7
	v_lshlrev_b64 v[38:39], v37, v[12:13]
	v_cndmask_b32_e32 v7, v7, v15, vcc
	v_bfrev_b32_e32 v15, 28
	v_and_b32_e32 v37, 3, v38
	v_lshl_add_u32 v7, v7, 23, v15
	v_cndmask_b32_e32 v14, v14, v37, vcc
	v_and_or_b32 v7, v23, s96, v7
	v_lshl_or_b32 v7, v14, 21, v7
                                        ; implicit-def: $vgpr14
.LBB6_1913:                             ;   in Loop: Header=BB6_1188 Depth=4
	s_andn2_saveexec_b64 s[70:71], s[70:71]
; %bb.1914:                             ;   in Loop: Header=BB6_1188 Depth=4
	v_cmp_lt_i64_e32 vcc, -1, v[22:23]
	v_mov_b32_e32 v7, 0xc7600000
	v_mov_b32_e32 v15, 0x47600000
	v_cndmask_b32_e32 v7, v7, v15, vcc
	v_cmp_eq_u32_e32 vcc, 0, v14
	v_mov_b32_e32 v14, 0x7f800001
	v_cndmask_b32_e32 v7, v14, v7, vcc
; %bb.1915:                             ;   in Loop: Header=BB6_1188 Depth=4
	s_or_b64 exec, exec, s[70:71]
.LBB6_1916:                             ;   in Loop: Header=BB6_1188 Depth=4
	s_or_b64 exec, exec, s[68:69]
.LBB6_1917:                             ;   in Loop: Header=BB6_1188 Depth=4
	s_or_b64 exec, exec, s[30:31]
	v_cmp_lt_u64_e32 vcc, s[42:43], v[18:19]
	s_and_saveexec_b64 s[30:31], vcc
	s_cbranch_execz .LBB6_1925
; %bb.1918:                             ;   in Loop: Header=BB6_1188 Depth=4
	v_cmp_ne_u32_e32 vcc, s97, v6
	v_bfrev_b32_e32 v13, 1
	s_and_saveexec_b64 s[68:69], vcc
	s_cbranch_execz .LBB6_1924
; %bb.1919:                             ;   in Loop: Header=BB6_1188 Depth=4
	v_and_b32_e32 v13, 0x7c000000, v19
	v_bfe_u32 v14, v19, 24, 2
	v_cmp_ne_u32_e32 vcc, s37, v13
                                        ; implicit-def: $vgpr13
	s_and_saveexec_b64 s[70:71], vcc
	s_xor_b64 s[70:71], exec, s[70:71]
	s_cbranch_execz .LBB6_1921
; %bb.1920:                             ;   in Loop: Header=BB6_1188 Depth=4
	v_ffbh_u32_e32 v15, v14
	v_bfe_u32 v13, v19, 26, 5
	v_min_u32_e32 v15, 32, v15
	v_subrev_u32_e32 v37, 29, v15
	v_sub_u32_e32 v15, 30, v15
	v_cmp_eq_u32_e32 vcc, 0, v13
	v_lshlrev_b64 v[38:39], v37, v[6:7]
	v_cndmask_b32_e32 v13, v13, v15, vcc
	v_bfrev_b32_e32 v15, 28
	v_and_b32_e32 v37, 3, v38
	v_lshl_add_u32 v13, v13, 23, v15
	v_cndmask_b32_e32 v14, v14, v37, vcc
	v_and_or_b32 v13, v19, s96, v13
	v_lshl_or_b32 v13, v14, 21, v13
                                        ; implicit-def: $vgpr14
.LBB6_1921:                             ;   in Loop: Header=BB6_1188 Depth=4
	s_andn2_saveexec_b64 s[70:71], s[70:71]
; %bb.1922:                             ;   in Loop: Header=BB6_1188 Depth=4
	v_cmp_lt_i64_e32 vcc, -1, v[18:19]
	v_mov_b32_e32 v13, 0xc7600000
	v_mov_b32_e32 v15, 0x47600000
	v_cndmask_b32_e32 v13, v13, v15, vcc
	v_cmp_eq_u32_e32 vcc, 0, v14
	v_mov_b32_e32 v14, 0x7f800001
	v_cndmask_b32_e32 v13, v14, v13, vcc
; %bb.1923:                             ;   in Loop: Header=BB6_1188 Depth=4
	s_or_b64 exec, exec, s[70:71]
.LBB6_1924:                             ;   in Loop: Header=BB6_1188 Depth=4
	s_or_b64 exec, exec, s[68:69]
.LBB6_1925:                             ;   in Loop: Header=BB6_1188 Depth=4
	s_or_b64 exec, exec, s[30:31]
	v_max_f32_e32 v13, v13, v13
	v_max_f32_e32 v7, v7, v7
	;; [unrolled: 1-line block ×3, first 2 shown]
	s_branch .LBB6_1944
.LBB6_1926:                             ;   in Loop: Header=BB6_1188 Depth=4
                                        ; implicit-def: $vgpr7
	s_cbranch_execz .LBB6_1944
; %bb.1927:                             ;   in Loop: Header=BB6_1188 Depth=4
	v_mov_b32_e32 v13, 0
	v_mov_b32_e32 v7, 0
	s_and_saveexec_b64 s[30:31], s[28:29]
	s_cbranch_execz .LBB6_1935
; %bb.1928:                             ;   in Loop: Header=BB6_1188 Depth=4
	v_cmp_ne_u32_e32 vcc, s97, v12
	v_bfrev_b32_e32 v7, 1
	s_and_saveexec_b64 s[28:29], vcc
	s_cbranch_execz .LBB6_1934
; %bb.1929:                             ;   in Loop: Header=BB6_1188 Depth=4
	v_and_b32_e32 v7, 0x7c000000, v23
	v_bfe_u32 v14, v23, 24, 2
	v_cmp_ne_u32_e32 vcc, s37, v7
                                        ; implicit-def: $vgpr7
	s_and_saveexec_b64 s[68:69], vcc
	s_xor_b64 s[68:69], exec, s[68:69]
	s_cbranch_execz .LBB6_1931
; %bb.1930:                             ;   in Loop: Header=BB6_1188 Depth=4
	v_ffbh_u32_e32 v15, v14
	v_min_u32_e32 v15, 32, v15
	v_subrev_u32_e32 v22, 29, v15
	v_bfe_u32 v7, v23, 26, 5
	v_lshlrev_b64 v[38:39], v22, v[12:13]
	v_sub_u32_e32 v12, 30, v15
	v_and_b32_e32 v15, 3, v38
	v_cmp_eq_u32_e32 vcc, 0, v7
	v_cndmask_b32_e32 v7, v7, v12, vcc
	v_cndmask_b32_e32 v12, v14, v15, vcc
	v_bfrev_b32_e32 v14, 28
	v_lshl_add_u32 v7, v7, 23, v14
	v_and_or_b32 v7, v23, s96, v7
	v_lshl_or_b32 v7, v12, 21, v7
                                        ; implicit-def: $vgpr14
                                        ; implicit-def: $vgpr22_vgpr23
.LBB6_1931:                             ;   in Loop: Header=BB6_1188 Depth=4
	s_andn2_saveexec_b64 s[68:69], s[68:69]
; %bb.1932:                             ;   in Loop: Header=BB6_1188 Depth=4
	v_cmp_lt_i64_e32 vcc, -1, v[22:23]
	v_mov_b32_e32 v7, 0xc7600000
	v_mov_b32_e32 v12, 0x47600000
	v_cndmask_b32_e32 v7, v7, v12, vcc
	v_cmp_eq_u32_e32 vcc, 0, v14
	v_mov_b32_e32 v12, 0x7f800001
	v_cndmask_b32_e32 v7, v12, v7, vcc
; %bb.1933:                             ;   in Loop: Header=BB6_1188 Depth=4
	s_or_b64 exec, exec, s[68:69]
.LBB6_1934:                             ;   in Loop: Header=BB6_1188 Depth=4
	s_or_b64 exec, exec, s[28:29]
.LBB6_1935:                             ;   in Loop: Header=BB6_1188 Depth=4
	s_or_b64 exec, exec, s[30:31]
	v_cmp_lt_u64_e32 vcc, s[42:43], v[18:19]
	s_and_saveexec_b64 s[28:29], vcc
	s_cbranch_execz .LBB6_1943
; %bb.1936:                             ;   in Loop: Header=BB6_1188 Depth=4
	v_cmp_ne_u32_e32 vcc, s97, v6
	v_bfrev_b32_e32 v13, 1
	s_and_saveexec_b64 s[30:31], vcc
	s_cbranch_execz .LBB6_1942
; %bb.1937:                             ;   in Loop: Header=BB6_1188 Depth=4
	v_and_b32_e32 v13, 0x7c000000, v19
	v_bfe_u32 v12, v19, 24, 2
	v_cmp_ne_u32_e32 vcc, s37, v13
                                        ; implicit-def: $vgpr13
	s_and_saveexec_b64 s[68:69], vcc
	s_xor_b64 s[68:69], exec, s[68:69]
	s_cbranch_execz .LBB6_1939
; %bb.1938:                             ;   in Loop: Header=BB6_1188 Depth=4
	v_ffbh_u32_e32 v14, v12
	v_min_u32_e32 v18, 32, v14
	v_bfe_u32 v13, v19, 26, 5
	v_subrev_u32_e32 v14, 29, v18
	v_lshlrev_b64 v[14:15], v14, v[6:7]
	v_sub_u32_e32 v6, 30, v18
	v_cmp_eq_u32_e32 vcc, 0, v13
	v_cndmask_b32_e32 v6, v13, v6, vcc
	v_bfrev_b32_e32 v13, 28
	v_and_b32_e32 v14, 3, v14
	v_lshl_add_u32 v6, v6, 23, v13
	v_cndmask_b32_e32 v12, v12, v14, vcc
	v_and_or_b32 v6, v19, s96, v6
	v_lshl_or_b32 v13, v12, 21, v6
                                        ; implicit-def: $vgpr12
                                        ; implicit-def: $vgpr18_vgpr19
.LBB6_1939:                             ;   in Loop: Header=BB6_1188 Depth=4
	s_andn2_saveexec_b64 s[68:69], s[68:69]
; %bb.1940:                             ;   in Loop: Header=BB6_1188 Depth=4
	v_cmp_lt_i64_e32 vcc, -1, v[18:19]
	v_mov_b32_e32 v6, 0xc7600000
	v_mov_b32_e32 v13, 0x47600000
	v_cndmask_b32_e32 v6, v6, v13, vcc
	v_cmp_eq_u32_e32 vcc, 0, v12
	v_mov_b32_e32 v12, 0x7f800001
	v_cndmask_b32_e32 v13, v12, v6, vcc
; %bb.1941:                             ;   in Loop: Header=BB6_1188 Depth=4
	s_or_b64 exec, exec, s[68:69]
.LBB6_1942:                             ;   in Loop: Header=BB6_1188 Depth=4
	s_or_b64 exec, exec, s[30:31]
.LBB6_1943:                             ;   in Loop: Header=BB6_1188 Depth=4
	s_or_b64 exec, exec, s[28:29]
	v_max_f32_e32 v6, v13, v13
	v_max_f32_e32 v7, v7, v7
	v_min_f32_e32 v7, v7, v6
.LBB6_1944:                             ;   in Loop: Header=BB6_1188 Depth=4
	v_and_b32_sdwa v12, v7, s97 dst_sel:DWORD dst_unused:UNUSED_PAD src0_sel:BYTE_3 src1_sel:DWORD
	v_and_b32_e32 v14, 0x7f800000, v7
	v_mov_b32_e32 v15, v51
	v_and_b32_e32 v50, 0x7fffff, v7
	v_or_b32_e32 v18, 0x7b, v12
	v_cmp_ne_u64_e32 vcc, s[52:53], v[14:15]
	s_and_saveexec_b64 s[28:29], vcc
	s_xor_b64 s[30:31], exec, s[28:29]
	s_cbranch_execz .LBB6_1954
; %bb.1945:                             ;   in Loop: Header=BB6_1188 Depth=4
	v_and_b32_e32 v14, 0x7fffffff, v7
	v_mov_b32_e32 v15, v51
	v_cmp_gt_u64_e32 vcc, s[54:55], v[14:15]
	s_and_saveexec_b64 s[68:69], vcc
	s_cbranch_execz .LBB6_1953
; %bb.1946:                             ;   in Loop: Header=BB6_1188 Depth=4
	v_cmp_ne_u32_e32 vcc, 0, v7
	v_mov_b32_e32 v18, 0
	s_and_saveexec_b64 s[70:71], vcc
	s_cbranch_execz .LBB6_1952
; %bb.1947:                             ;   in Loop: Header=BB6_1188 Depth=4
	v_bfe_u32 v6, v7, 23, 8
	v_cmp_eq_u32_e32 vcc, 0, v6
	v_add_u32_e32 v7, 0xffffff81, v6
	v_cmp_gt_u32_e64 s[28:29], s38, v6
	v_sub_u32_e32 v6, 0x71, v6
	v_mov_b32_e32 v14, 0xffffff82
	v_cndmask_b32_e64 v6, 0, v6, s[28:29]
	v_cndmask_b32_e32 v18, v7, v14, vcc
	v_mov_b32_e32 v7, 0x70
	v_cndmask_b32_e32 v19, v6, v7, vcc
	v_add_u32_e32 v6, 21, v19
	v_or_b32_e32 v13, 0x800000, v50
	v_lshlrev_b64 v[6:7], v6, -1
	v_cndmask_b32_e32 v50, v13, v50, vcc
	v_not_b32_e32 v7, v7
	v_not_b32_e32 v6, v6
	v_add_u32_e32 v13, 20, v19
	v_and_b32_e32 v7, 0, v7
	v_and_b32_e32 v6, v50, v6
	v_lshlrev_b64 v[14:15], v13, 1
	v_cmp_eq_u64_e32 vcc, v[6:7], v[14:15]
	v_lshrrev_b64 v[6:7], v19, v[50:51]
	v_lshrrev_b32_e32 v13, 23, v6
	v_add3_u32 v15, v19, v18, v13
	v_bfe_u32 v13, v6, 21, 1
	v_add_u32_e32 v13, -1, v13
	v_cndmask_b32_e32 v13, 0, v13, vcc
	v_add_u32_e32 v13, v13, v6
	v_and_b32_e32 v13, 0x1fffff, v13
	v_add_co_u32_e32 v6, vcc, v13, v6
	v_add_u32_e32 v14, 14, v15
	v_addc_co_u32_e32 v7, vcc, 0, v7, vcc
	v_cmp_ne_u32_e32 vcc, 0, v14
                                        ; implicit-def: $vgpr13
	s_and_saveexec_b64 s[28:29], vcc
	s_xor_b64 s[28:29], exec, s[28:29]
; %bb.1948:                             ;   in Loop: Header=BB6_1188 Depth=4
	v_add_u32_e32 v13, 15, v15
	v_cmp_lt_u64_e32 vcc, s[56:57], v[6:7]
	v_cndmask_b32_e32 v13, v14, v13, vcc
	v_cndmask_b32_e64 v14, 0, 1, vcc
	v_lshrrev_b64 v[6:7], v14, v[6:7]
; %bb.1949:                             ;   in Loop: Header=BB6_1188 Depth=4
	s_andn2_saveexec_b64 s[28:29], s[28:29]
; %bb.1950:                             ;   in Loop: Header=BB6_1188 Depth=4
	v_bfe_u32 v13, v6, 23, 1
; %bb.1951:                             ;   in Loop: Header=BB6_1188 Depth=4
	s_or_b64 exec, exec, s[28:29]
	v_lshrrev_b64 v[6:7], 21, v[6:7]
	v_cmp_gt_i32_e32 vcc, 32, v13
	v_cndmask_b32_e32 v7, 0, v7, vcc
	v_cndmask_b32_e32 v6, 3, v6, vcc
	v_cmp_eq_u64_e64 s[28:29], 0, v[6:7]
	v_min_i32_e32 v7, 31, v13
	v_lshlrev_b32_e32 v7, 2, v7
	v_cmp_eq_u32_e32 vcc, 0, v13
	v_and_b32_e32 v7, 0xfc, v7
	v_and_or_b32 v6, v6, 3, v7
	s_and_b64 s[28:29], vcc, s[28:29]
	v_cndmask_b32_e64 v6, v6, 0, s[28:29]
	v_or_b32_e32 v18, v6, v12
.LBB6_1952:                             ;   in Loop: Header=BB6_1188 Depth=4
	s_or_b64 exec, exec, s[70:71]
.LBB6_1953:                             ;   in Loop: Header=BB6_1188 Depth=4
	s_or_b64 exec, exec, s[68:69]
                                        ; implicit-def: $vgpr7
.LBB6_1954:                             ;   in Loop: Header=BB6_1188 Depth=4
	s_andn2_saveexec_b64 s[28:29], s[30:31]
; %bb.1955:                             ;   in Loop: Header=BB6_1188 Depth=4
	v_or_b32_sdwa v6, v7, s39 dst_sel:DWORD dst_unused:UNUSED_PAD src0_sel:BYTE_3 src1_sel:DWORD
	v_cmp_eq_u64_e32 vcc, 0, v[50:51]
	v_cndmask_b32_e32 v18, v6, v18, vcc
; %bb.1956:                             ;   in Loop: Header=BB6_1188 Depth=4
	s_or_b64 exec, exec, s[28:29]
	v_cndmask_b32_e64 v6, 0, 1, s[66:67]
	v_cmp_ne_u32_e64 s[28:29], 1, v6
	s_andn2_b64 vcc, exec, s[66:67]
	v_cmp_ne_u16_sdwa s[30:31], v0, v51 src0_sel:BYTE_0 src1_sel:DWORD
	s_cbranch_vccnz .LBB6_1974
; %bb.1957:                             ;   in Loop: Header=BB6_1188 Depth=4
	v_mov_b32_e32 v7, 0
	v_mov_b32_e32 v6, 0
	s_and_saveexec_b64 s[68:69], s[30:31]
	s_cbranch_execz .LBB6_1965
; %bb.1958:                             ;   in Loop: Header=BB6_1188 Depth=4
	v_cmp_ne_u16_sdwa vcc, sext(v0), s94 src0_sel:BYTE_0 src1_sel:DWORD
	v_bfrev_b32_e32 v6, 1
	s_and_saveexec_b64 s[70:71], vcc
	s_cbranch_execz .LBB6_1964
; %bb.1959:                             ;   in Loop: Header=BB6_1188 Depth=4
	v_and_b32_e32 v6, 0x7c, v0
	v_and_b32_e32 v12, 3, v0
	v_cmp_ne_u32_e32 vcc, s95, v6
                                        ; implicit-def: $vgpr6
	s_and_saveexec_b64 s[72:73], vcc
	s_xor_b64 s[72:73], exec, s[72:73]
	s_cbranch_execz .LBB6_1961
; %bb.1960:                             ;   in Loop: Header=BB6_1188 Depth=4
	v_ffbh_u32_e32 v13, v12
	v_min_u32_e32 v13, 32, v13
	v_subrev_u32_e32 v14, 29, v13
	v_bfe_u32 v6, v0, 2, 5
	v_lshlrev_b64 v[14:15], v14, v[0:1]
	v_sub_u32_e32 v13, 30, v13
	v_and_b32_e32 v14, 3, v14
	v_cmp_eq_u32_e32 vcc, 0, v6
	v_cndmask_b32_e32 v6, v6, v13, vcc
	v_cndmask_b32_e32 v12, v12, v14, vcc
	v_bfrev_b32_e32 v14, 28
	v_lshlrev_b32_e32 v13, 24, v0
	v_lshl_add_u32 v6, v6, 23, v14
	v_and_or_b32 v6, v13, s96, v6
	v_lshl_or_b32 v6, v12, 21, v6
                                        ; implicit-def: $vgpr12
.LBB6_1961:                             ;   in Loop: Header=BB6_1188 Depth=4
	s_andn2_saveexec_b64 s[72:73], s[72:73]
; %bb.1962:                             ;   in Loop: Header=BB6_1188 Depth=4
	v_mov_b32_e32 v6, -1
	v_cmp_gt_i16_sdwa vcc, sext(v0), v6 src0_sel:BYTE_0 src1_sel:DWORD
	v_mov_b32_e32 v6, 0xc7600000
	v_mov_b32_e32 v13, 0x47600000
	v_cndmask_b32_e32 v6, v6, v13, vcc
	v_cmp_eq_u32_e32 vcc, 0, v12
	v_mov_b32_e32 v12, 0x7f800001
	v_cndmask_b32_e32 v6, v12, v6, vcc
; %bb.1963:                             ;   in Loop: Header=BB6_1188 Depth=4
	s_or_b64 exec, exec, s[72:73]
.LBB6_1964:                             ;   in Loop: Header=BB6_1188 Depth=4
	s_or_b64 exec, exec, s[70:71]
.LBB6_1965:                             ;   in Loop: Header=BB6_1188 Depth=4
	s_or_b64 exec, exec, s[68:69]
	v_cmp_ne_u16_sdwa vcc, sext(v8), v51 src0_sel:BYTE_0 src1_sel:DWORD
	s_and_saveexec_b64 s[68:69], vcc
	s_cbranch_execz .LBB6_1973
; %bb.1966:                             ;   in Loop: Header=BB6_1188 Depth=4
	v_cmp_ne_u16_sdwa vcc, sext(v8), s94 src0_sel:BYTE_0 src1_sel:DWORD
	v_bfrev_b32_e32 v7, 1
	s_and_saveexec_b64 s[70:71], vcc
	s_cbranch_execz .LBB6_1972
; %bb.1967:                             ;   in Loop: Header=BB6_1188 Depth=4
	v_and_b32_e32 v7, 0x7c, v8
	v_and_b32_e32 v12, 3, v8
	v_cmp_ne_u32_e32 vcc, s95, v7
                                        ; implicit-def: $vgpr7
	s_and_saveexec_b64 s[72:73], vcc
	s_xor_b64 s[72:73], exec, s[72:73]
	s_cbranch_execz .LBB6_1969
; %bb.1968:                             ;   in Loop: Header=BB6_1188 Depth=4
	v_ffbh_u32_e32 v13, v12
	v_min_u32_e32 v13, 32, v13
	v_subrev_u32_e32 v14, 29, v13
	v_bfe_u32 v7, v8, 2, 5
	v_lshlrev_b64 v[14:15], v14, v[8:9]
	v_sub_u32_e32 v13, 30, v13
	v_and_b32_e32 v14, 3, v14
	v_cmp_eq_u32_e32 vcc, 0, v7
	v_cndmask_b32_e32 v7, v7, v13, vcc
	v_cndmask_b32_e32 v12, v12, v14, vcc
	v_bfrev_b32_e32 v14, 28
	v_lshlrev_b32_e32 v13, 24, v8
	v_lshl_add_u32 v7, v7, 23, v14
	v_and_or_b32 v7, v13, s96, v7
	v_lshl_or_b32 v7, v12, 21, v7
                                        ; implicit-def: $vgpr12
.LBB6_1969:                             ;   in Loop: Header=BB6_1188 Depth=4
	s_andn2_saveexec_b64 s[72:73], s[72:73]
; %bb.1970:                             ;   in Loop: Header=BB6_1188 Depth=4
	v_mov_b32_e32 v7, -1
	v_cmp_gt_i16_sdwa vcc, sext(v8), v7 src0_sel:BYTE_0 src1_sel:DWORD
	v_mov_b32_e32 v7, 0xc7600000
	v_mov_b32_e32 v13, 0x47600000
	v_cndmask_b32_e32 v7, v7, v13, vcc
	v_cmp_eq_u32_e32 vcc, 0, v12
	v_mov_b32_e32 v12, 0x7f800001
	v_cndmask_b32_e32 v7, v12, v7, vcc
; %bb.1971:                             ;   in Loop: Header=BB6_1188 Depth=4
	s_or_b64 exec, exec, s[72:73]
.LBB6_1972:                             ;   in Loop: Header=BB6_1188 Depth=4
	s_or_b64 exec, exec, s[70:71]
.LBB6_1973:                             ;   in Loop: Header=BB6_1188 Depth=4
	s_or_b64 exec, exec, s[68:69]
	v_max_f32_e32 v7, v7, v7
	v_max_f32_e32 v6, v6, v6
	;; [unrolled: 1-line block ×3, first 2 shown]
	s_branch .LBB6_1992
.LBB6_1974:                             ;   in Loop: Header=BB6_1188 Depth=4
                                        ; implicit-def: $vgpr6
	s_cbranch_execz .LBB6_1992
; %bb.1975:                             ;   in Loop: Header=BB6_1188 Depth=4
	v_mov_b32_e32 v7, 0
	v_mov_b32_e32 v6, 0
	s_and_saveexec_b64 s[68:69], s[30:31]
	s_cbranch_execz .LBB6_1983
; %bb.1976:                             ;   in Loop: Header=BB6_1188 Depth=4
	v_cmp_ne_u16_sdwa vcc, sext(v0), s94 src0_sel:BYTE_0 src1_sel:DWORD
	v_bfrev_b32_e32 v6, 1
	s_and_saveexec_b64 s[30:31], vcc
	s_cbranch_execz .LBB6_1982
; %bb.1977:                             ;   in Loop: Header=BB6_1188 Depth=4
	v_and_b32_e32 v6, 0x7c, v0
	v_and_b32_e32 v12, 3, v0
	v_cmp_ne_u32_e32 vcc, s95, v6
                                        ; implicit-def: $vgpr6
	s_and_saveexec_b64 s[70:71], vcc
	s_xor_b64 s[70:71], exec, s[70:71]
	s_cbranch_execz .LBB6_1979
; %bb.1978:                             ;   in Loop: Header=BB6_1188 Depth=4
	v_ffbh_u32_e32 v13, v12
	v_min_u32_e32 v13, 32, v13
	v_subrev_u32_e32 v14, 29, v13
	v_bfe_u32 v6, v0, 2, 5
	v_lshlrev_b64 v[14:15], v14, v[0:1]
	v_sub_u32_e32 v13, 30, v13
	v_and_b32_e32 v14, 3, v14
	v_cmp_eq_u32_e32 vcc, 0, v6
	v_cndmask_b32_e32 v6, v6, v13, vcc
	v_cndmask_b32_e32 v12, v12, v14, vcc
	v_bfrev_b32_e32 v14, 28
	v_lshlrev_b32_e32 v13, 24, v0
	v_lshl_add_u32 v6, v6, 23, v14
	v_and_or_b32 v6, v13, s96, v6
	v_lshl_or_b32 v6, v12, 21, v6
                                        ; implicit-def: $vgpr12
.LBB6_1979:                             ;   in Loop: Header=BB6_1188 Depth=4
	s_andn2_saveexec_b64 s[70:71], s[70:71]
; %bb.1980:                             ;   in Loop: Header=BB6_1188 Depth=4
	v_mov_b32_e32 v6, -1
	v_cmp_gt_i16_sdwa vcc, sext(v0), v6 src0_sel:BYTE_0 src1_sel:DWORD
	v_mov_b32_e32 v6, 0xc7600000
	v_mov_b32_e32 v13, 0x47600000
	v_cndmask_b32_e32 v6, v6, v13, vcc
	v_cmp_eq_u32_e32 vcc, 0, v12
	v_mov_b32_e32 v12, 0x7f800001
	v_cndmask_b32_e32 v6, v12, v6, vcc
; %bb.1981:                             ;   in Loop: Header=BB6_1188 Depth=4
	s_or_b64 exec, exec, s[70:71]
.LBB6_1982:                             ;   in Loop: Header=BB6_1188 Depth=4
	s_or_b64 exec, exec, s[30:31]
.LBB6_1983:                             ;   in Loop: Header=BB6_1188 Depth=4
	s_or_b64 exec, exec, s[68:69]
	v_cmp_ne_u16_sdwa vcc, sext(v8), v51 src0_sel:BYTE_0 src1_sel:DWORD
	s_and_saveexec_b64 s[30:31], vcc
	s_cbranch_execz .LBB6_1991
; %bb.1984:                             ;   in Loop: Header=BB6_1188 Depth=4
	v_cmp_ne_u16_sdwa vcc, sext(v8), s94 src0_sel:BYTE_0 src1_sel:DWORD
	v_bfrev_b32_e32 v7, 1
	s_and_saveexec_b64 s[68:69], vcc
	s_cbranch_execz .LBB6_1990
; %bb.1985:                             ;   in Loop: Header=BB6_1188 Depth=4
	v_and_b32_e32 v7, 0x7c, v8
	v_and_b32_e32 v12, 3, v8
	v_cmp_ne_u32_e32 vcc, s95, v7
                                        ; implicit-def: $vgpr7
	s_and_saveexec_b64 s[70:71], vcc
	s_xor_b64 s[70:71], exec, s[70:71]
	s_cbranch_execz .LBB6_1987
; %bb.1986:                             ;   in Loop: Header=BB6_1188 Depth=4
	v_ffbh_u32_e32 v13, v12
	v_min_u32_e32 v13, 32, v13
	v_subrev_u32_e32 v14, 29, v13
	v_bfe_u32 v7, v8, 2, 5
	v_lshlrev_b64 v[14:15], v14, v[8:9]
	v_sub_u32_e32 v13, 30, v13
	v_and_b32_e32 v14, 3, v14
	v_cmp_eq_u32_e32 vcc, 0, v7
	v_cndmask_b32_e32 v7, v7, v13, vcc
	v_cndmask_b32_e32 v12, v12, v14, vcc
	v_bfrev_b32_e32 v14, 28
	v_lshlrev_b32_e32 v13, 24, v8
	v_lshl_add_u32 v7, v7, 23, v14
	v_and_or_b32 v7, v13, s96, v7
	v_lshl_or_b32 v7, v12, 21, v7
                                        ; implicit-def: $vgpr12
.LBB6_1987:                             ;   in Loop: Header=BB6_1188 Depth=4
	s_andn2_saveexec_b64 s[70:71], s[70:71]
; %bb.1988:                             ;   in Loop: Header=BB6_1188 Depth=4
	v_mov_b32_e32 v7, -1
	v_cmp_gt_i16_sdwa vcc, sext(v8), v7 src0_sel:BYTE_0 src1_sel:DWORD
	v_mov_b32_e32 v7, 0xc7600000
	v_mov_b32_e32 v13, 0x47600000
	v_cndmask_b32_e32 v7, v7, v13, vcc
	v_cmp_eq_u32_e32 vcc, 0, v12
	v_mov_b32_e32 v12, 0x7f800001
	v_cndmask_b32_e32 v7, v12, v7, vcc
; %bb.1989:                             ;   in Loop: Header=BB6_1188 Depth=4
	s_or_b64 exec, exec, s[70:71]
.LBB6_1990:                             ;   in Loop: Header=BB6_1188 Depth=4
	s_or_b64 exec, exec, s[68:69]
.LBB6_1991:                             ;   in Loop: Header=BB6_1188 Depth=4
	s_or_b64 exec, exec, s[30:31]
	v_max_f32_e32 v7, v7, v7
	v_max_f32_e32 v6, v6, v6
	v_min_f32_e32 v6, v6, v7
.LBB6_1992:                             ;   in Loop: Header=BB6_1188 Depth=4
	v_and_b32_sdwa v12, v6, s97 dst_sel:DWORD dst_unused:UNUSED_PAD src0_sel:BYTE_3 src1_sel:DWORD
	v_and_b32_e32 v14, 0x7f800000, v6
	v_mov_b32_e32 v15, v51
	v_and_b32_e32 v50, 0x7fffff, v6
	v_or_b32_e32 v19, 0x7b, v12
	v_cmp_ne_u64_e32 vcc, s[52:53], v[14:15]
	s_and_saveexec_b64 s[30:31], vcc
	s_xor_b64 s[68:69], exec, s[30:31]
	s_cbranch_execz .LBB6_2002
; %bb.1993:                             ;   in Loop: Header=BB6_1188 Depth=4
	v_and_b32_e32 v14, 0x7fffffff, v6
	v_mov_b32_e32 v15, v51
	v_cmp_gt_u64_e32 vcc, s[54:55], v[14:15]
	s_and_saveexec_b64 s[70:71], vcc
	s_cbranch_execz .LBB6_2001
; %bb.1994:                             ;   in Loop: Header=BB6_1188 Depth=4
	v_cmp_ne_u32_e32 vcc, 0, v6
	v_mov_b32_e32 v19, 0
	s_and_saveexec_b64 s[72:73], vcc
	s_cbranch_execz .LBB6_2000
; %bb.1995:                             ;   in Loop: Header=BB6_1188 Depth=4
	v_bfe_u32 v6, v6, 23, 8
	v_cmp_eq_u32_e32 vcc, 0, v6
	v_add_u32_e32 v7, 0xffffff81, v6
	v_cmp_gt_u32_e64 s[30:31], s38, v6
	v_sub_u32_e32 v6, 0x71, v6
	v_mov_b32_e32 v14, 0xffffff82
	v_cndmask_b32_e64 v6, 0, v6, s[30:31]
	v_cndmask_b32_e32 v19, v7, v14, vcc
	v_mov_b32_e32 v7, 0x70
	v_cndmask_b32_e32 v22, v6, v7, vcc
	v_add_u32_e32 v6, 21, v22
	v_or_b32_e32 v13, 0x800000, v50
	v_lshlrev_b64 v[6:7], v6, -1
	v_cndmask_b32_e32 v50, v13, v50, vcc
	v_not_b32_e32 v7, v7
	v_not_b32_e32 v6, v6
	v_add_u32_e32 v13, 20, v22
	v_and_b32_e32 v7, 0, v7
	v_and_b32_e32 v6, v50, v6
	v_lshlrev_b64 v[14:15], v13, 1
	v_cmp_eq_u64_e32 vcc, v[6:7], v[14:15]
	v_lshrrev_b64 v[6:7], v22, v[50:51]
	v_lshrrev_b32_e32 v13, 23, v6
	v_add3_u32 v15, v22, v19, v13
	v_bfe_u32 v13, v6, 21, 1
	v_add_u32_e32 v13, -1, v13
	v_cndmask_b32_e32 v13, 0, v13, vcc
	v_add_u32_e32 v13, v13, v6
	v_and_b32_e32 v13, 0x1fffff, v13
	v_add_co_u32_e32 v6, vcc, v13, v6
	v_add_u32_e32 v14, 14, v15
	v_addc_co_u32_e32 v7, vcc, 0, v7, vcc
	v_cmp_ne_u32_e32 vcc, 0, v14
                                        ; implicit-def: $vgpr13
	s_and_saveexec_b64 s[30:31], vcc
	s_xor_b64 s[30:31], exec, s[30:31]
; %bb.1996:                             ;   in Loop: Header=BB6_1188 Depth=4
	v_add_u32_e32 v13, 15, v15
	v_cmp_lt_u64_e32 vcc, s[56:57], v[6:7]
	v_cndmask_b32_e32 v13, v14, v13, vcc
	v_cndmask_b32_e64 v14, 0, 1, vcc
	v_lshrrev_b64 v[6:7], v14, v[6:7]
; %bb.1997:                             ;   in Loop: Header=BB6_1188 Depth=4
	s_andn2_saveexec_b64 vcc, s[30:31]
; %bb.1998:                             ;   in Loop: Header=BB6_1188 Depth=4
	v_bfe_u32 v13, v6, 23, 1
; %bb.1999:                             ;   in Loop: Header=BB6_1188 Depth=4
	s_or_b64 exec, exec, vcc
	v_lshrrev_b64 v[6:7], 21, v[6:7]
	v_cmp_gt_i32_e32 vcc, 32, v13
	v_cndmask_b32_e32 v7, 0, v7, vcc
	v_cndmask_b32_e32 v6, 3, v6, vcc
	v_cmp_eq_u64_e64 s[30:31], 0, v[6:7]
	v_min_i32_e32 v7, 31, v13
	v_cmp_eq_u32_e32 vcc, 0, v13
	v_lshlrev_b32_e32 v7, 2, v7
	v_and_or_b32 v6, v6, 3, v7
	s_and_b64 vcc, vcc, s[30:31]
	v_cndmask_b32_e64 v6, v6, 0, vcc
	v_or_b32_e32 v19, v6, v12
.LBB6_2000:                             ;   in Loop: Header=BB6_1188 Depth=4
	s_or_b64 exec, exec, s[72:73]
.LBB6_2001:                             ;   in Loop: Header=BB6_1188 Depth=4
	s_or_b64 exec, exec, s[70:71]
                                        ; implicit-def: $vgpr6
.LBB6_2002:                             ;   in Loop: Header=BB6_1188 Depth=4
	s_andn2_saveexec_b64 s[30:31], s[68:69]
; %bb.2003:                             ;   in Loop: Header=BB6_1188 Depth=4
	v_or_b32_sdwa v6, v6, s39 dst_sel:DWORD dst_unused:UNUSED_PAD src0_sel:BYTE_3 src1_sel:DWORD
	v_cmp_eq_u64_e32 vcc, 0, v[50:51]
	v_cndmask_b32_e32 v19, v6, v19, vcc
; %bb.2004:                             ;   in Loop: Header=BB6_1188 Depth=4
	s_or_b64 exec, exec, s[30:31]
	v_lshrrev_b16_e32 v50, 8, v0
	v_lshrrev_b16_e32 v6, 8, v8
	s_and_b64 vcc, exec, s[28:29]
	v_cmp_ne_u16_e64 s[30:31], 0, v50
	s_cbranch_vccnz .LBB6_2022
; %bb.2005:                             ;   in Loop: Header=BB6_1188 Depth=4
	v_mov_b32_e32 v7, 0
	v_mov_b32_e32 v12, 0
	s_and_saveexec_b64 s[68:69], s[30:31]
	s_cbranch_execz .LBB6_2013
; %bb.2006:                             ;   in Loop: Header=BB6_1188 Depth=4
	v_cmp_ne_u16_e32 vcc, s97, v50
	v_bfrev_b32_e32 v12, 1
	s_and_saveexec_b64 s[70:71], vcc
	s_cbranch_execz .LBB6_2012
; %bb.2007:                             ;   in Loop: Header=BB6_1188 Depth=4
	v_and_b32_e32 v12, 0x7c, v50
	v_and_b32_e32 v13, 3, v50
	v_cmp_ne_u32_e32 vcc, s95, v12
                                        ; implicit-def: $vgpr12
	s_and_saveexec_b64 s[72:73], vcc
	s_xor_b64 s[72:73], exec, s[72:73]
	s_cbranch_execz .LBB6_2009
; %bb.2008:                             ;   in Loop: Header=BB6_1188 Depth=4
	v_ffbh_u32_e32 v14, v13
	v_min_u32_e32 v22, 32, v14
	v_subrev_u32_e32 v14, 29, v22
	v_bfe_u32 v12, v50, 2, 5
	v_lshlrev_b64 v[14:15], v14, v[50:51]
	v_sub_u32_e32 v15, 30, v22
	v_cmp_eq_u32_e32 vcc, 0, v12
	v_and_b32_e32 v14, 3, v14
	v_cndmask_b32_e32 v12, v12, v15, vcc
	v_bfrev_b32_e32 v15, 28
	v_cndmask_b32_e32 v13, v13, v14, vcc
	v_lshlrev_b32_e32 v14, 16, v0
	v_lshl_add_u32 v12, v12, 23, v15
	v_and_or_b32 v12, v14, s96, v12
	v_lshl_or_b32 v12, v13, 21, v12
                                        ; implicit-def: $vgpr13
.LBB6_2009:                             ;   in Loop: Header=BB6_1188 Depth=4
	s_andn2_saveexec_b64 s[72:73], s[72:73]
; %bb.2010:                             ;   in Loop: Header=BB6_1188 Depth=4
	v_cmp_lt_i16_e32 vcc, -1, v0
	v_mov_b32_e32 v12, 0xc7600000
	v_mov_b32_e32 v14, 0x47600000
	v_cndmask_b32_e32 v12, v12, v14, vcc
	v_cmp_eq_u32_e32 vcc, 0, v13
	v_mov_b32_e32 v13, 0x7f800001
	v_cndmask_b32_e32 v12, v13, v12, vcc
; %bb.2011:                             ;   in Loop: Header=BB6_1188 Depth=4
	s_or_b64 exec, exec, s[72:73]
.LBB6_2012:                             ;   in Loop: Header=BB6_1188 Depth=4
	s_or_b64 exec, exec, s[70:71]
.LBB6_2013:                             ;   in Loop: Header=BB6_1188 Depth=4
	s_or_b64 exec, exec, s[68:69]
	v_cmp_ne_u16_e32 vcc, 0, v6
	s_and_saveexec_b64 s[68:69], vcc
	s_cbranch_execz .LBB6_2021
; %bb.2014:                             ;   in Loop: Header=BB6_1188 Depth=4
	v_cmp_ne_u16_e32 vcc, s97, v6
	v_bfrev_b32_e32 v7, 1
	s_and_saveexec_b64 s[70:71], vcc
	s_cbranch_execz .LBB6_2020
; %bb.2015:                             ;   in Loop: Header=BB6_1188 Depth=4
	v_and_b32_e32 v7, 0x7c, v6
	v_and_b32_e32 v13, 3, v6
	v_cmp_ne_u32_e32 vcc, s95, v7
                                        ; implicit-def: $vgpr7
	s_and_saveexec_b64 s[72:73], vcc
	s_xor_b64 s[72:73], exec, s[72:73]
	s_cbranch_execz .LBB6_2017
; %bb.2016:                             ;   in Loop: Header=BB6_1188 Depth=4
	v_ffbh_u32_e32 v14, v13
	v_min_u32_e32 v23, 32, v14
	v_mov_b32_e32 v7, v51
	v_bfe_u32 v22, v6, 2, 5
	v_subrev_u32_e32 v14, 29, v23
	v_lshlrev_b64 v[14:15], v14, v[6:7]
	v_sub_u32_e32 v7, 30, v23
	v_cmp_eq_u32_e32 vcc, 0, v22
	v_and_b32_e32 v14, 3, v14
	v_cndmask_b32_e32 v7, v22, v7, vcc
	v_bfrev_b32_e32 v15, 28
	v_cndmask_b32_e32 v13, v13, v14, vcc
	v_lshlrev_b32_e32 v14, 16, v8
	v_lshl_add_u32 v7, v7, 23, v15
	v_and_or_b32 v7, v14, s96, v7
	v_lshl_or_b32 v7, v13, 21, v7
                                        ; implicit-def: $vgpr13
.LBB6_2017:                             ;   in Loop: Header=BB6_1188 Depth=4
	s_andn2_saveexec_b64 s[72:73], s[72:73]
; %bb.2018:                             ;   in Loop: Header=BB6_1188 Depth=4
	v_cmp_lt_i16_e32 vcc, -1, v8
	v_mov_b32_e32 v7, 0xc7600000
	v_mov_b32_e32 v14, 0x47600000
	v_cndmask_b32_e32 v7, v7, v14, vcc
	v_cmp_eq_u32_e32 vcc, 0, v13
	v_mov_b32_e32 v13, 0x7f800001
	v_cndmask_b32_e32 v7, v13, v7, vcc
; %bb.2019:                             ;   in Loop: Header=BB6_1188 Depth=4
	s_or_b64 exec, exec, s[72:73]
.LBB6_2020:                             ;   in Loop: Header=BB6_1188 Depth=4
	s_or_b64 exec, exec, s[70:71]
.LBB6_2021:                             ;   in Loop: Header=BB6_1188 Depth=4
	s_or_b64 exec, exec, s[68:69]
	v_max_f32_e32 v7, v7, v7
	v_max_f32_e32 v12, v12, v12
	;; [unrolled: 1-line block ×3, first 2 shown]
	s_branch .LBB6_2040
.LBB6_2022:                             ;   in Loop: Header=BB6_1188 Depth=4
                                        ; implicit-def: $vgpr7
	s_cbranch_execz .LBB6_2040
; %bb.2023:                             ;   in Loop: Header=BB6_1188 Depth=4
	v_mov_b32_e32 v7, 0
	v_mov_b32_e32 v12, 0
	s_and_saveexec_b64 s[68:69], s[30:31]
	s_cbranch_execz .LBB6_2031
; %bb.2024:                             ;   in Loop: Header=BB6_1188 Depth=4
	v_cmp_ne_u16_e32 vcc, s97, v50
	v_bfrev_b32_e32 v12, 1
	s_and_saveexec_b64 s[30:31], vcc
	s_cbranch_execz .LBB6_2030
; %bb.2025:                             ;   in Loop: Header=BB6_1188 Depth=4
	v_and_b32_e32 v12, 0x7c, v50
	v_and_b32_e32 v13, 3, v50
	v_cmp_ne_u32_e32 vcc, s95, v12
                                        ; implicit-def: $vgpr12
	s_and_saveexec_b64 s[70:71], vcc
	s_xor_b64 s[70:71], exec, s[70:71]
	s_cbranch_execz .LBB6_2027
; %bb.2026:                             ;   in Loop: Header=BB6_1188 Depth=4
	v_ffbh_u32_e32 v14, v13
	v_min_u32_e32 v22, 32, v14
	v_subrev_u32_e32 v14, 29, v22
	v_bfe_u32 v12, v50, 2, 5
	v_lshlrev_b64 v[14:15], v14, v[50:51]
	v_sub_u32_e32 v15, 30, v22
	v_cmp_eq_u32_e32 vcc, 0, v12
	v_and_b32_e32 v14, 3, v14
	v_cndmask_b32_e32 v12, v12, v15, vcc
	v_bfrev_b32_e32 v15, 28
	v_cndmask_b32_e32 v13, v13, v14, vcc
	v_lshlrev_b32_e32 v14, 16, v0
	v_lshl_add_u32 v12, v12, 23, v15
	v_and_or_b32 v12, v14, s96, v12
	v_lshl_or_b32 v12, v13, 21, v12
                                        ; implicit-def: $vgpr13
.LBB6_2027:                             ;   in Loop: Header=BB6_1188 Depth=4
	s_andn2_saveexec_b64 s[70:71], s[70:71]
; %bb.2028:                             ;   in Loop: Header=BB6_1188 Depth=4
	v_cmp_lt_i16_e32 vcc, -1, v0
	v_mov_b32_e32 v12, 0xc7600000
	v_mov_b32_e32 v14, 0x47600000
	v_cndmask_b32_e32 v12, v12, v14, vcc
	v_cmp_eq_u32_e32 vcc, 0, v13
	v_mov_b32_e32 v13, 0x7f800001
	v_cndmask_b32_e32 v12, v13, v12, vcc
; %bb.2029:                             ;   in Loop: Header=BB6_1188 Depth=4
	s_or_b64 exec, exec, s[70:71]
.LBB6_2030:                             ;   in Loop: Header=BB6_1188 Depth=4
	s_or_b64 exec, exec, s[30:31]
.LBB6_2031:                             ;   in Loop: Header=BB6_1188 Depth=4
	s_or_b64 exec, exec, s[68:69]
	v_cmp_ne_u16_e32 vcc, 0, v6
	s_and_saveexec_b64 s[30:31], vcc
	s_cbranch_execz .LBB6_2039
; %bb.2032:                             ;   in Loop: Header=BB6_1188 Depth=4
	v_cmp_ne_u16_e32 vcc, s97, v6
	v_bfrev_b32_e32 v7, 1
	s_and_saveexec_b64 s[68:69], vcc
	s_cbranch_execz .LBB6_2038
; %bb.2033:                             ;   in Loop: Header=BB6_1188 Depth=4
	v_and_b32_e32 v7, 0x7c, v6
	v_and_b32_e32 v13, 3, v6
	v_cmp_ne_u32_e32 vcc, s95, v7
                                        ; implicit-def: $vgpr7
	s_and_saveexec_b64 s[70:71], vcc
	s_xor_b64 s[70:71], exec, s[70:71]
	s_cbranch_execz .LBB6_2035
; %bb.2034:                             ;   in Loop: Header=BB6_1188 Depth=4
	v_ffbh_u32_e32 v15, v13
	v_min_u32_e32 v15, 32, v15
	v_mov_b32_e32 v7, v51
	v_subrev_u32_e32 v22, 29, v15
	v_bfe_u32 v14, v6, 2, 5
	v_lshlrev_b64 v[6:7], v22, v[6:7]
	v_sub_u32_e32 v7, 30, v15
	v_cmp_eq_u32_e32 vcc, 0, v14
	v_and_b32_e32 v6, 3, v6
	v_cndmask_b32_e32 v7, v14, v7, vcc
	v_bfrev_b32_e32 v14, 28
	v_cndmask_b32_e32 v6, v13, v6, vcc
	v_lshlrev_b32_e32 v13, 16, v8
	v_lshl_add_u32 v7, v7, 23, v14
	v_and_or_b32 v7, v13, s96, v7
	v_lshl_or_b32 v7, v6, 21, v7
                                        ; implicit-def: $vgpr13
.LBB6_2035:                             ;   in Loop: Header=BB6_1188 Depth=4
	s_andn2_saveexec_b64 s[70:71], s[70:71]
; %bb.2036:                             ;   in Loop: Header=BB6_1188 Depth=4
	v_cmp_lt_i16_e32 vcc, -1, v8
	v_mov_b32_e32 v6, 0xc7600000
	v_mov_b32_e32 v7, 0x47600000
	v_cndmask_b32_e32 v6, v6, v7, vcc
	v_cmp_eq_u32_e32 vcc, 0, v13
	v_mov_b32_e32 v7, 0x7f800001
	v_cndmask_b32_e32 v7, v7, v6, vcc
; %bb.2037:                             ;   in Loop: Header=BB6_1188 Depth=4
	s_or_b64 exec, exec, s[70:71]
.LBB6_2038:                             ;   in Loop: Header=BB6_1188 Depth=4
	s_or_b64 exec, exec, s[68:69]
.LBB6_2039:                             ;   in Loop: Header=BB6_1188 Depth=4
	s_or_b64 exec, exec, s[30:31]
	v_max_f32_e32 v6, v7, v7
	v_max_f32_e32 v7, v12, v12
	v_min_f32_e32 v7, v7, v6
.LBB6_2040:                             ;   in Loop: Header=BB6_1188 Depth=4
	v_and_b32_sdwa v12, v7, s97 dst_sel:DWORD dst_unused:UNUSED_PAD src0_sel:BYTE_3 src1_sel:DWORD
	v_and_b32_e32 v14, 0x7f800000, v7
	v_mov_b32_e32 v15, v51
	v_and_b32_e32 v50, 0x7fffff, v7
	v_or_b32_e32 v22, 0x7b, v12
	v_cmp_ne_u64_e32 vcc, s[52:53], v[14:15]
	s_and_saveexec_b64 s[30:31], vcc
	s_xor_b64 s[68:69], exec, s[30:31]
	s_cbranch_execz .LBB6_2050
; %bb.2041:                             ;   in Loop: Header=BB6_1188 Depth=4
	v_and_b32_e32 v14, 0x7fffffff, v7
	v_mov_b32_e32 v15, v51
	v_cmp_gt_u64_e32 vcc, s[54:55], v[14:15]
	s_and_saveexec_b64 s[70:71], vcc
	s_cbranch_execz .LBB6_2049
; %bb.2042:                             ;   in Loop: Header=BB6_1188 Depth=4
	v_cmp_ne_u32_e32 vcc, 0, v7
	v_mov_b32_e32 v22, 0
	s_and_saveexec_b64 s[72:73], vcc
	s_cbranch_execz .LBB6_2048
; %bb.2043:                             ;   in Loop: Header=BB6_1188 Depth=4
	v_bfe_u32 v6, v7, 23, 8
	v_cmp_eq_u32_e32 vcc, 0, v6
	v_add_u32_e32 v7, 0xffffff81, v6
	v_cmp_gt_u32_e64 s[30:31], s38, v6
	v_sub_u32_e32 v6, 0x71, v6
	v_mov_b32_e32 v14, 0xffffff82
	v_cndmask_b32_e64 v6, 0, v6, s[30:31]
	v_cndmask_b32_e32 v22, v7, v14, vcc
	v_mov_b32_e32 v7, 0x70
	v_cndmask_b32_e32 v23, v6, v7, vcc
	v_add_u32_e32 v6, 21, v23
	v_or_b32_e32 v13, 0x800000, v50
	v_lshlrev_b64 v[6:7], v6, -1
	v_cndmask_b32_e32 v50, v13, v50, vcc
	v_not_b32_e32 v7, v7
	v_not_b32_e32 v6, v6
	v_add_u32_e32 v13, 20, v23
	v_and_b32_e32 v7, 0, v7
	v_and_b32_e32 v6, v50, v6
	v_lshlrev_b64 v[14:15], v13, 1
	v_cmp_eq_u64_e32 vcc, v[6:7], v[14:15]
	v_lshrrev_b64 v[6:7], v23, v[50:51]
	v_lshrrev_b32_e32 v13, 23, v6
	v_add3_u32 v15, v23, v22, v13
	v_bfe_u32 v13, v6, 21, 1
	v_add_u32_e32 v13, -1, v13
	v_cndmask_b32_e32 v13, 0, v13, vcc
	v_add_u32_e32 v13, v13, v6
	v_and_b32_e32 v13, 0x1fffff, v13
	v_add_co_u32_e32 v6, vcc, v13, v6
	v_add_u32_e32 v14, 14, v15
	v_addc_co_u32_e32 v7, vcc, 0, v7, vcc
	v_cmp_ne_u32_e32 vcc, 0, v14
                                        ; implicit-def: $vgpr13
	s_and_saveexec_b64 s[30:31], vcc
	s_xor_b64 s[30:31], exec, s[30:31]
; %bb.2044:                             ;   in Loop: Header=BB6_1188 Depth=4
	v_add_u32_e32 v13, 15, v15
	v_cmp_lt_u64_e32 vcc, s[56:57], v[6:7]
	v_cndmask_b32_e32 v13, v14, v13, vcc
	v_cndmask_b32_e64 v14, 0, 1, vcc
	v_lshrrev_b64 v[6:7], v14, v[6:7]
; %bb.2045:                             ;   in Loop: Header=BB6_1188 Depth=4
	s_andn2_saveexec_b64 vcc, s[30:31]
; %bb.2046:                             ;   in Loop: Header=BB6_1188 Depth=4
	v_bfe_u32 v13, v6, 23, 1
; %bb.2047:                             ;   in Loop: Header=BB6_1188 Depth=4
	s_or_b64 exec, exec, vcc
	v_lshrrev_b64 v[6:7], 21, v[6:7]
	v_cmp_gt_i32_e32 vcc, 32, v13
	v_cndmask_b32_e32 v7, 0, v7, vcc
	v_cndmask_b32_e32 v6, 3, v6, vcc
	v_cmp_eq_u64_e64 s[30:31], 0, v[6:7]
	v_min_i32_e32 v7, 31, v13
	v_cmp_eq_u32_e32 vcc, 0, v13
	v_lshlrev_b32_e32 v7, 2, v7
	v_and_or_b32 v6, v6, 3, v7
	s_and_b64 vcc, vcc, s[30:31]
	v_cndmask_b32_e64 v6, v6, 0, vcc
	v_or_b32_e32 v22, v6, v12
.LBB6_2048:                             ;   in Loop: Header=BB6_1188 Depth=4
	s_or_b64 exec, exec, s[72:73]
.LBB6_2049:                             ;   in Loop: Header=BB6_1188 Depth=4
	s_or_b64 exec, exec, s[70:71]
                                        ; implicit-def: $vgpr7
.LBB6_2050:                             ;   in Loop: Header=BB6_1188 Depth=4
	s_andn2_saveexec_b64 s[30:31], s[68:69]
; %bb.2051:                             ;   in Loop: Header=BB6_1188 Depth=4
	v_or_b32_sdwa v6, v7, s39 dst_sel:DWORD dst_unused:UNUSED_PAD src0_sel:BYTE_3 src1_sel:DWORD
	v_cmp_eq_u64_e32 vcc, 0, v[50:51]
	v_cndmask_b32_e32 v22, v6, v22, vcc
; %bb.2052:                             ;   in Loop: Header=BB6_1188 Depth=4
	s_or_b64 exec, exec, s[30:31]
	v_lshrrev_b32_e32 v12, 16, v0
	v_lshrrev_b32_e32 v6, 16, v8
	s_and_b64 vcc, exec, s[28:29]
	v_cmp_ne_u16_sdwa s[30:31], v12, v51 src0_sel:BYTE_0 src1_sel:DWORD
	s_cbranch_vccnz .LBB6_2070
; %bb.2053:                             ;   in Loop: Header=BB6_1188 Depth=4
	v_mov_b32_e32 v13, 0
	v_mov_b32_e32 v7, 0
	s_and_saveexec_b64 s[68:69], s[30:31]
	s_cbranch_execz .LBB6_2061
; %bb.2054:                             ;   in Loop: Header=BB6_1188 Depth=4
	v_cmp_ne_u16_sdwa vcc, v12, s97 src0_sel:BYTE_0 src1_sel:DWORD
	v_bfrev_b32_e32 v7, 1
	s_and_saveexec_b64 s[70:71], vcc
	s_cbranch_execz .LBB6_2060
; %bb.2055:                             ;   in Loop: Header=BB6_1188 Depth=4
	v_and_b32_e32 v7, 0x7c0000, v0
	v_bfe_u32 v14, v0, 16, 2
	v_cmp_ne_u32_e32 vcc, s36, v7
                                        ; implicit-def: $vgpr7
	s_and_saveexec_b64 s[72:73], vcc
	s_xor_b64 s[72:73], exec, s[72:73]
	s_cbranch_execz .LBB6_2057
; %bb.2056:                             ;   in Loop: Header=BB6_1188 Depth=4
	v_ffbh_u32_e32 v15, v14
	v_min_u32_e32 v15, 32, v15
	v_subrev_u32_e32 v23, 29, v15
	v_bfe_u32 v7, v0, 18, 5
	v_lshlrev_b64 v[38:39], v23, v[12:13]
	v_sub_u32_e32 v15, 30, v15
	v_and_b32_e32 v23, 3, v38
	v_cmp_eq_u32_e32 vcc, 0, v7
	v_cndmask_b32_e32 v7, v7, v15, vcc
	v_cndmask_b32_e32 v14, v14, v23, vcc
	v_bfrev_b32_e32 v23, 28
	v_lshlrev_b32_e32 v15, 24, v12
	v_lshl_add_u32 v7, v7, 23, v23
	v_and_or_b32 v7, v15, s96, v7
	v_lshl_or_b32 v7, v14, 21, v7
                                        ; implicit-def: $vgpr14
.LBB6_2057:                             ;   in Loop: Header=BB6_1188 Depth=4
	s_andn2_saveexec_b64 s[72:73], s[72:73]
; %bb.2058:                             ;   in Loop: Header=BB6_1188 Depth=4
	v_mov_b32_e32 v7, -1
	v_cmp_gt_i16_sdwa vcc, sext(v12), v7 src0_sel:BYTE_0 src1_sel:DWORD
	v_mov_b32_e32 v7, 0xc7600000
	v_mov_b32_e32 v15, 0x47600000
	v_cndmask_b32_e32 v7, v7, v15, vcc
	v_cmp_eq_u32_e32 vcc, 0, v14
	v_mov_b32_e32 v14, 0x7f800001
	v_cndmask_b32_e32 v7, v14, v7, vcc
; %bb.2059:                             ;   in Loop: Header=BB6_1188 Depth=4
	s_or_b64 exec, exec, s[72:73]
.LBB6_2060:                             ;   in Loop: Header=BB6_1188 Depth=4
	s_or_b64 exec, exec, s[70:71]
.LBB6_2061:                             ;   in Loop: Header=BB6_1188 Depth=4
	s_or_b64 exec, exec, s[68:69]
	v_cmp_ne_u16_sdwa vcc, v6, v51 src0_sel:BYTE_0 src1_sel:DWORD
	s_and_saveexec_b64 s[68:69], vcc
	s_cbranch_execz .LBB6_2069
; %bb.2062:                             ;   in Loop: Header=BB6_1188 Depth=4
	v_cmp_ne_u16_sdwa vcc, v6, s97 src0_sel:BYTE_0 src1_sel:DWORD
	v_bfrev_b32_e32 v13, 1
	s_and_saveexec_b64 s[70:71], vcc
	s_cbranch_execz .LBB6_2068
; %bb.2063:                             ;   in Loop: Header=BB6_1188 Depth=4
	v_and_b32_e32 v13, 0x7c0000, v8
	v_bfe_u32 v14, v8, 16, 2
	v_cmp_ne_u32_e32 vcc, s36, v13
                                        ; implicit-def: $vgpr13
	s_and_saveexec_b64 s[72:73], vcc
	s_xor_b64 s[72:73], exec, s[72:73]
	s_cbranch_execz .LBB6_2065
; %bb.2064:                             ;   in Loop: Header=BB6_1188 Depth=4
	v_ffbh_u32_e32 v15, v14
	v_min_u32_e32 v15, 32, v15
	v_subrev_u32_e32 v23, 29, v15
	v_bfe_u32 v13, v8, 18, 5
	v_lshlrev_b64 v[38:39], v23, v[6:7]
	v_sub_u32_e32 v15, 30, v15
	v_and_b32_e32 v23, 3, v38
	v_cmp_eq_u32_e32 vcc, 0, v13
	v_cndmask_b32_e32 v13, v13, v15, vcc
	v_cndmask_b32_e32 v14, v14, v23, vcc
	v_bfrev_b32_e32 v23, 28
	v_lshlrev_b32_e32 v15, 24, v6
	v_lshl_add_u32 v13, v13, 23, v23
	v_and_or_b32 v13, v15, s96, v13
	v_lshl_or_b32 v13, v14, 21, v13
                                        ; implicit-def: $vgpr14
.LBB6_2065:                             ;   in Loop: Header=BB6_1188 Depth=4
	s_andn2_saveexec_b64 s[72:73], s[72:73]
; %bb.2066:                             ;   in Loop: Header=BB6_1188 Depth=4
	v_mov_b32_e32 v13, -1
	v_cmp_gt_i16_sdwa vcc, sext(v6), v13 src0_sel:BYTE_0 src1_sel:DWORD
	v_mov_b32_e32 v13, 0xc7600000
	v_mov_b32_e32 v15, 0x47600000
	v_cndmask_b32_e32 v13, v13, v15, vcc
	v_cmp_eq_u32_e32 vcc, 0, v14
	v_mov_b32_e32 v14, 0x7f800001
	v_cndmask_b32_e32 v13, v14, v13, vcc
; %bb.2067:                             ;   in Loop: Header=BB6_1188 Depth=4
	s_or_b64 exec, exec, s[72:73]
.LBB6_2068:                             ;   in Loop: Header=BB6_1188 Depth=4
	s_or_b64 exec, exec, s[70:71]
.LBB6_2069:                             ;   in Loop: Header=BB6_1188 Depth=4
	s_or_b64 exec, exec, s[68:69]
	v_max_f32_e32 v13, v13, v13
	v_max_f32_e32 v7, v7, v7
	v_max_f32_e32 v7, v7, v13
	s_branch .LBB6_2088
.LBB6_2070:                             ;   in Loop: Header=BB6_1188 Depth=4
                                        ; implicit-def: $vgpr7
	s_cbranch_execz .LBB6_2088
; %bb.2071:                             ;   in Loop: Header=BB6_1188 Depth=4
	v_mov_b32_e32 v13, 0
	v_mov_b32_e32 v7, 0
	s_and_saveexec_b64 s[68:69], s[30:31]
	s_cbranch_execz .LBB6_2079
; %bb.2072:                             ;   in Loop: Header=BB6_1188 Depth=4
	v_cmp_ne_u16_sdwa vcc, v12, s97 src0_sel:BYTE_0 src1_sel:DWORD
	v_bfrev_b32_e32 v7, 1
	s_and_saveexec_b64 s[30:31], vcc
	s_cbranch_execz .LBB6_2078
; %bb.2073:                             ;   in Loop: Header=BB6_1188 Depth=4
	v_and_b32_e32 v7, 0x7c0000, v0
	v_bfe_u32 v14, v0, 16, 2
	v_cmp_ne_u32_e32 vcc, s36, v7
                                        ; implicit-def: $vgpr7
	s_and_saveexec_b64 s[70:71], vcc
	s_xor_b64 s[70:71], exec, s[70:71]
	s_cbranch_execz .LBB6_2075
; %bb.2074:                             ;   in Loop: Header=BB6_1188 Depth=4
	v_ffbh_u32_e32 v15, v14
	v_bfe_u32 v7, v0, 18, 5
	v_min_u32_e32 v15, 32, v15
	v_subrev_u32_e32 v23, 29, v15
	v_sub_u32_e32 v15, 30, v15
	v_cmp_eq_u32_e32 vcc, 0, v7
	v_lshlrev_b64 v[38:39], v23, v[12:13]
	v_cndmask_b32_e32 v7, v7, v15, vcc
	v_bfrev_b32_e32 v15, 28
	v_and_b32_e32 v23, 3, v38
	v_lshlrev_b32_e32 v12, 24, v12
	v_lshl_add_u32 v7, v7, 23, v15
	v_cndmask_b32_e32 v14, v14, v23, vcc
	v_and_or_b32 v7, v12, s96, v7
	v_lshl_or_b32 v7, v14, 21, v7
                                        ; implicit-def: $vgpr14
                                        ; implicit-def: $vgpr12
.LBB6_2075:                             ;   in Loop: Header=BB6_1188 Depth=4
	s_andn2_saveexec_b64 s[70:71], s[70:71]
; %bb.2076:                             ;   in Loop: Header=BB6_1188 Depth=4
	v_mov_b32_e32 v7, -1
	v_cmp_gt_i16_sdwa vcc, sext(v12), v7 src0_sel:BYTE_0 src1_sel:DWORD
	v_mov_b32_e32 v7, 0xc7600000
	v_mov_b32_e32 v12, 0x47600000
	v_cndmask_b32_e32 v7, v7, v12, vcc
	v_cmp_eq_u32_e32 vcc, 0, v14
	v_mov_b32_e32 v12, 0x7f800001
	v_cndmask_b32_e32 v7, v12, v7, vcc
; %bb.2077:                             ;   in Loop: Header=BB6_1188 Depth=4
	s_or_b64 exec, exec, s[70:71]
.LBB6_2078:                             ;   in Loop: Header=BB6_1188 Depth=4
	s_or_b64 exec, exec, s[30:31]
.LBB6_2079:                             ;   in Loop: Header=BB6_1188 Depth=4
	s_or_b64 exec, exec, s[68:69]
	v_cmp_ne_u16_sdwa vcc, v6, v51 src0_sel:BYTE_0 src1_sel:DWORD
	s_and_saveexec_b64 s[30:31], vcc
	s_cbranch_execz .LBB6_2087
; %bb.2080:                             ;   in Loop: Header=BB6_1188 Depth=4
	v_cmp_ne_u16_sdwa vcc, v6, s97 src0_sel:BYTE_0 src1_sel:DWORD
	v_bfrev_b32_e32 v13, 1
	s_and_saveexec_b64 s[68:69], vcc
	s_cbranch_execz .LBB6_2086
; %bb.2081:                             ;   in Loop: Header=BB6_1188 Depth=4
	v_and_b32_e32 v13, 0x7c0000, v8
	v_bfe_u32 v12, v8, 16, 2
	v_cmp_ne_u32_e32 vcc, s36, v13
                                        ; implicit-def: $vgpr13
	s_and_saveexec_b64 s[70:71], vcc
	s_xor_b64 s[70:71], exec, s[70:71]
	s_cbranch_execz .LBB6_2083
; %bb.2082:                             ;   in Loop: Header=BB6_1188 Depth=4
	v_ffbh_u32_e32 v14, v12
	v_min_u32_e32 v23, 32, v14
	v_subrev_u32_e32 v14, 29, v23
	v_bfe_u32 v13, v8, 18, 5
	v_lshlrev_b64 v[14:15], v14, v[6:7]
	v_sub_u32_e32 v15, 30, v23
	v_and_b32_e32 v14, 3, v14
	v_cmp_eq_u32_e32 vcc, 0, v13
	v_cndmask_b32_e32 v13, v13, v15, vcc
	v_cndmask_b32_e32 v12, v12, v14, vcc
	v_bfrev_b32_e32 v14, 28
	v_lshlrev_b32_e32 v6, 24, v6
	v_lshl_add_u32 v13, v13, 23, v14
	v_and_or_b32 v6, v6, s96, v13
	v_lshl_or_b32 v13, v12, 21, v6
                                        ; implicit-def: $vgpr12
                                        ; implicit-def: $vgpr6
.LBB6_2083:                             ;   in Loop: Header=BB6_1188 Depth=4
	s_andn2_saveexec_b64 s[70:71], s[70:71]
; %bb.2084:                             ;   in Loop: Header=BB6_1188 Depth=4
	v_mov_b32_e32 v13, -1
	v_cmp_gt_i16_sdwa vcc, sext(v6), v13 src0_sel:BYTE_0 src1_sel:DWORD
	v_mov_b32_e32 v6, 0xc7600000
	v_mov_b32_e32 v13, 0x47600000
	v_cndmask_b32_e32 v6, v6, v13, vcc
	v_cmp_eq_u32_e32 vcc, 0, v12
	v_mov_b32_e32 v12, 0x7f800001
	v_cndmask_b32_e32 v13, v12, v6, vcc
; %bb.2085:                             ;   in Loop: Header=BB6_1188 Depth=4
	s_or_b64 exec, exec, s[70:71]
.LBB6_2086:                             ;   in Loop: Header=BB6_1188 Depth=4
	s_or_b64 exec, exec, s[68:69]
.LBB6_2087:                             ;   in Loop: Header=BB6_1188 Depth=4
	s_or_b64 exec, exec, s[30:31]
	v_max_f32_e32 v6, v13, v13
	v_max_f32_e32 v7, v7, v7
	v_min_f32_e32 v7, v7, v6
.LBB6_2088:                             ;   in Loop: Header=BB6_1188 Depth=4
	v_and_b32_sdwa v12, v7, s97 dst_sel:DWORD dst_unused:UNUSED_PAD src0_sel:BYTE_3 src1_sel:DWORD
	v_and_b32_e32 v14, 0x7f800000, v7
	v_mov_b32_e32 v15, v51
	v_and_b32_e32 v50, 0x7fffff, v7
	v_or_b32_e32 v23, 0x7b, v12
	v_cmp_ne_u64_e32 vcc, s[52:53], v[14:15]
	s_and_saveexec_b64 s[30:31], vcc
	s_xor_b64 s[68:69], exec, s[30:31]
	s_cbranch_execz .LBB6_2098
; %bb.2089:                             ;   in Loop: Header=BB6_1188 Depth=4
	v_and_b32_e32 v14, 0x7fffffff, v7
	v_mov_b32_e32 v15, v51
	v_cmp_gt_u64_e32 vcc, s[54:55], v[14:15]
	s_and_saveexec_b64 s[70:71], vcc
	s_cbranch_execz .LBB6_2097
; %bb.2090:                             ;   in Loop: Header=BB6_1188 Depth=4
	v_cmp_ne_u32_e32 vcc, 0, v7
	v_mov_b32_e32 v23, 0
	s_and_saveexec_b64 s[72:73], vcc
	s_cbranch_execz .LBB6_2096
; %bb.2091:                             ;   in Loop: Header=BB6_1188 Depth=4
	v_bfe_u32 v6, v7, 23, 8
	v_cmp_eq_u32_e32 vcc, 0, v6
	v_add_u32_e32 v7, 0xffffff81, v6
	v_cmp_gt_u32_e64 s[30:31], s38, v6
	v_sub_u32_e32 v6, 0x71, v6
	v_mov_b32_e32 v14, 0xffffff82
	v_cndmask_b32_e64 v6, 0, v6, s[30:31]
	v_cndmask_b32_e32 v23, v7, v14, vcc
	v_mov_b32_e32 v7, 0x70
	v_cndmask_b32_e32 v37, v6, v7, vcc
	v_add_u32_e32 v6, 21, v37
	v_or_b32_e32 v13, 0x800000, v50
	v_lshlrev_b64 v[6:7], v6, -1
	v_cndmask_b32_e32 v50, v13, v50, vcc
	v_not_b32_e32 v7, v7
	v_not_b32_e32 v6, v6
	v_add_u32_e32 v13, 20, v37
	v_and_b32_e32 v7, 0, v7
	v_and_b32_e32 v6, v50, v6
	v_lshlrev_b64 v[14:15], v13, 1
	v_cmp_eq_u64_e32 vcc, v[6:7], v[14:15]
	v_lshrrev_b64 v[6:7], v37, v[50:51]
	v_lshrrev_b32_e32 v13, 23, v6
	v_add3_u32 v15, v37, v23, v13
	v_bfe_u32 v13, v6, 21, 1
	v_add_u32_e32 v13, -1, v13
	v_cndmask_b32_e32 v13, 0, v13, vcc
	v_add_u32_e32 v13, v13, v6
	v_and_b32_e32 v13, 0x1fffff, v13
	v_add_co_u32_e32 v6, vcc, v13, v6
	v_add_u32_e32 v14, 14, v15
	v_addc_co_u32_e32 v7, vcc, 0, v7, vcc
	v_cmp_ne_u32_e32 vcc, 0, v14
                                        ; implicit-def: $vgpr13
	s_and_saveexec_b64 s[30:31], vcc
	s_xor_b64 s[30:31], exec, s[30:31]
; %bb.2092:                             ;   in Loop: Header=BB6_1188 Depth=4
	v_add_u32_e32 v13, 15, v15
	v_cmp_lt_u64_e32 vcc, s[56:57], v[6:7]
	v_cndmask_b32_e32 v13, v14, v13, vcc
	v_cndmask_b32_e64 v14, 0, 1, vcc
	v_lshrrev_b64 v[6:7], v14, v[6:7]
; %bb.2093:                             ;   in Loop: Header=BB6_1188 Depth=4
	s_andn2_saveexec_b64 vcc, s[30:31]
; %bb.2094:                             ;   in Loop: Header=BB6_1188 Depth=4
	v_bfe_u32 v13, v6, 23, 1
; %bb.2095:                             ;   in Loop: Header=BB6_1188 Depth=4
	s_or_b64 exec, exec, vcc
	v_lshrrev_b64 v[6:7], 21, v[6:7]
	v_cmp_gt_i32_e32 vcc, 32, v13
	v_cndmask_b32_e32 v7, 0, v7, vcc
	v_cndmask_b32_e32 v6, 3, v6, vcc
	v_cmp_eq_u64_e64 s[30:31], 0, v[6:7]
	v_min_i32_e32 v7, 31, v13
	v_cmp_eq_u32_e32 vcc, 0, v13
	v_lshlrev_b32_e32 v7, 2, v7
	v_and_or_b32 v6, v6, 3, v7
	s_and_b64 vcc, vcc, s[30:31]
	v_cndmask_b32_e64 v6, v6, 0, vcc
	v_or_b32_e32 v23, v6, v12
.LBB6_2096:                             ;   in Loop: Header=BB6_1188 Depth=4
	s_or_b64 exec, exec, s[72:73]
.LBB6_2097:                             ;   in Loop: Header=BB6_1188 Depth=4
	s_or_b64 exec, exec, s[70:71]
                                        ; implicit-def: $vgpr7
.LBB6_2098:                             ;   in Loop: Header=BB6_1188 Depth=4
	s_andn2_saveexec_b64 s[30:31], s[68:69]
; %bb.2099:                             ;   in Loop: Header=BB6_1188 Depth=4
	v_or_b32_sdwa v6, v7, s39 dst_sel:DWORD dst_unused:UNUSED_PAD src0_sel:BYTE_3 src1_sel:DWORD
	v_cmp_eq_u64_e32 vcc, 0, v[50:51]
	v_cndmask_b32_e32 v23, v6, v23, vcc
; %bb.2100:                             ;   in Loop: Header=BB6_1188 Depth=4
	s_or_b64 exec, exec, s[30:31]
	v_lshrrev_b32_e32 v12, 24, v0
	v_lshrrev_b32_e32 v6, 24, v8
	s_and_b64 vcc, exec, s[28:29]
	v_cmp_lt_u32_e64 s[30:31], s43, v0
	s_cbranch_vccnz .LBB6_2118
; %bb.2101:                             ;   in Loop: Header=BB6_1188 Depth=4
	v_mov_b32_e32 v13, 0
	v_mov_b32_e32 v7, 0
	s_and_saveexec_b64 s[68:69], s[30:31]
	s_cbranch_execz .LBB6_2109
; %bb.2102:                             ;   in Loop: Header=BB6_1188 Depth=4
	v_cmp_ne_u32_e32 vcc, s97, v12
	v_bfrev_b32_e32 v7, 1
	s_and_saveexec_b64 s[70:71], vcc
	s_cbranch_execz .LBB6_2108
; %bb.2103:                             ;   in Loop: Header=BB6_1188 Depth=4
	v_and_b32_e32 v7, 0x7c000000, v0
	v_bfe_u32 v14, v0, 24, 2
	v_cmp_ne_u32_e32 vcc, s37, v7
                                        ; implicit-def: $vgpr7
	s_and_saveexec_b64 s[72:73], vcc
	s_xor_b64 s[72:73], exec, s[72:73]
	s_cbranch_execz .LBB6_2105
; %bb.2104:                             ;   in Loop: Header=BB6_1188 Depth=4
	v_ffbh_u32_e32 v15, v14
	v_bfe_u32 v7, v0, 26, 5
	v_min_u32_e32 v15, 32, v15
	v_subrev_u32_e32 v37, 29, v15
	v_sub_u32_e32 v15, 30, v15
	v_cmp_eq_u32_e32 vcc, 0, v7
	v_lshlrev_b64 v[38:39], v37, v[12:13]
	v_cndmask_b32_e32 v7, v7, v15, vcc
	v_bfrev_b32_e32 v15, 28
	v_and_b32_e32 v37, 3, v38
	v_lshl_add_u32 v7, v7, 23, v15
	v_cndmask_b32_e32 v14, v14, v37, vcc
	v_and_or_b32 v7, v0, s96, v7
	v_lshl_or_b32 v7, v14, 21, v7
                                        ; implicit-def: $vgpr14
.LBB6_2105:                             ;   in Loop: Header=BB6_1188 Depth=4
	s_andn2_saveexec_b64 s[72:73], s[72:73]
; %bb.2106:                             ;   in Loop: Header=BB6_1188 Depth=4
	v_cmp_lt_i32_e32 vcc, -1, v0
	v_mov_b32_e32 v7, 0xc7600000
	v_mov_b32_e32 v15, 0x47600000
	v_cndmask_b32_e32 v7, v7, v15, vcc
	v_cmp_eq_u32_e32 vcc, 0, v14
	v_mov_b32_e32 v14, 0x7f800001
	v_cndmask_b32_e32 v7, v14, v7, vcc
; %bb.2107:                             ;   in Loop: Header=BB6_1188 Depth=4
	s_or_b64 exec, exec, s[72:73]
.LBB6_2108:                             ;   in Loop: Header=BB6_1188 Depth=4
	s_or_b64 exec, exec, s[70:71]
.LBB6_2109:                             ;   in Loop: Header=BB6_1188 Depth=4
	s_or_b64 exec, exec, s[68:69]
	v_cmp_lt_u32_e32 vcc, s43, v8
	s_and_saveexec_b64 s[68:69], vcc
	s_cbranch_execz .LBB6_2117
; %bb.2110:                             ;   in Loop: Header=BB6_1188 Depth=4
	v_cmp_ne_u32_e32 vcc, s97, v6
	v_bfrev_b32_e32 v13, 1
	s_and_saveexec_b64 s[70:71], vcc
	s_cbranch_execz .LBB6_2116
; %bb.2111:                             ;   in Loop: Header=BB6_1188 Depth=4
	v_and_b32_e32 v13, 0x7c000000, v8
	v_bfe_u32 v14, v8, 24, 2
	v_cmp_ne_u32_e32 vcc, s37, v13
                                        ; implicit-def: $vgpr13
	s_and_saveexec_b64 s[72:73], vcc
	s_xor_b64 s[72:73], exec, s[72:73]
	s_cbranch_execz .LBB6_2113
; %bb.2112:                             ;   in Loop: Header=BB6_1188 Depth=4
	v_ffbh_u32_e32 v15, v14
	v_bfe_u32 v13, v8, 26, 5
	v_min_u32_e32 v15, 32, v15
	v_subrev_u32_e32 v37, 29, v15
	v_sub_u32_e32 v15, 30, v15
	v_cmp_eq_u32_e32 vcc, 0, v13
	v_lshlrev_b64 v[38:39], v37, v[6:7]
	v_cndmask_b32_e32 v13, v13, v15, vcc
	v_bfrev_b32_e32 v15, 28
	v_and_b32_e32 v37, 3, v38
	v_lshl_add_u32 v13, v13, 23, v15
	v_cndmask_b32_e32 v14, v14, v37, vcc
	v_and_or_b32 v13, v8, s96, v13
	v_lshl_or_b32 v13, v14, 21, v13
                                        ; implicit-def: $vgpr14
.LBB6_2113:                             ;   in Loop: Header=BB6_1188 Depth=4
	s_andn2_saveexec_b64 s[72:73], s[72:73]
; %bb.2114:                             ;   in Loop: Header=BB6_1188 Depth=4
	v_cmp_lt_i32_e32 vcc, -1, v8
	v_mov_b32_e32 v13, 0xc7600000
	v_mov_b32_e32 v15, 0x47600000
	v_cndmask_b32_e32 v13, v13, v15, vcc
	v_cmp_eq_u32_e32 vcc, 0, v14
	v_mov_b32_e32 v14, 0x7f800001
	v_cndmask_b32_e32 v13, v14, v13, vcc
; %bb.2115:                             ;   in Loop: Header=BB6_1188 Depth=4
	s_or_b64 exec, exec, s[72:73]
.LBB6_2116:                             ;   in Loop: Header=BB6_1188 Depth=4
	s_or_b64 exec, exec, s[70:71]
.LBB6_2117:                             ;   in Loop: Header=BB6_1188 Depth=4
	s_or_b64 exec, exec, s[68:69]
	v_max_f32_e32 v13, v13, v13
	v_max_f32_e32 v7, v7, v7
	;; [unrolled: 1-line block ×3, first 2 shown]
	s_branch .LBB6_2136
.LBB6_2118:                             ;   in Loop: Header=BB6_1188 Depth=4
                                        ; implicit-def: $vgpr7
	s_cbranch_execz .LBB6_2136
; %bb.2119:                             ;   in Loop: Header=BB6_1188 Depth=4
	v_mov_b32_e32 v13, 0
	v_mov_b32_e32 v7, 0
	s_and_saveexec_b64 s[68:69], s[30:31]
	s_cbranch_execz .LBB6_2127
; %bb.2120:                             ;   in Loop: Header=BB6_1188 Depth=4
	v_cmp_ne_u32_e32 vcc, s97, v12
	v_bfrev_b32_e32 v7, 1
	s_and_saveexec_b64 s[30:31], vcc
	s_cbranch_execz .LBB6_2126
; %bb.2121:                             ;   in Loop: Header=BB6_1188 Depth=4
	v_and_b32_e32 v7, 0x7c000000, v0
	v_bfe_u32 v14, v0, 24, 2
	v_cmp_ne_u32_e32 vcc, s37, v7
                                        ; implicit-def: $vgpr7
	s_and_saveexec_b64 s[70:71], vcc
	s_xor_b64 s[70:71], exec, s[70:71]
	s_cbranch_execz .LBB6_2123
; %bb.2122:                             ;   in Loop: Header=BB6_1188 Depth=4
	v_ffbh_u32_e32 v15, v14
	v_min_u32_e32 v15, 32, v15
	v_subrev_u32_e32 v37, 29, v15
	v_bfe_u32 v7, v0, 26, 5
	v_lshlrev_b64 v[38:39], v37, v[12:13]
	v_sub_u32_e32 v12, 30, v15
	v_and_b32_e32 v15, 3, v38
	v_cmp_eq_u32_e32 vcc, 0, v7
	v_cndmask_b32_e32 v7, v7, v12, vcc
	v_cndmask_b32_e32 v12, v14, v15, vcc
	v_bfrev_b32_e32 v14, 28
	v_lshl_add_u32 v7, v7, 23, v14
	v_and_or_b32 v7, v0, s96, v7
	v_lshl_or_b32 v7, v12, 21, v7
                                        ; implicit-def: $vgpr14
.LBB6_2123:                             ;   in Loop: Header=BB6_1188 Depth=4
	s_andn2_saveexec_b64 s[70:71], s[70:71]
; %bb.2124:                             ;   in Loop: Header=BB6_1188 Depth=4
	v_cmp_lt_i32_e32 vcc, -1, v0
	v_mov_b32_e32 v7, 0xc7600000
	v_mov_b32_e32 v12, 0x47600000
	v_cndmask_b32_e32 v7, v7, v12, vcc
	v_cmp_eq_u32_e32 vcc, 0, v14
	v_mov_b32_e32 v12, 0x7f800001
	v_cndmask_b32_e32 v7, v12, v7, vcc
; %bb.2125:                             ;   in Loop: Header=BB6_1188 Depth=4
	s_or_b64 exec, exec, s[70:71]
.LBB6_2126:                             ;   in Loop: Header=BB6_1188 Depth=4
	s_or_b64 exec, exec, s[30:31]
.LBB6_2127:                             ;   in Loop: Header=BB6_1188 Depth=4
	s_or_b64 exec, exec, s[68:69]
	v_cmp_lt_u32_e32 vcc, s43, v8
	s_and_saveexec_b64 s[30:31], vcc
	s_cbranch_execz .LBB6_2135
; %bb.2128:                             ;   in Loop: Header=BB6_1188 Depth=4
	v_cmp_ne_u32_e32 vcc, s97, v6
	v_bfrev_b32_e32 v13, 1
	s_and_saveexec_b64 s[68:69], vcc
	s_cbranch_execz .LBB6_2134
; %bb.2129:                             ;   in Loop: Header=BB6_1188 Depth=4
	v_and_b32_e32 v13, 0x7c000000, v8
	v_bfe_u32 v12, v8, 24, 2
	v_cmp_ne_u32_e32 vcc, s37, v13
                                        ; implicit-def: $vgpr13
	s_and_saveexec_b64 s[70:71], vcc
	s_xor_b64 s[70:71], exec, s[70:71]
	s_cbranch_execz .LBB6_2131
; %bb.2130:                             ;   in Loop: Header=BB6_1188 Depth=4
	v_ffbh_u32_e32 v14, v12
	v_min_u32_e32 v37, 32, v14
	v_bfe_u32 v13, v8, 26, 5
	v_subrev_u32_e32 v14, 29, v37
	v_lshlrev_b64 v[14:15], v14, v[6:7]
	v_sub_u32_e32 v6, 30, v37
	v_cmp_eq_u32_e32 vcc, 0, v13
	v_cndmask_b32_e32 v6, v13, v6, vcc
	v_bfrev_b32_e32 v13, 28
	v_and_b32_e32 v14, 3, v14
	v_lshl_add_u32 v6, v6, 23, v13
	v_cndmask_b32_e32 v12, v12, v14, vcc
	v_and_or_b32 v6, v8, s96, v6
	v_lshl_or_b32 v13, v12, 21, v6
                                        ; implicit-def: $vgpr12
.LBB6_2131:                             ;   in Loop: Header=BB6_1188 Depth=4
	s_andn2_saveexec_b64 s[70:71], s[70:71]
; %bb.2132:                             ;   in Loop: Header=BB6_1188 Depth=4
	v_cmp_lt_i32_e32 vcc, -1, v8
	v_mov_b32_e32 v6, 0xc7600000
	v_mov_b32_e32 v13, 0x47600000
	v_cndmask_b32_e32 v6, v6, v13, vcc
	v_cmp_eq_u32_e32 vcc, 0, v12
	v_mov_b32_e32 v12, 0x7f800001
	v_cndmask_b32_e32 v13, v12, v6, vcc
; %bb.2133:                             ;   in Loop: Header=BB6_1188 Depth=4
	s_or_b64 exec, exec, s[70:71]
.LBB6_2134:                             ;   in Loop: Header=BB6_1188 Depth=4
	s_or_b64 exec, exec, s[68:69]
.LBB6_2135:                             ;   in Loop: Header=BB6_1188 Depth=4
	s_or_b64 exec, exec, s[30:31]
	v_max_f32_e32 v6, v13, v13
	v_max_f32_e32 v7, v7, v7
	v_min_f32_e32 v7, v7, v6
.LBB6_2136:                             ;   in Loop: Header=BB6_1188 Depth=4
	v_and_b32_sdwa v12, v7, s97 dst_sel:DWORD dst_unused:UNUSED_PAD src0_sel:BYTE_3 src1_sel:DWORD
	v_and_b32_e32 v14, 0x7f800000, v7
	v_mov_b32_e32 v15, v51
	v_and_b32_e32 v50, 0x7fffff, v7
	v_or_b32_e32 v37, 0x7b, v12
	v_cmp_ne_u64_e32 vcc, s[52:53], v[14:15]
	s_and_saveexec_b64 s[30:31], vcc
	s_xor_b64 s[68:69], exec, s[30:31]
	s_cbranch_execz .LBB6_2146
; %bb.2137:                             ;   in Loop: Header=BB6_1188 Depth=4
	v_and_b32_e32 v14, 0x7fffffff, v7
	v_mov_b32_e32 v15, v51
	v_cmp_gt_u64_e32 vcc, s[54:55], v[14:15]
	s_and_saveexec_b64 s[70:71], vcc
	s_cbranch_execz .LBB6_2145
; %bb.2138:                             ;   in Loop: Header=BB6_1188 Depth=4
	v_cmp_ne_u32_e32 vcc, 0, v7
	v_mov_b32_e32 v37, 0
	s_and_saveexec_b64 s[72:73], vcc
	s_cbranch_execz .LBB6_2144
; %bb.2139:                             ;   in Loop: Header=BB6_1188 Depth=4
	v_bfe_u32 v6, v7, 23, 8
	v_cmp_eq_u32_e32 vcc, 0, v6
	v_add_u32_e32 v7, 0xffffff81, v6
	v_cmp_gt_u32_e64 s[30:31], s38, v6
	v_sub_u32_e32 v6, 0x71, v6
	v_mov_b32_e32 v14, 0xffffff82
	v_cndmask_b32_e64 v6, 0, v6, s[30:31]
	v_cndmask_b32_e32 v37, v7, v14, vcc
	v_mov_b32_e32 v7, 0x70
	v_cndmask_b32_e32 v38, v6, v7, vcc
	v_add_u32_e32 v6, 21, v38
	v_or_b32_e32 v13, 0x800000, v50
	v_lshlrev_b64 v[6:7], v6, -1
	v_cndmask_b32_e32 v50, v13, v50, vcc
	v_not_b32_e32 v7, v7
	v_not_b32_e32 v6, v6
	v_add_u32_e32 v13, 20, v38
	v_and_b32_e32 v7, 0, v7
	v_and_b32_e32 v6, v50, v6
	v_lshlrev_b64 v[14:15], v13, 1
	v_cmp_eq_u64_e32 vcc, v[6:7], v[14:15]
	v_lshrrev_b64 v[6:7], v38, v[50:51]
	v_lshrrev_b32_e32 v13, 23, v6
	v_add3_u32 v15, v38, v37, v13
	v_bfe_u32 v13, v6, 21, 1
	v_add_u32_e32 v13, -1, v13
	v_cndmask_b32_e32 v13, 0, v13, vcc
	v_add_u32_e32 v13, v13, v6
	v_and_b32_e32 v13, 0x1fffff, v13
	v_add_co_u32_e32 v6, vcc, v13, v6
	v_add_u32_e32 v14, 14, v15
	v_addc_co_u32_e32 v7, vcc, 0, v7, vcc
	v_cmp_ne_u32_e32 vcc, 0, v14
                                        ; implicit-def: $vgpr13
	s_and_saveexec_b64 s[30:31], vcc
	s_xor_b64 s[30:31], exec, s[30:31]
; %bb.2140:                             ;   in Loop: Header=BB6_1188 Depth=4
	v_add_u32_e32 v13, 15, v15
	v_cmp_lt_u64_e32 vcc, s[56:57], v[6:7]
	v_cndmask_b32_e32 v13, v14, v13, vcc
	v_cndmask_b32_e64 v14, 0, 1, vcc
	v_lshrrev_b64 v[6:7], v14, v[6:7]
; %bb.2141:                             ;   in Loop: Header=BB6_1188 Depth=4
	s_andn2_saveexec_b64 vcc, s[30:31]
; %bb.2142:                             ;   in Loop: Header=BB6_1188 Depth=4
	v_bfe_u32 v13, v6, 23, 1
; %bb.2143:                             ;   in Loop: Header=BB6_1188 Depth=4
	s_or_b64 exec, exec, vcc
	v_lshrrev_b64 v[6:7], 21, v[6:7]
	v_cmp_gt_i32_e32 vcc, 32, v13
	v_cndmask_b32_e32 v7, 0, v7, vcc
	v_cndmask_b32_e32 v6, 3, v6, vcc
	v_cmp_eq_u64_e64 s[30:31], 0, v[6:7]
	v_min_i32_e32 v7, 31, v13
	v_cmp_eq_u32_e32 vcc, 0, v13
	v_lshlrev_b32_e32 v7, 2, v7
	v_and_or_b32 v6, v6, 3, v7
	s_and_b64 vcc, vcc, s[30:31]
	v_cndmask_b32_e64 v6, v6, 0, vcc
	v_or_b32_e32 v37, v6, v12
.LBB6_2144:                             ;   in Loop: Header=BB6_1188 Depth=4
	s_or_b64 exec, exec, s[72:73]
.LBB6_2145:                             ;   in Loop: Header=BB6_1188 Depth=4
	s_or_b64 exec, exec, s[70:71]
                                        ; implicit-def: $vgpr7
.LBB6_2146:                             ;   in Loop: Header=BB6_1188 Depth=4
	s_andn2_saveexec_b64 s[30:31], s[68:69]
; %bb.2147:                             ;   in Loop: Header=BB6_1188 Depth=4
	v_or_b32_sdwa v6, v7, s39 dst_sel:DWORD dst_unused:UNUSED_PAD src0_sel:BYTE_3 src1_sel:DWORD
	v_cmp_eq_u64_e32 vcc, 0, v[50:51]
	v_cndmask_b32_e32 v37, v6, v37, vcc
; %bb.2148:                             ;   in Loop: Header=BB6_1188 Depth=4
	s_or_b64 exec, exec, s[30:31]
	v_mov_b32_e32 v50, v1
	v_mov_b32_e32 v6, v9
	;; [unrolled: 1-line block ×3, first 2 shown]
	s_and_b64 vcc, exec, s[28:29]
	v_cmp_ne_u16_sdwa s[30:31], v1, v51 src0_sel:BYTE_0 src1_sel:DWORD
	s_cbranch_vccnz .LBB6_2166
; %bb.2149:                             ;   in Loop: Header=BB6_1188 Depth=4
	v_mov_b32_e32 v13, 0
	v_mov_b32_e32 v12, 0
	s_and_saveexec_b64 s[68:69], s[30:31]
	s_cbranch_execz .LBB6_2157
; %bb.2150:                             ;   in Loop: Header=BB6_1188 Depth=4
	v_cmp_ne_u16_sdwa vcc, v1, s97 src0_sel:BYTE_0 src1_sel:DWORD
	v_bfrev_b32_e32 v12, 1
	s_and_saveexec_b64 s[70:71], vcc
	s_cbranch_execz .LBB6_2156
; %bb.2151:                             ;   in Loop: Header=BB6_1188 Depth=4
	v_and_b32_e32 v12, 0x7c, v1
	v_and_b32_e32 v14, 3, v1
	v_cmp_ne_u32_e32 vcc, s95, v12
                                        ; implicit-def: $vgpr12
	s_and_saveexec_b64 s[72:73], vcc
	s_xor_b64 s[72:73], exec, s[72:73]
	s_cbranch_execz .LBB6_2153
; %bb.2152:                             ;   in Loop: Header=BB6_1188 Depth=4
	v_ffbh_u32_e32 v15, v14
	v_min_u32_e32 v15, 32, v15
	v_subrev_u32_e32 v38, 29, v15
	v_bfe_u32 v12, v1, 2, 5
	v_lshlrev_b64 v[38:39], v38, v[50:51]
	v_sub_u32_e32 v15, 30, v15
	v_and_b32_e32 v38, 3, v38
	v_cmp_eq_u32_e32 vcc, 0, v12
	v_cndmask_b32_e32 v12, v12, v15, vcc
	v_cndmask_b32_e32 v14, v14, v38, vcc
	v_bfrev_b32_e32 v38, 28
	v_lshlrev_b32_e32 v15, 24, v1
	v_lshl_add_u32 v12, v12, 23, v38
	v_and_or_b32 v12, v15, s96, v12
	v_lshl_or_b32 v12, v14, 21, v12
                                        ; implicit-def: $vgpr14
.LBB6_2153:                             ;   in Loop: Header=BB6_1188 Depth=4
	s_andn2_saveexec_b64 s[72:73], s[72:73]
; %bb.2154:                             ;   in Loop: Header=BB6_1188 Depth=4
	v_mov_b32_e32 v12, -1
	v_cmp_gt_i16_sdwa vcc, sext(v1), v12 src0_sel:BYTE_0 src1_sel:DWORD
	v_mov_b32_e32 v12, 0xc7600000
	v_mov_b32_e32 v15, 0x47600000
	v_cndmask_b32_e32 v12, v12, v15, vcc
	v_cmp_eq_u32_e32 vcc, 0, v14
	v_mov_b32_e32 v14, 0x7f800001
	v_cndmask_b32_e32 v12, v14, v12, vcc
; %bb.2155:                             ;   in Loop: Header=BB6_1188 Depth=4
	s_or_b64 exec, exec, s[72:73]
.LBB6_2156:                             ;   in Loop: Header=BB6_1188 Depth=4
	s_or_b64 exec, exec, s[70:71]
.LBB6_2157:                             ;   in Loop: Header=BB6_1188 Depth=4
	s_or_b64 exec, exec, s[68:69]
	v_cmp_ne_u16_sdwa vcc, v9, v51 src0_sel:BYTE_0 src1_sel:DWORD
	s_and_saveexec_b64 s[68:69], vcc
	s_cbranch_execz .LBB6_2165
; %bb.2158:                             ;   in Loop: Header=BB6_1188 Depth=4
	v_cmp_ne_u16_sdwa vcc, v9, s97 src0_sel:BYTE_0 src1_sel:DWORD
	v_bfrev_b32_e32 v13, 1
	s_and_saveexec_b64 s[70:71], vcc
	s_cbranch_execz .LBB6_2164
; %bb.2159:                             ;   in Loop: Header=BB6_1188 Depth=4
	v_and_b32_e32 v13, 0x7c, v9
	v_and_b32_e32 v14, 3, v9
	v_cmp_ne_u32_e32 vcc, s95, v13
                                        ; implicit-def: $vgpr13
	s_and_saveexec_b64 s[72:73], vcc
	s_xor_b64 s[72:73], exec, s[72:73]
	s_cbranch_execz .LBB6_2161
; %bb.2160:                             ;   in Loop: Header=BB6_1188 Depth=4
	v_ffbh_u32_e32 v15, v14
	v_min_u32_e32 v15, 32, v15
	v_subrev_u32_e32 v38, 29, v15
	v_bfe_u32 v13, v9, 2, 5
	v_lshlrev_b64 v[38:39], v38, v[6:7]
	v_sub_u32_e32 v15, 30, v15
	v_and_b32_e32 v38, 3, v38
	v_cmp_eq_u32_e32 vcc, 0, v13
	v_cndmask_b32_e32 v13, v13, v15, vcc
	v_cndmask_b32_e32 v14, v14, v38, vcc
	v_bfrev_b32_e32 v38, 28
	v_lshlrev_b32_e32 v15, 24, v9
	v_lshl_add_u32 v13, v13, 23, v38
	v_and_or_b32 v13, v15, s96, v13
	v_lshl_or_b32 v13, v14, 21, v13
                                        ; implicit-def: $vgpr14
.LBB6_2161:                             ;   in Loop: Header=BB6_1188 Depth=4
	s_andn2_saveexec_b64 s[72:73], s[72:73]
; %bb.2162:                             ;   in Loop: Header=BB6_1188 Depth=4
	v_mov_b32_e32 v13, -1
	v_cmp_gt_i16_sdwa vcc, sext(v9), v13 src0_sel:BYTE_0 src1_sel:DWORD
	v_mov_b32_e32 v13, 0xc7600000
	v_mov_b32_e32 v15, 0x47600000
	v_cndmask_b32_e32 v13, v13, v15, vcc
	v_cmp_eq_u32_e32 vcc, 0, v14
	v_mov_b32_e32 v14, 0x7f800001
	v_cndmask_b32_e32 v13, v14, v13, vcc
; %bb.2163:                             ;   in Loop: Header=BB6_1188 Depth=4
	s_or_b64 exec, exec, s[72:73]
.LBB6_2164:                             ;   in Loop: Header=BB6_1188 Depth=4
	s_or_b64 exec, exec, s[70:71]
.LBB6_2165:                             ;   in Loop: Header=BB6_1188 Depth=4
	s_or_b64 exec, exec, s[68:69]
	v_max_f32_e32 v13, v13, v13
	v_max_f32_e32 v12, v12, v12
	;; [unrolled: 1-line block ×3, first 2 shown]
	s_branch .LBB6_2184
.LBB6_2166:                             ;   in Loop: Header=BB6_1188 Depth=4
                                        ; implicit-def: $vgpr14
	s_cbranch_execz .LBB6_2184
; %bb.2167:                             ;   in Loop: Header=BB6_1188 Depth=4
	v_mov_b32_e32 v13, 0
	v_mov_b32_e32 v12, 0
	s_and_saveexec_b64 s[68:69], s[30:31]
	s_cbranch_execz .LBB6_2175
; %bb.2168:                             ;   in Loop: Header=BB6_1188 Depth=4
	v_cmp_ne_u16_sdwa vcc, v1, s97 src0_sel:BYTE_0 src1_sel:DWORD
	v_bfrev_b32_e32 v12, 1
	s_and_saveexec_b64 s[30:31], vcc
	s_cbranch_execz .LBB6_2174
; %bb.2169:                             ;   in Loop: Header=BB6_1188 Depth=4
	v_and_b32_e32 v12, 0x7c, v1
	v_and_b32_e32 v14, 3, v1
	v_cmp_ne_u32_e32 vcc, s95, v12
                                        ; implicit-def: $vgpr12
	s_and_saveexec_b64 s[70:71], vcc
	s_xor_b64 s[70:71], exec, s[70:71]
	s_cbranch_execz .LBB6_2171
; %bb.2170:                             ;   in Loop: Header=BB6_1188 Depth=4
	v_ffbh_u32_e32 v15, v14
	v_min_u32_e32 v15, 32, v15
	v_subrev_u32_e32 v38, 29, v15
	v_bfe_u32 v12, v1, 2, 5
	v_lshlrev_b64 v[38:39], v38, v[50:51]
	v_sub_u32_e32 v15, 30, v15
	v_and_b32_e32 v38, 3, v38
	v_cmp_eq_u32_e32 vcc, 0, v12
	v_cndmask_b32_e32 v12, v12, v15, vcc
	v_cndmask_b32_e32 v14, v14, v38, vcc
	v_bfrev_b32_e32 v38, 28
	v_lshlrev_b32_e32 v15, 24, v1
	v_lshl_add_u32 v12, v12, 23, v38
	v_and_or_b32 v12, v15, s96, v12
	v_lshl_or_b32 v12, v14, 21, v12
                                        ; implicit-def: $vgpr14
.LBB6_2171:                             ;   in Loop: Header=BB6_1188 Depth=4
	s_andn2_saveexec_b64 s[70:71], s[70:71]
; %bb.2172:                             ;   in Loop: Header=BB6_1188 Depth=4
	v_mov_b32_e32 v12, -1
	v_cmp_gt_i16_sdwa vcc, sext(v1), v12 src0_sel:BYTE_0 src1_sel:DWORD
	v_mov_b32_e32 v12, 0xc7600000
	v_mov_b32_e32 v15, 0x47600000
	v_cndmask_b32_e32 v12, v12, v15, vcc
	v_cmp_eq_u32_e32 vcc, 0, v14
	v_mov_b32_e32 v14, 0x7f800001
	v_cndmask_b32_e32 v12, v14, v12, vcc
; %bb.2173:                             ;   in Loop: Header=BB6_1188 Depth=4
	s_or_b64 exec, exec, s[70:71]
.LBB6_2174:                             ;   in Loop: Header=BB6_1188 Depth=4
	s_or_b64 exec, exec, s[30:31]
.LBB6_2175:                             ;   in Loop: Header=BB6_1188 Depth=4
	s_or_b64 exec, exec, s[68:69]
	v_cmp_ne_u16_sdwa vcc, v9, v51 src0_sel:BYTE_0 src1_sel:DWORD
	s_and_saveexec_b64 s[30:31], vcc
	s_cbranch_execz .LBB6_2183
; %bb.2176:                             ;   in Loop: Header=BB6_1188 Depth=4
	v_cmp_ne_u16_sdwa vcc, v9, s97 src0_sel:BYTE_0 src1_sel:DWORD
	v_bfrev_b32_e32 v13, 1
	s_and_saveexec_b64 s[68:69], vcc
	s_cbranch_execz .LBB6_2182
; %bb.2177:                             ;   in Loop: Header=BB6_1188 Depth=4
	v_and_b32_e32 v13, 0x7c, v9
	v_and_b32_e32 v14, 3, v9
	v_cmp_ne_u32_e32 vcc, s95, v13
                                        ; implicit-def: $vgpr13
	s_and_saveexec_b64 s[70:71], vcc
	s_xor_b64 s[70:71], exec, s[70:71]
	s_cbranch_execz .LBB6_2179
; %bb.2178:                             ;   in Loop: Header=BB6_1188 Depth=4
	v_ffbh_u32_e32 v15, v14
	v_min_u32_e32 v15, 32, v15
	v_subrev_u32_e32 v38, 29, v15
	v_bfe_u32 v13, v9, 2, 5
	v_lshlrev_b64 v[38:39], v38, v[6:7]
	v_sub_u32_e32 v7, 30, v15
	v_and_b32_e32 v15, 3, v38
	v_cmp_eq_u32_e32 vcc, 0, v13
	v_cndmask_b32_e32 v7, v13, v7, vcc
	v_cndmask_b32_e32 v13, v14, v15, vcc
	v_bfrev_b32_e32 v15, 28
	v_lshlrev_b32_e32 v14, 24, v9
	v_lshl_add_u32 v7, v7, 23, v15
	v_and_or_b32 v7, v14, s96, v7
	v_lshl_or_b32 v13, v13, 21, v7
                                        ; implicit-def: $vgpr14
.LBB6_2179:                             ;   in Loop: Header=BB6_1188 Depth=4
	s_andn2_saveexec_b64 s[70:71], s[70:71]
; %bb.2180:                             ;   in Loop: Header=BB6_1188 Depth=4
	v_mov_b32_e32 v7, -1
	v_cmp_gt_i16_sdwa vcc, sext(v9), v7 src0_sel:BYTE_0 src1_sel:DWORD
	v_mov_b32_e32 v7, 0xc7600000
	v_mov_b32_e32 v13, 0x47600000
	v_cndmask_b32_e32 v7, v7, v13, vcc
	v_cmp_eq_u32_e32 vcc, 0, v14
	v_mov_b32_e32 v13, 0x7f800001
	v_cndmask_b32_e32 v13, v13, v7, vcc
; %bb.2181:                             ;   in Loop: Header=BB6_1188 Depth=4
	s_or_b64 exec, exec, s[70:71]
.LBB6_2182:                             ;   in Loop: Header=BB6_1188 Depth=4
	s_or_b64 exec, exec, s[68:69]
.LBB6_2183:                             ;   in Loop: Header=BB6_1188 Depth=4
	s_or_b64 exec, exec, s[30:31]
	v_max_f32_e32 v7, v13, v13
	v_max_f32_e32 v12, v12, v12
	v_min_f32_e32 v14, v12, v7
.LBB6_2184:                             ;   in Loop: Header=BB6_1188 Depth=4
	v_and_b32_sdwa v7, v14, s97 dst_sel:DWORD dst_unused:UNUSED_PAD src0_sel:BYTE_3 src1_sel:DWORD
	v_and_b32_e32 v48, 0x7f800000, v14
	v_mov_b32_e32 v49, v51
	v_and_b32_e32 v12, 0x7fffff, v14
	v_mov_b32_e32 v13, v51
	v_or_b32_e32 v38, 0x7b, v7
	v_cmp_ne_u64_e32 vcc, s[52:53], v[48:49]
	s_and_saveexec_b64 s[30:31], vcc
	s_xor_b64 s[68:69], exec, s[30:31]
	s_cbranch_execz .LBB6_2194
; %bb.2185:                             ;   in Loop: Header=BB6_1188 Depth=4
	v_and_b32_e32 v48, 0x7fffffff, v14
	v_mov_b32_e32 v49, v51
	v_cmp_gt_u64_e32 vcc, s[54:55], v[48:49]
	s_and_saveexec_b64 s[70:71], vcc
	s_cbranch_execz .LBB6_2193
; %bb.2186:                             ;   in Loop: Header=BB6_1188 Depth=4
	v_cmp_ne_u32_e32 vcc, 0, v14
	v_mov_b32_e32 v38, 0
	s_and_saveexec_b64 s[72:73], vcc
	s_cbranch_execz .LBB6_2192
; %bb.2187:                             ;   in Loop: Header=BB6_1188 Depth=4
	v_bfe_u32 v14, v14, 23, 8
	v_cmp_eq_u32_e32 vcc, 0, v14
	v_add_u32_e32 v15, 0xffffff81, v14
	v_cmp_gt_u32_e64 s[30:31], s38, v14
	v_sub_u32_e32 v14, 0x71, v14
	v_mov_b32_e32 v39, 0xffffff82
	v_cndmask_b32_e64 v14, 0, v14, s[30:31]
	v_cndmask_b32_e32 v48, v15, v39, vcc
	v_mov_b32_e32 v15, 0x70
	v_cndmask_b32_e32 v49, v14, v15, vcc
	v_add_u32_e32 v14, 21, v49
	v_or_b32_e32 v38, 0x800000, v12
	v_lshlrev_b64 v[14:15], v14, -1
	v_cndmask_b32_e32 v12, v38, v12, vcc
	v_not_b32_e32 v15, v15
	v_not_b32_e32 v14, v14
	v_add_u32_e32 v38, 20, v49
	v_and_b32_e32 v15, 0, v15
	v_and_b32_e32 v14, v12, v14
	v_lshlrev_b64 v[38:39], v38, 1
	v_lshrrev_b64 v[12:13], v49, v[12:13]
	v_cmp_eq_u64_e32 vcc, v[14:15], v[38:39]
	v_lshrrev_b32_e32 v14, 23, v12
	v_add3_u32 v38, v49, v48, v14
	v_bfe_u32 v14, v12, 21, 1
	v_add_u32_e32 v14, -1, v14
	v_cndmask_b32_e32 v14, 0, v14, vcc
	v_add_u32_e32 v14, v14, v12
	v_and_b32_e32 v14, 0x1fffff, v14
	v_add_co_u32_e32 v12, vcc, v14, v12
	v_add_u32_e32 v15, 14, v38
	v_addc_co_u32_e32 v13, vcc, 0, v13, vcc
	v_cmp_ne_u32_e32 vcc, 0, v15
                                        ; implicit-def: $vgpr14
	s_and_saveexec_b64 s[30:31], vcc
	s_xor_b64 s[30:31], exec, s[30:31]
; %bb.2188:                             ;   in Loop: Header=BB6_1188 Depth=4
	v_add_u32_e32 v14, 15, v38
	v_cmp_lt_u64_e32 vcc, s[56:57], v[12:13]
	v_cndmask_b32_e32 v14, v15, v14, vcc
	v_cndmask_b32_e64 v15, 0, 1, vcc
	v_lshrrev_b64 v[12:13], v15, v[12:13]
; %bb.2189:                             ;   in Loop: Header=BB6_1188 Depth=4
	s_andn2_saveexec_b64 vcc, s[30:31]
; %bb.2190:                             ;   in Loop: Header=BB6_1188 Depth=4
	v_bfe_u32 v14, v12, 23, 1
; %bb.2191:                             ;   in Loop: Header=BB6_1188 Depth=4
	s_or_b64 exec, exec, vcc
	v_lshrrev_b64 v[12:13], 21, v[12:13]
	v_cmp_gt_i32_e32 vcc, 32, v14
	v_cndmask_b32_e32 v13, 0, v13, vcc
	v_cndmask_b32_e32 v12, 3, v12, vcc
	v_cmp_eq_u64_e64 s[30:31], 0, v[12:13]
	v_min_i32_e32 v13, 31, v14
	v_cmp_eq_u32_e32 vcc, 0, v14
	v_lshlrev_b32_e32 v13, 2, v13
	v_and_or_b32 v12, v12, 3, v13
	s_and_b64 vcc, vcc, s[30:31]
	v_cndmask_b32_e64 v12, v12, 0, vcc
	v_or_b32_e32 v38, v12, v7
.LBB6_2192:                             ;   in Loop: Header=BB6_1188 Depth=4
	s_or_b64 exec, exec, s[72:73]
.LBB6_2193:                             ;   in Loop: Header=BB6_1188 Depth=4
	s_or_b64 exec, exec, s[70:71]
                                        ; implicit-def: $vgpr14
                                        ; implicit-def: $vgpr12_vgpr13
.LBB6_2194:                             ;   in Loop: Header=BB6_1188 Depth=4
	s_andn2_saveexec_b64 s[30:31], s[68:69]
; %bb.2195:                             ;   in Loop: Header=BB6_1188 Depth=4
	v_or_b32_sdwa v7, v14, s39 dst_sel:DWORD dst_unused:UNUSED_PAD src0_sel:BYTE_3 src1_sel:DWORD
	v_cmp_eq_u64_e32 vcc, 0, v[12:13]
	v_cndmask_b32_e32 v38, v7, v38, vcc
; %bb.2196:                             ;   in Loop: Header=BB6_1188 Depth=4
	s_or_b64 exec, exec, s[30:31]
	v_lshrrev_b16_e32 v14, 8, v50
	v_lshrrev_b16_e32 v12, 8, v6
	s_and_b64 vcc, exec, s[28:29]
	v_cmp_ne_u16_e64 s[30:31], 0, v14
	s_cbranch_vccnz .LBB6_2214
; %bb.2197:                             ;   in Loop: Header=BB6_1188 Depth=4
	v_mov_b32_e32 v13, 0
	v_mov_b32_e32 v7, 0
	s_and_saveexec_b64 s[68:69], s[30:31]
	s_cbranch_execz .LBB6_2205
; %bb.2198:                             ;   in Loop: Header=BB6_1188 Depth=4
	v_cmp_ne_u16_e32 vcc, s97, v14
	v_bfrev_b32_e32 v7, 1
	s_and_saveexec_b64 s[70:71], vcc
	s_cbranch_execz .LBB6_2204
; %bb.2199:                             ;   in Loop: Header=BB6_1188 Depth=4
	v_and_b32_e32 v7, 0x7c, v14
	v_and_b32_e32 v39, 3, v14
	v_cmp_ne_u32_e32 vcc, s95, v7
                                        ; implicit-def: $vgpr7
	s_and_saveexec_b64 s[72:73], vcc
	s_xor_b64 s[72:73], exec, s[72:73]
	s_cbranch_execz .LBB6_2201
; %bb.2200:                             ;   in Loop: Header=BB6_1188 Depth=4
	v_ffbh_u32_e32 v48, v39
	v_min_u32_e32 v52, 32, v48
	v_mov_b32_e32 v15, v51
	v_subrev_u32_e32 v48, 29, v52
	v_bfe_u32 v7, v14, 2, 5
	v_lshlrev_b64 v[48:49], v48, v[14:15]
	v_sub_u32_e32 v15, 30, v52
	v_and_b32_e32 v48, 3, v48
	v_cmp_eq_u32_e32 vcc, 0, v7
	v_cndmask_b32_e32 v7, v7, v15, vcc
	v_cndmask_b32_e32 v15, v39, v48, vcc
	v_bfrev_b32_e32 v48, 28
	v_lshlrev_b32_e32 v39, 16, v50
	v_lshl_add_u32 v7, v7, 23, v48
	v_and_or_b32 v7, v39, s96, v7
	v_lshl_or_b32 v7, v15, 21, v7
                                        ; implicit-def: $vgpr39
.LBB6_2201:                             ;   in Loop: Header=BB6_1188 Depth=4
	s_andn2_saveexec_b64 s[72:73], s[72:73]
; %bb.2202:                             ;   in Loop: Header=BB6_1188 Depth=4
	v_cmp_lt_i16_e32 vcc, -1, v50
	v_mov_b32_e32 v7, 0xc7600000
	v_mov_b32_e32 v15, 0x47600000
	v_cndmask_b32_e32 v7, v7, v15, vcc
	v_cmp_eq_u32_e32 vcc, 0, v39
	v_mov_b32_e32 v15, 0x7f800001
	v_cndmask_b32_e32 v7, v15, v7, vcc
; %bb.2203:                             ;   in Loop: Header=BB6_1188 Depth=4
	s_or_b64 exec, exec, s[72:73]
.LBB6_2204:                             ;   in Loop: Header=BB6_1188 Depth=4
	s_or_b64 exec, exec, s[70:71]
.LBB6_2205:                             ;   in Loop: Header=BB6_1188 Depth=4
	s_or_b64 exec, exec, s[68:69]
	v_cmp_ne_u16_e32 vcc, 0, v12
	s_and_saveexec_b64 s[68:69], vcc
	s_cbranch_execz .LBB6_2213
; %bb.2206:                             ;   in Loop: Header=BB6_1188 Depth=4
	v_cmp_ne_u16_e32 vcc, s97, v12
	v_bfrev_b32_e32 v13, 1
	s_and_saveexec_b64 s[70:71], vcc
	s_cbranch_execz .LBB6_2212
; %bb.2207:                             ;   in Loop: Header=BB6_1188 Depth=4
	v_and_b32_e32 v13, 0x7c, v12
	v_and_b32_e32 v15, 3, v12
	v_cmp_ne_u32_e32 vcc, s95, v13
                                        ; implicit-def: $vgpr13
	s_and_saveexec_b64 s[72:73], vcc
	s_xor_b64 s[72:73], exec, s[72:73]
	s_cbranch_execz .LBB6_2209
; %bb.2208:                             ;   in Loop: Header=BB6_1188 Depth=4
	v_ffbh_u32_e32 v48, v15
	v_min_u32_e32 v52, 32, v48
	v_mov_b32_e32 v13, v51
	v_subrev_u32_e32 v48, 29, v52
	v_bfe_u32 v39, v12, 2, 5
	v_lshlrev_b64 v[48:49], v48, v[12:13]
	v_sub_u32_e32 v13, 30, v52
	v_and_b32_e32 v48, 3, v48
	v_cmp_eq_u32_e32 vcc, 0, v39
	v_cndmask_b32_e32 v13, v39, v13, vcc
	v_cndmask_b32_e32 v15, v15, v48, vcc
	v_bfrev_b32_e32 v48, 28
	v_lshlrev_b32_e32 v39, 16, v6
	v_lshl_add_u32 v13, v13, 23, v48
	v_and_or_b32 v13, v39, s96, v13
	v_lshl_or_b32 v13, v15, 21, v13
                                        ; implicit-def: $vgpr15
.LBB6_2209:                             ;   in Loop: Header=BB6_1188 Depth=4
	s_andn2_saveexec_b64 s[72:73], s[72:73]
; %bb.2210:                             ;   in Loop: Header=BB6_1188 Depth=4
	v_cmp_lt_i16_e32 vcc, -1, v6
	v_mov_b32_e32 v13, 0xc7600000
	v_mov_b32_e32 v39, 0x47600000
	v_cndmask_b32_e32 v13, v13, v39, vcc
	v_cmp_eq_u32_e32 vcc, 0, v15
	v_mov_b32_e32 v15, 0x7f800001
	v_cndmask_b32_e32 v13, v15, v13, vcc
; %bb.2211:                             ;   in Loop: Header=BB6_1188 Depth=4
	s_or_b64 exec, exec, s[72:73]
.LBB6_2212:                             ;   in Loop: Header=BB6_1188 Depth=4
	s_or_b64 exec, exec, s[70:71]
.LBB6_2213:                             ;   in Loop: Header=BB6_1188 Depth=4
	s_or_b64 exec, exec, s[68:69]
	v_max_f32_e32 v13, v13, v13
	v_max_f32_e32 v7, v7, v7
	;; [unrolled: 1-line block ×3, first 2 shown]
	s_branch .LBB6_2232
.LBB6_2214:                             ;   in Loop: Header=BB6_1188 Depth=4
                                        ; implicit-def: $vgpr7
	s_cbranch_execz .LBB6_2232
; %bb.2215:                             ;   in Loop: Header=BB6_1188 Depth=4
	v_mov_b32_e32 v13, 0
	v_mov_b32_e32 v15, 0
	s_and_saveexec_b64 s[68:69], s[30:31]
	s_cbranch_execz .LBB6_2223
; %bb.2216:                             ;   in Loop: Header=BB6_1188 Depth=4
	v_cmp_ne_u16_e32 vcc, s97, v14
	v_bfrev_b32_e32 v15, 1
	s_and_saveexec_b64 s[30:31], vcc
	s_cbranch_execz .LBB6_2222
; %bb.2217:                             ;   in Loop: Header=BB6_1188 Depth=4
	v_and_b32_e32 v15, 0x7c, v14
	v_and_b32_e32 v7, 3, v14
	v_cmp_ne_u32_e32 vcc, s95, v15
                                        ; implicit-def: $vgpr15
	s_and_saveexec_b64 s[70:71], vcc
	s_xor_b64 s[70:71], exec, s[70:71]
	s_cbranch_execz .LBB6_2219
; %bb.2218:                             ;   in Loop: Header=BB6_1188 Depth=4
	v_ffbh_u32_e32 v48, v7
	v_min_u32_e32 v48, 32, v48
	v_mov_b32_e32 v15, v51
	v_subrev_u32_e32 v49, 29, v48
	v_bfe_u32 v39, v14, 2, 5
	v_lshlrev_b64 v[14:15], v49, v[14:15]
	v_sub_u32_e32 v15, 30, v48
	v_cmp_eq_u32_e32 vcc, 0, v39
	v_and_b32_e32 v14, 3, v14
	v_cndmask_b32_e32 v15, v39, v15, vcc
	v_bfrev_b32_e32 v39, 28
	v_cndmask_b32_e32 v7, v7, v14, vcc
	v_lshlrev_b32_e32 v14, 16, v50
	v_lshl_add_u32 v15, v15, 23, v39
	v_and_or_b32 v14, v14, s96, v15
	v_lshl_or_b32 v15, v7, 21, v14
                                        ; implicit-def: $vgpr7
.LBB6_2219:                             ;   in Loop: Header=BB6_1188 Depth=4
	s_andn2_saveexec_b64 s[70:71], s[70:71]
; %bb.2220:                             ;   in Loop: Header=BB6_1188 Depth=4
	v_cmp_lt_i16_e32 vcc, -1, v50
	v_mov_b32_e32 v14, 0xc7600000
	v_mov_b32_e32 v15, 0x47600000
	v_cndmask_b32_e32 v14, v14, v15, vcc
	v_cmp_eq_u32_e32 vcc, 0, v7
	v_mov_b32_e32 v7, 0x7f800001
	v_cndmask_b32_e32 v15, v7, v14, vcc
; %bb.2221:                             ;   in Loop: Header=BB6_1188 Depth=4
	s_or_b64 exec, exec, s[70:71]
.LBB6_2222:                             ;   in Loop: Header=BB6_1188 Depth=4
	s_or_b64 exec, exec, s[30:31]
.LBB6_2223:                             ;   in Loop: Header=BB6_1188 Depth=4
	s_or_b64 exec, exec, s[68:69]
	v_cmp_ne_u16_e32 vcc, 0, v12
	s_and_saveexec_b64 s[30:31], vcc
	s_cbranch_execz .LBB6_2231
; %bb.2224:                             ;   in Loop: Header=BB6_1188 Depth=4
	v_cmp_ne_u16_e32 vcc, s97, v12
	v_bfrev_b32_e32 v13, 1
	s_and_saveexec_b64 s[68:69], vcc
	s_cbranch_execz .LBB6_2230
; %bb.2225:                             ;   in Loop: Header=BB6_1188 Depth=4
	v_and_b32_e32 v7, 0x7c, v12
	v_and_b32_e32 v14, 3, v12
	v_cmp_ne_u32_e32 vcc, s95, v7
                                        ; implicit-def: $vgpr13
	s_and_saveexec_b64 s[70:71], vcc
	s_xor_b64 s[70:71], exec, s[70:71]
	s_cbranch_execz .LBB6_2227
; %bb.2226:                             ;   in Loop: Header=BB6_1188 Depth=4
	v_ffbh_u32_e32 v39, v14
	v_min_u32_e32 v39, 32, v39
	v_mov_b32_e32 v13, v51
	v_subrev_u32_e32 v48, 29, v39
	v_bfe_u32 v7, v12, 2, 5
	v_lshlrev_b64 v[12:13], v48, v[12:13]
	v_sub_u32_e32 v13, 30, v39
	v_cmp_eq_u32_e32 vcc, 0, v7
	v_cndmask_b32_e32 v7, v7, v13, vcc
	v_bfrev_b32_e32 v13, 28
	v_and_b32_e32 v12, 3, v12
	v_lshlrev_b32_e32 v6, 16, v6
	v_lshl_add_u32 v7, v7, 23, v13
	v_cndmask_b32_e32 v12, v14, v12, vcc
	v_and_or_b32 v6, v6, s96, v7
	v_lshl_or_b32 v13, v12, 21, v6
                                        ; implicit-def: $vgpr14
                                        ; implicit-def: $vgpr6_vgpr7
.LBB6_2227:                             ;   in Loop: Header=BB6_1188 Depth=4
	s_andn2_saveexec_b64 s[70:71], s[70:71]
; %bb.2228:                             ;   in Loop: Header=BB6_1188 Depth=4
	v_cmp_lt_i16_e32 vcc, -1, v6
	v_mov_b32_e32 v6, 0xc7600000
	v_mov_b32_e32 v7, 0x47600000
	v_cndmask_b32_e32 v6, v6, v7, vcc
	v_cmp_eq_u32_e32 vcc, 0, v14
	v_mov_b32_e32 v7, 0x7f800001
	v_cndmask_b32_e32 v13, v7, v6, vcc
; %bb.2229:                             ;   in Loop: Header=BB6_1188 Depth=4
	s_or_b64 exec, exec, s[70:71]
.LBB6_2230:                             ;   in Loop: Header=BB6_1188 Depth=4
	s_or_b64 exec, exec, s[68:69]
.LBB6_2231:                             ;   in Loop: Header=BB6_1188 Depth=4
	s_or_b64 exec, exec, s[30:31]
	v_max_f32_e32 v6, v13, v13
	v_max_f32_e32 v7, v15, v15
	v_min_f32_e32 v7, v7, v6
.LBB6_2232:                             ;   in Loop: Header=BB6_1188 Depth=4
	v_and_b32_sdwa v12, v7, s97 dst_sel:DWORD dst_unused:UNUSED_PAD src0_sel:BYTE_3 src1_sel:DWORD
	v_and_b32_e32 v14, 0x7f800000, v7
	v_mov_b32_e32 v15, v51
	v_and_b32_e32 v50, 0x7fffff, v7
	v_or_b32_e32 v13, 0x7b, v12
	v_cmp_ne_u64_e32 vcc, s[52:53], v[14:15]
	s_and_saveexec_b64 s[30:31], vcc
	s_xor_b64 s[68:69], exec, s[30:31]
	s_cbranch_execz .LBB6_2242
; %bb.2233:                             ;   in Loop: Header=BB6_1188 Depth=4
	v_and_b32_e32 v14, 0x7fffffff, v7
	v_mov_b32_e32 v15, v51
	v_cmp_gt_u64_e32 vcc, s[54:55], v[14:15]
	s_and_saveexec_b64 s[70:71], vcc
	s_cbranch_execz .LBB6_2241
; %bb.2234:                             ;   in Loop: Header=BB6_1188 Depth=4
	v_cmp_ne_u32_e32 vcc, 0, v7
	v_mov_b32_e32 v13, 0
	s_and_saveexec_b64 s[72:73], vcc
	s_cbranch_execz .LBB6_2240
; %bb.2235:                             ;   in Loop: Header=BB6_1188 Depth=4
	v_bfe_u32 v6, v7, 23, 8
	v_cmp_eq_u32_e32 vcc, 0, v6
	v_add_u32_e32 v7, 0xffffff81, v6
	v_cmp_gt_u32_e64 s[30:31], s38, v6
	v_sub_u32_e32 v6, 0x71, v6
	v_mov_b32_e32 v14, 0xffffff82
	v_cndmask_b32_e64 v6, 0, v6, s[30:31]
	v_cndmask_b32_e32 v39, v7, v14, vcc
	v_mov_b32_e32 v7, 0x70
	v_cndmask_b32_e32 v48, v6, v7, vcc
	v_add_u32_e32 v6, 21, v48
	v_or_b32_e32 v13, 0x800000, v50
	v_lshlrev_b64 v[6:7], v6, -1
	v_cndmask_b32_e32 v50, v13, v50, vcc
	v_not_b32_e32 v7, v7
	v_not_b32_e32 v6, v6
	v_add_u32_e32 v13, 20, v48
	v_and_b32_e32 v7, 0, v7
	v_and_b32_e32 v6, v50, v6
	v_lshlrev_b64 v[14:15], v13, 1
	v_cmp_eq_u64_e32 vcc, v[6:7], v[14:15]
	v_lshrrev_b64 v[6:7], v48, v[50:51]
	v_lshrrev_b32_e32 v13, 23, v6
	v_add3_u32 v15, v48, v39, v13
	v_bfe_u32 v13, v6, 21, 1
	v_add_u32_e32 v13, -1, v13
	v_cndmask_b32_e32 v13, 0, v13, vcc
	v_add_u32_e32 v13, v13, v6
	v_and_b32_e32 v13, 0x1fffff, v13
	v_add_co_u32_e32 v6, vcc, v13, v6
	v_add_u32_e32 v14, 14, v15
	v_addc_co_u32_e32 v7, vcc, 0, v7, vcc
	v_cmp_ne_u32_e32 vcc, 0, v14
                                        ; implicit-def: $vgpr13
	s_and_saveexec_b64 s[30:31], vcc
	s_xor_b64 s[30:31], exec, s[30:31]
; %bb.2236:                             ;   in Loop: Header=BB6_1188 Depth=4
	v_add_u32_e32 v13, 15, v15
	v_cmp_lt_u64_e32 vcc, s[56:57], v[6:7]
	v_cndmask_b32_e32 v13, v14, v13, vcc
	v_cndmask_b32_e64 v14, 0, 1, vcc
	v_lshrrev_b64 v[6:7], v14, v[6:7]
; %bb.2237:                             ;   in Loop: Header=BB6_1188 Depth=4
	s_andn2_saveexec_b64 vcc, s[30:31]
; %bb.2238:                             ;   in Loop: Header=BB6_1188 Depth=4
	v_bfe_u32 v13, v6, 23, 1
; %bb.2239:                             ;   in Loop: Header=BB6_1188 Depth=4
	s_or_b64 exec, exec, vcc
	v_lshrrev_b64 v[6:7], 21, v[6:7]
	v_cmp_gt_i32_e32 vcc, 32, v13
	v_cndmask_b32_e32 v7, 0, v7, vcc
	v_cndmask_b32_e32 v6, 3, v6, vcc
	v_cmp_eq_u64_e64 s[30:31], 0, v[6:7]
	v_min_i32_e32 v7, 31, v13
	v_cmp_eq_u32_e32 vcc, 0, v13
	v_lshlrev_b32_e32 v7, 2, v7
	v_and_or_b32 v6, v6, 3, v7
	s_and_b64 vcc, vcc, s[30:31]
	v_cndmask_b32_e64 v6, v6, 0, vcc
	v_or_b32_e32 v13, v6, v12
.LBB6_2240:                             ;   in Loop: Header=BB6_1188 Depth=4
	s_or_b64 exec, exec, s[72:73]
.LBB6_2241:                             ;   in Loop: Header=BB6_1188 Depth=4
	s_or_b64 exec, exec, s[70:71]
                                        ; implicit-def: $vgpr7
.LBB6_2242:                             ;   in Loop: Header=BB6_1188 Depth=4
	s_andn2_saveexec_b64 s[30:31], s[68:69]
; %bb.2243:                             ;   in Loop: Header=BB6_1188 Depth=4
	v_or_b32_sdwa v6, v7, s39 dst_sel:DWORD dst_unused:UNUSED_PAD src0_sel:BYTE_3 src1_sel:DWORD
	v_cmp_eq_u64_e32 vcc, 0, v[50:51]
	v_cndmask_b32_e32 v13, v6, v13, vcc
; %bb.2244:                             ;   in Loop: Header=BB6_1188 Depth=4
	s_or_b64 exec, exec, s[30:31]
	v_lshrrev_b32_e32 v12, 16, v1
	v_lshrrev_b32_e32 v6, 16, v9
	s_and_b64 vcc, exec, s[28:29]
	v_cmp_ne_u16_sdwa s[30:31], v12, v51 src0_sel:BYTE_0 src1_sel:DWORD
	s_cbranch_vccnz .LBB6_2262
; %bb.2245:                             ;   in Loop: Header=BB6_1188 Depth=4
	v_mov_b32_e32 v14, 0
	v_mov_b32_e32 v7, 0
	s_and_saveexec_b64 s[68:69], s[30:31]
	s_cbranch_execz .LBB6_2253
; %bb.2246:                             ;   in Loop: Header=BB6_1188 Depth=4
	v_cmp_ne_u16_sdwa vcc, v12, s97 src0_sel:BYTE_0 src1_sel:DWORD
	v_bfrev_b32_e32 v7, 1
	s_and_saveexec_b64 s[70:71], vcc
	s_cbranch_execz .LBB6_2252
; %bb.2247:                             ;   in Loop: Header=BB6_1188 Depth=4
	v_and_b32_e32 v7, 0x7c0000, v1
	v_bfe_u32 v15, v1, 16, 2
	v_cmp_ne_u32_e32 vcc, s36, v7
                                        ; implicit-def: $vgpr7
	s_and_saveexec_b64 s[72:73], vcc
	s_xor_b64 s[72:73], exec, s[72:73]
	s_cbranch_execz .LBB6_2249
; %bb.2248:                             ;   in Loop: Header=BB6_1188 Depth=4
	v_ffbh_u32_e32 v39, v15
	v_min_u32_e32 v39, 32, v39
	v_subrev_u32_e32 v48, 29, v39
	v_bfe_u32 v7, v1, 18, 5
	v_lshlrev_b64 v[48:49], v48, v[12:13]
	v_sub_u32_e32 v39, 30, v39
	v_and_b32_e32 v48, 3, v48
	v_cmp_eq_u32_e32 vcc, 0, v7
	v_cndmask_b32_e32 v7, v7, v39, vcc
	v_cndmask_b32_e32 v15, v15, v48, vcc
	v_bfrev_b32_e32 v48, 28
	v_lshlrev_b32_e32 v39, 24, v12
	v_lshl_add_u32 v7, v7, 23, v48
	v_and_or_b32 v7, v39, s96, v7
	v_lshl_or_b32 v7, v15, 21, v7
                                        ; implicit-def: $vgpr15
.LBB6_2249:                             ;   in Loop: Header=BB6_1188 Depth=4
	s_andn2_saveexec_b64 s[72:73], s[72:73]
; %bb.2250:                             ;   in Loop: Header=BB6_1188 Depth=4
	v_mov_b32_e32 v7, -1
	v_cmp_gt_i16_sdwa vcc, sext(v12), v7 src0_sel:BYTE_0 src1_sel:DWORD
	v_mov_b32_e32 v7, 0xc7600000
	v_mov_b32_e32 v39, 0x47600000
	v_cndmask_b32_e32 v7, v7, v39, vcc
	v_cmp_eq_u32_e32 vcc, 0, v15
	v_mov_b32_e32 v15, 0x7f800001
	v_cndmask_b32_e32 v7, v15, v7, vcc
; %bb.2251:                             ;   in Loop: Header=BB6_1188 Depth=4
	s_or_b64 exec, exec, s[72:73]
.LBB6_2252:                             ;   in Loop: Header=BB6_1188 Depth=4
	s_or_b64 exec, exec, s[70:71]
.LBB6_2253:                             ;   in Loop: Header=BB6_1188 Depth=4
	s_or_b64 exec, exec, s[68:69]
	v_cmp_ne_u16_sdwa vcc, v6, v51 src0_sel:BYTE_0 src1_sel:DWORD
	s_and_saveexec_b64 s[68:69], vcc
	s_cbranch_execz .LBB6_2261
; %bb.2254:                             ;   in Loop: Header=BB6_1188 Depth=4
	v_cmp_ne_u16_sdwa vcc, v6, s97 src0_sel:BYTE_0 src1_sel:DWORD
	v_bfrev_b32_e32 v14, 1
	s_and_saveexec_b64 s[70:71], vcc
	s_cbranch_execz .LBB6_2260
; %bb.2255:                             ;   in Loop: Header=BB6_1188 Depth=4
	v_and_b32_e32 v14, 0x7c0000, v9
	v_bfe_u32 v15, v9, 16, 2
	v_cmp_ne_u32_e32 vcc, s36, v14
                                        ; implicit-def: $vgpr14
	s_and_saveexec_b64 s[72:73], vcc
	s_xor_b64 s[72:73], exec, s[72:73]
	s_cbranch_execz .LBB6_2257
; %bb.2256:                             ;   in Loop: Header=BB6_1188 Depth=4
	v_ffbh_u32_e32 v39, v15
	v_min_u32_e32 v39, 32, v39
	v_subrev_u32_e32 v48, 29, v39
	v_bfe_u32 v14, v9, 18, 5
	v_lshlrev_b64 v[48:49], v48, v[6:7]
	v_sub_u32_e32 v39, 30, v39
	v_and_b32_e32 v48, 3, v48
	v_cmp_eq_u32_e32 vcc, 0, v14
	v_cndmask_b32_e32 v14, v14, v39, vcc
	v_cndmask_b32_e32 v15, v15, v48, vcc
	v_bfrev_b32_e32 v48, 28
	v_lshlrev_b32_e32 v39, 24, v6
	v_lshl_add_u32 v14, v14, 23, v48
	v_and_or_b32 v14, v39, s96, v14
	v_lshl_or_b32 v14, v15, 21, v14
                                        ; implicit-def: $vgpr15
.LBB6_2257:                             ;   in Loop: Header=BB6_1188 Depth=4
	s_andn2_saveexec_b64 s[72:73], s[72:73]
; %bb.2258:                             ;   in Loop: Header=BB6_1188 Depth=4
	v_mov_b32_e32 v14, -1
	v_cmp_gt_i16_sdwa vcc, sext(v6), v14 src0_sel:BYTE_0 src1_sel:DWORD
	v_mov_b32_e32 v14, 0xc7600000
	v_mov_b32_e32 v39, 0x47600000
	v_cndmask_b32_e32 v14, v14, v39, vcc
	v_cmp_eq_u32_e32 vcc, 0, v15
	v_mov_b32_e32 v15, 0x7f800001
	v_cndmask_b32_e32 v14, v15, v14, vcc
; %bb.2259:                             ;   in Loop: Header=BB6_1188 Depth=4
	s_or_b64 exec, exec, s[72:73]
.LBB6_2260:                             ;   in Loop: Header=BB6_1188 Depth=4
	s_or_b64 exec, exec, s[70:71]
.LBB6_2261:                             ;   in Loop: Header=BB6_1188 Depth=4
	s_or_b64 exec, exec, s[68:69]
	v_max_f32_e32 v14, v14, v14
	v_max_f32_e32 v7, v7, v7
	v_max_f32_e32 v7, v7, v14
	s_branch .LBB6_2280
.LBB6_2262:                             ;   in Loop: Header=BB6_1188 Depth=4
                                        ; implicit-def: $vgpr7
	s_cbranch_execz .LBB6_2280
; %bb.2263:                             ;   in Loop: Header=BB6_1188 Depth=4
	v_mov_b32_e32 v14, 0
	v_mov_b32_e32 v7, 0
	s_and_saveexec_b64 s[68:69], s[30:31]
	s_cbranch_execz .LBB6_2271
; %bb.2264:                             ;   in Loop: Header=BB6_1188 Depth=4
	v_cmp_ne_u16_sdwa vcc, v12, s97 src0_sel:BYTE_0 src1_sel:DWORD
	v_bfrev_b32_e32 v7, 1
	s_and_saveexec_b64 s[30:31], vcc
	s_cbranch_execz .LBB6_2270
; %bb.2265:                             ;   in Loop: Header=BB6_1188 Depth=4
	v_and_b32_e32 v7, 0x7c0000, v1
	v_bfe_u32 v15, v1, 16, 2
	v_cmp_ne_u32_e32 vcc, s36, v7
                                        ; implicit-def: $vgpr7
	s_and_saveexec_b64 s[70:71], vcc
	s_xor_b64 s[70:71], exec, s[70:71]
	s_cbranch_execz .LBB6_2267
; %bb.2266:                             ;   in Loop: Header=BB6_1188 Depth=4
	v_ffbh_u32_e32 v39, v15
	v_bfe_u32 v7, v1, 18, 5
	v_min_u32_e32 v39, 32, v39
	v_subrev_u32_e32 v48, 29, v39
	v_sub_u32_e32 v39, 30, v39
	v_cmp_eq_u32_e32 vcc, 0, v7
	v_lshlrev_b64 v[48:49], v48, v[12:13]
	v_cndmask_b32_e32 v7, v7, v39, vcc
	v_bfrev_b32_e32 v39, 28
	v_and_b32_e32 v48, 3, v48
	v_lshlrev_b32_e32 v12, 24, v12
	v_lshl_add_u32 v7, v7, 23, v39
	v_cndmask_b32_e32 v15, v15, v48, vcc
	v_and_or_b32 v7, v12, s96, v7
	v_lshl_or_b32 v7, v15, 21, v7
                                        ; implicit-def: $vgpr15
                                        ; implicit-def: $vgpr12
.LBB6_2267:                             ;   in Loop: Header=BB6_1188 Depth=4
	s_andn2_saveexec_b64 s[70:71], s[70:71]
; %bb.2268:                             ;   in Loop: Header=BB6_1188 Depth=4
	v_mov_b32_e32 v7, -1
	v_cmp_gt_i16_sdwa vcc, sext(v12), v7 src0_sel:BYTE_0 src1_sel:DWORD
	v_mov_b32_e32 v7, 0xc7600000
	v_mov_b32_e32 v12, 0x47600000
	v_cndmask_b32_e32 v7, v7, v12, vcc
	v_cmp_eq_u32_e32 vcc, 0, v15
	v_mov_b32_e32 v12, 0x7f800001
	v_cndmask_b32_e32 v7, v12, v7, vcc
; %bb.2269:                             ;   in Loop: Header=BB6_1188 Depth=4
	s_or_b64 exec, exec, s[70:71]
.LBB6_2270:                             ;   in Loop: Header=BB6_1188 Depth=4
	s_or_b64 exec, exec, s[30:31]
.LBB6_2271:                             ;   in Loop: Header=BB6_1188 Depth=4
	s_or_b64 exec, exec, s[68:69]
	v_cmp_ne_u16_sdwa vcc, v6, v51 src0_sel:BYTE_0 src1_sel:DWORD
	s_and_saveexec_b64 s[30:31], vcc
	s_cbranch_execz .LBB6_2279
; %bb.2272:                             ;   in Loop: Header=BB6_1188 Depth=4
	v_cmp_ne_u16_sdwa vcc, v6, s97 src0_sel:BYTE_0 src1_sel:DWORD
	v_bfrev_b32_e32 v14, 1
	s_and_saveexec_b64 s[68:69], vcc
	s_cbranch_execz .LBB6_2278
; %bb.2273:                             ;   in Loop: Header=BB6_1188 Depth=4
	v_and_b32_e32 v14, 0x7c0000, v9
	v_bfe_u32 v12, v9, 16, 2
	v_cmp_ne_u32_e32 vcc, s36, v14
                                        ; implicit-def: $vgpr14
	s_and_saveexec_b64 s[70:71], vcc
	s_xor_b64 s[70:71], exec, s[70:71]
	s_cbranch_execz .LBB6_2275
; %bb.2274:                             ;   in Loop: Header=BB6_1188 Depth=4
	v_ffbh_u32_e32 v14, v12
	v_min_u32_e32 v48, 32, v14
	v_subrev_u32_e32 v14, 29, v48
	v_bfe_u32 v39, v9, 18, 5
	v_lshlrev_b64 v[14:15], v14, v[6:7]
	v_sub_u32_e32 v15, 30, v48
	v_and_b32_e32 v14, 3, v14
	v_cmp_eq_u32_e32 vcc, 0, v39
	v_cndmask_b32_e32 v15, v39, v15, vcc
	v_cndmask_b32_e32 v12, v12, v14, vcc
	v_bfrev_b32_e32 v14, 28
	v_lshlrev_b32_e32 v6, 24, v6
	v_lshl_add_u32 v14, v15, 23, v14
	v_and_or_b32 v6, v6, s96, v14
	v_lshl_or_b32 v14, v12, 21, v6
                                        ; implicit-def: $vgpr12
                                        ; implicit-def: $vgpr6
.LBB6_2275:                             ;   in Loop: Header=BB6_1188 Depth=4
	s_andn2_saveexec_b64 s[70:71], s[70:71]
; %bb.2276:                             ;   in Loop: Header=BB6_1188 Depth=4
	v_mov_b32_e32 v14, -1
	v_cmp_gt_i16_sdwa vcc, sext(v6), v14 src0_sel:BYTE_0 src1_sel:DWORD
	v_mov_b32_e32 v6, 0xc7600000
	v_mov_b32_e32 v14, 0x47600000
	v_cndmask_b32_e32 v6, v6, v14, vcc
	v_cmp_eq_u32_e32 vcc, 0, v12
	v_mov_b32_e32 v12, 0x7f800001
	v_cndmask_b32_e32 v14, v12, v6, vcc
; %bb.2277:                             ;   in Loop: Header=BB6_1188 Depth=4
	s_or_b64 exec, exec, s[70:71]
.LBB6_2278:                             ;   in Loop: Header=BB6_1188 Depth=4
	s_or_b64 exec, exec, s[68:69]
.LBB6_2279:                             ;   in Loop: Header=BB6_1188 Depth=4
	s_or_b64 exec, exec, s[30:31]
	v_max_f32_e32 v6, v14, v14
	v_max_f32_e32 v7, v7, v7
	v_min_f32_e32 v7, v7, v6
.LBB6_2280:                             ;   in Loop: Header=BB6_1188 Depth=4
	v_and_b32_sdwa v12, v7, s97 dst_sel:DWORD dst_unused:UNUSED_PAD src0_sel:BYTE_3 src1_sel:DWORD
	v_and_b32_e32 v48, 0x7f800000, v7
	v_mov_b32_e32 v49, v51
	v_and_b32_e32 v50, 0x7fffff, v7
	v_or_b32_e32 v14, 0x7b, v12
	v_cmp_ne_u64_e32 vcc, s[52:53], v[48:49]
	s_and_saveexec_b64 s[30:31], vcc
	s_xor_b64 s[68:69], exec, s[30:31]
	s_cbranch_execz .LBB6_2290
; %bb.2281:                             ;   in Loop: Header=BB6_1188 Depth=4
	v_and_b32_e32 v48, 0x7fffffff, v7
	v_mov_b32_e32 v49, v51
	v_cmp_gt_u64_e32 vcc, s[54:55], v[48:49]
	s_and_saveexec_b64 s[70:71], vcc
	s_cbranch_execz .LBB6_2289
; %bb.2282:                             ;   in Loop: Header=BB6_1188 Depth=4
	v_cmp_ne_u32_e32 vcc, 0, v7
	v_mov_b32_e32 v14, 0
	s_and_saveexec_b64 s[72:73], vcc
	s_cbranch_execz .LBB6_2288
; %bb.2283:                             ;   in Loop: Header=BB6_1188 Depth=4
	v_bfe_u32 v6, v7, 23, 8
	v_cmp_eq_u32_e32 vcc, 0, v6
	v_add_u32_e32 v7, 0xffffff81, v6
	v_cmp_gt_u32_e64 s[30:31], s38, v6
	v_sub_u32_e32 v6, 0x71, v6
	v_mov_b32_e32 v15, 0xffffff82
	v_cndmask_b32_e64 v6, 0, v6, s[30:31]
	v_cndmask_b32_e32 v39, v7, v15, vcc
	v_mov_b32_e32 v7, 0x70
	v_cndmask_b32_e32 v48, v6, v7, vcc
	v_add_u32_e32 v6, 21, v48
	v_or_b32_e32 v14, 0x800000, v50
	v_lshlrev_b64 v[6:7], v6, -1
	v_cndmask_b32_e32 v50, v14, v50, vcc
	v_not_b32_e32 v7, v7
	v_not_b32_e32 v6, v6
	v_add_u32_e32 v14, 20, v48
	v_and_b32_e32 v7, 0, v7
	v_and_b32_e32 v6, v50, v6
	v_lshlrev_b64 v[14:15], v14, 1
	v_cmp_eq_u64_e32 vcc, v[6:7], v[14:15]
	v_lshrrev_b64 v[6:7], v48, v[50:51]
	v_lshrrev_b32_e32 v14, 23, v6
	v_add3_u32 v39, v48, v39, v14
	v_bfe_u32 v14, v6, 21, 1
	v_add_u32_e32 v14, -1, v14
	v_cndmask_b32_e32 v14, 0, v14, vcc
	v_add_u32_e32 v14, v14, v6
	v_and_b32_e32 v14, 0x1fffff, v14
	v_add_co_u32_e32 v6, vcc, v14, v6
	v_add_u32_e32 v15, 14, v39
	v_addc_co_u32_e32 v7, vcc, 0, v7, vcc
	v_cmp_ne_u32_e32 vcc, 0, v15
                                        ; implicit-def: $vgpr14
	s_and_saveexec_b64 s[30:31], vcc
	s_xor_b64 s[30:31], exec, s[30:31]
; %bb.2284:                             ;   in Loop: Header=BB6_1188 Depth=4
	v_add_u32_e32 v14, 15, v39
	v_cmp_lt_u64_e32 vcc, s[56:57], v[6:7]
	v_cndmask_b32_e32 v14, v15, v14, vcc
	v_cndmask_b32_e64 v15, 0, 1, vcc
	v_lshrrev_b64 v[6:7], v15, v[6:7]
; %bb.2285:                             ;   in Loop: Header=BB6_1188 Depth=4
	s_andn2_saveexec_b64 vcc, s[30:31]
; %bb.2286:                             ;   in Loop: Header=BB6_1188 Depth=4
	v_bfe_u32 v14, v6, 23, 1
; %bb.2287:                             ;   in Loop: Header=BB6_1188 Depth=4
	s_or_b64 exec, exec, vcc
	v_lshrrev_b64 v[6:7], 21, v[6:7]
	v_cmp_gt_i32_e32 vcc, 32, v14
	v_cndmask_b32_e32 v7, 0, v7, vcc
	v_cndmask_b32_e32 v6, 3, v6, vcc
	v_cmp_eq_u64_e64 s[30:31], 0, v[6:7]
	v_min_i32_e32 v7, 31, v14
	v_cmp_eq_u32_e32 vcc, 0, v14
	v_lshlrev_b32_e32 v7, 2, v7
	v_and_or_b32 v6, v6, 3, v7
	s_and_b64 vcc, vcc, s[30:31]
	v_cndmask_b32_e64 v6, v6, 0, vcc
	v_or_b32_e32 v14, v6, v12
.LBB6_2288:                             ;   in Loop: Header=BB6_1188 Depth=4
	s_or_b64 exec, exec, s[72:73]
.LBB6_2289:                             ;   in Loop: Header=BB6_1188 Depth=4
	s_or_b64 exec, exec, s[70:71]
                                        ; implicit-def: $vgpr7
.LBB6_2290:                             ;   in Loop: Header=BB6_1188 Depth=4
	s_andn2_saveexec_b64 s[30:31], s[68:69]
; %bb.2291:                             ;   in Loop: Header=BB6_1188 Depth=4
	v_or_b32_sdwa v6, v7, s39 dst_sel:DWORD dst_unused:UNUSED_PAD src0_sel:BYTE_3 src1_sel:DWORD
	v_cmp_eq_u64_e32 vcc, 0, v[50:51]
	v_cndmask_b32_e32 v14, v6, v14, vcc
; %bb.2292:                             ;   in Loop: Header=BB6_1188 Depth=4
	s_or_b64 exec, exec, s[30:31]
	v_lshrrev_b32_e32 v12, 24, v1
	v_lshrrev_b32_e32 v6, 24, v9
	s_and_b64 vcc, exec, s[28:29]
	v_cmp_lt_u64_e64 s[30:31], s[42:43], v[0:1]
	s_cbranch_vccnz .LBB6_2310
; %bb.2293:                             ;   in Loop: Header=BB6_1188 Depth=4
	v_mov_b32_e32 v15, 0
	v_mov_b32_e32 v7, 0
	s_and_saveexec_b64 s[68:69], s[30:31]
	s_cbranch_execz .LBB6_2301
; %bb.2294:                             ;   in Loop: Header=BB6_1188 Depth=4
	v_cmp_ne_u32_e32 vcc, s97, v12
	v_bfrev_b32_e32 v7, 1
	s_and_saveexec_b64 s[70:71], vcc
	s_cbranch_execz .LBB6_2300
; %bb.2295:                             ;   in Loop: Header=BB6_1188 Depth=4
	v_and_b32_e32 v7, 0x7c000000, v1
	v_bfe_u32 v39, v1, 24, 2
	v_cmp_ne_u32_e32 vcc, s37, v7
                                        ; implicit-def: $vgpr7
	s_and_saveexec_b64 s[72:73], vcc
	s_xor_b64 s[72:73], exec, s[72:73]
	s_cbranch_execz .LBB6_2297
; %bb.2296:                             ;   in Loop: Header=BB6_1188 Depth=4
	v_ffbh_u32_e32 v48, v39
	v_min_u32_e32 v50, 32, v48
	v_subrev_u32_e32 v48, 29, v50
	v_bfe_u32 v7, v1, 26, 5
	v_lshlrev_b64 v[48:49], v48, v[12:13]
	v_sub_u32_e32 v49, 30, v50
	v_and_b32_e32 v48, 3, v48
	v_cmp_eq_u32_e32 vcc, 0, v7
	v_cndmask_b32_e32 v7, v7, v49, vcc
	v_cndmask_b32_e32 v39, v39, v48, vcc
	v_bfrev_b32_e32 v48, 28
	v_lshl_add_u32 v7, v7, 23, v48
	v_and_or_b32 v7, v1, s96, v7
	v_lshl_or_b32 v7, v39, 21, v7
                                        ; implicit-def: $vgpr39
.LBB6_2297:                             ;   in Loop: Header=BB6_1188 Depth=4
	s_andn2_saveexec_b64 s[72:73], s[72:73]
; %bb.2298:                             ;   in Loop: Header=BB6_1188 Depth=4
	v_cmp_lt_i64_e32 vcc, -1, v[0:1]
	v_mov_b32_e32 v7, 0xc7600000
	v_mov_b32_e32 v48, 0x47600000
	v_cndmask_b32_e32 v7, v7, v48, vcc
	v_cmp_eq_u32_e32 vcc, 0, v39
	v_mov_b32_e32 v39, 0x7f800001
	v_cndmask_b32_e32 v7, v39, v7, vcc
; %bb.2299:                             ;   in Loop: Header=BB6_1188 Depth=4
	s_or_b64 exec, exec, s[72:73]
.LBB6_2300:                             ;   in Loop: Header=BB6_1188 Depth=4
	s_or_b64 exec, exec, s[70:71]
.LBB6_2301:                             ;   in Loop: Header=BB6_1188 Depth=4
	s_or_b64 exec, exec, s[68:69]
	v_cmp_lt_u64_e32 vcc, s[42:43], v[8:9]
	s_and_saveexec_b64 s[68:69], vcc
	s_cbranch_execz .LBB6_2309
; %bb.2302:                             ;   in Loop: Header=BB6_1188 Depth=4
	v_cmp_ne_u32_e32 vcc, s97, v6
	v_bfrev_b32_e32 v15, 1
	s_and_saveexec_b64 s[70:71], vcc
	s_cbranch_execz .LBB6_2308
; %bb.2303:                             ;   in Loop: Header=BB6_1188 Depth=4
	v_and_b32_e32 v15, 0x7c000000, v9
	v_bfe_u32 v39, v9, 24, 2
	v_cmp_ne_u32_e32 vcc, s37, v15
                                        ; implicit-def: $vgpr15
	s_and_saveexec_b64 s[72:73], vcc
	s_xor_b64 s[72:73], exec, s[72:73]
	s_cbranch_execz .LBB6_2305
; %bb.2304:                             ;   in Loop: Header=BB6_1188 Depth=4
	v_ffbh_u32_e32 v48, v39
	v_min_u32_e32 v50, 32, v48
	v_subrev_u32_e32 v48, 29, v50
	v_bfe_u32 v15, v9, 26, 5
	v_lshlrev_b64 v[48:49], v48, v[6:7]
	v_sub_u32_e32 v49, 30, v50
	v_and_b32_e32 v48, 3, v48
	v_cmp_eq_u32_e32 vcc, 0, v15
	v_cndmask_b32_e32 v15, v15, v49, vcc
	v_cndmask_b32_e32 v39, v39, v48, vcc
	v_bfrev_b32_e32 v48, 28
	v_lshl_add_u32 v15, v15, 23, v48
	v_and_or_b32 v15, v9, s96, v15
	v_lshl_or_b32 v15, v39, 21, v15
                                        ; implicit-def: $vgpr39
.LBB6_2305:                             ;   in Loop: Header=BB6_1188 Depth=4
	s_andn2_saveexec_b64 s[72:73], s[72:73]
; %bb.2306:                             ;   in Loop: Header=BB6_1188 Depth=4
	v_cmp_lt_i64_e32 vcc, -1, v[8:9]
	v_mov_b32_e32 v15, 0xc7600000
	v_mov_b32_e32 v48, 0x47600000
	v_cndmask_b32_e32 v15, v15, v48, vcc
	v_cmp_eq_u32_e32 vcc, 0, v39
	v_mov_b32_e32 v39, 0x7f800001
	v_cndmask_b32_e32 v15, v39, v15, vcc
; %bb.2307:                             ;   in Loop: Header=BB6_1188 Depth=4
	s_or_b64 exec, exec, s[72:73]
.LBB6_2308:                             ;   in Loop: Header=BB6_1188 Depth=4
	s_or_b64 exec, exec, s[70:71]
.LBB6_2309:                             ;   in Loop: Header=BB6_1188 Depth=4
	s_or_b64 exec, exec, s[68:69]
	v_max_f32_e32 v15, v15, v15
	v_max_f32_e32 v7, v7, v7
	;; [unrolled: 1-line block ×3, first 2 shown]
	s_branch .LBB6_2328
.LBB6_2310:                             ;   in Loop: Header=BB6_1188 Depth=4
                                        ; implicit-def: $vgpr7
	s_cbranch_execz .LBB6_2328
; %bb.2311:                             ;   in Loop: Header=BB6_1188 Depth=4
	v_mov_b32_e32 v15, 0
	v_mov_b32_e32 v7, 0
	s_and_saveexec_b64 s[68:69], s[30:31]
	s_cbranch_execz .LBB6_2319
; %bb.2312:                             ;   in Loop: Header=BB6_1188 Depth=4
	v_cmp_ne_u32_e32 vcc, s97, v12
	v_bfrev_b32_e32 v7, 1
	s_and_saveexec_b64 s[30:31], vcc
	s_cbranch_execz .LBB6_2318
; %bb.2313:                             ;   in Loop: Header=BB6_1188 Depth=4
	v_and_b32_e32 v7, 0x7c000000, v1
	v_bfe_u32 v39, v1, 24, 2
	v_cmp_ne_u32_e32 vcc, s37, v7
                                        ; implicit-def: $vgpr7
	s_and_saveexec_b64 s[70:71], vcc
	s_xor_b64 s[70:71], exec, s[70:71]
	s_cbranch_execz .LBB6_2315
; %bb.2314:                             ;   in Loop: Header=BB6_1188 Depth=4
	v_ffbh_u32_e32 v7, v39
	v_min_u32_e32 v7, 32, v7
	v_subrev_u32_e32 v48, 29, v7
	v_bfe_u32 v0, v1, 26, 5
	v_lshlrev_b64 v[48:49], v48, v[12:13]
	v_sub_u32_e32 v7, 30, v7
	v_and_b32_e32 v12, 3, v48
	v_cmp_eq_u32_e32 vcc, 0, v0
	v_cndmask_b32_e32 v0, v0, v7, vcc
	v_cndmask_b32_e32 v7, v39, v12, vcc
	v_bfrev_b32_e32 v12, 28
	v_lshl_add_u32 v0, v0, 23, v12
	v_and_or_b32 v0, v1, s96, v0
	v_lshl_or_b32 v7, v7, 21, v0
                                        ; implicit-def: $vgpr39
.LBB6_2315:                             ;   in Loop: Header=BB6_1188 Depth=4
	s_andn2_saveexec_b64 s[70:71], s[70:71]
; %bb.2316:                             ;   in Loop: Header=BB6_1188 Depth=4
	v_cmp_lt_i64_e32 vcc, -1, v[0:1]
	v_mov_b32_e32 v0, 0xc7600000
	v_mov_b32_e32 v1, 0x47600000
	v_cndmask_b32_e32 v0, v0, v1, vcc
	v_cmp_eq_u32_e32 vcc, 0, v39
	v_mov_b32_e32 v1, 0x7f800001
	v_cndmask_b32_e32 v7, v1, v0, vcc
; %bb.2317:                             ;   in Loop: Header=BB6_1188 Depth=4
	s_or_b64 exec, exec, s[70:71]
.LBB6_2318:                             ;   in Loop: Header=BB6_1188 Depth=4
	s_or_b64 exec, exec, s[30:31]
.LBB6_2319:                             ;   in Loop: Header=BB6_1188 Depth=4
	s_or_b64 exec, exec, s[68:69]
	v_cmp_lt_u64_e32 vcc, s[42:43], v[8:9]
	s_and_saveexec_b64 s[30:31], vcc
	s_cbranch_execz .LBB6_2327
; %bb.2320:                             ;   in Loop: Header=BB6_1188 Depth=4
	v_cmp_ne_u32_e32 vcc, s97, v6
	v_bfrev_b32_e32 v15, 1
	s_and_saveexec_b64 s[68:69], vcc
	s_cbranch_execz .LBB6_2326
; %bb.2321:                             ;   in Loop: Header=BB6_1188 Depth=4
	v_and_b32_e32 v1, 0x7c000000, v9
	v_bfe_u32 v0, v9, 24, 2
	v_cmp_ne_u32_e32 vcc, s37, v1
                                        ; implicit-def: $vgpr15
	s_and_saveexec_b64 s[70:71], vcc
	s_xor_b64 s[70:71], exec, s[70:71]
	s_cbranch_execz .LBB6_2323
; %bb.2322:                             ;   in Loop: Header=BB6_1188 Depth=4
	v_ffbh_u32_e32 v8, v0
	v_min_u32_e32 v8, 32, v8
	v_bfe_u32 v1, v9, 26, 5
	v_subrev_u32_e32 v12, 29, v8
	v_lshlrev_b64 v[48:49], v12, v[6:7]
	v_sub_u32_e32 v6, 30, v8
	v_cmp_eq_u32_e32 vcc, 0, v1
	v_cndmask_b32_e32 v1, v1, v6, vcc
	v_bfrev_b32_e32 v6, 28
	v_and_b32_e32 v8, 3, v48
	v_lshl_add_u32 v1, v1, 23, v6
	v_cndmask_b32_e32 v0, v0, v8, vcc
	v_and_or_b32 v1, v9, s96, v1
	v_lshl_or_b32 v15, v0, 21, v1
                                        ; implicit-def: $vgpr0
.LBB6_2323:                             ;   in Loop: Header=BB6_1188 Depth=4
	s_andn2_saveexec_b64 s[70:71], s[70:71]
; %bb.2324:                             ;   in Loop: Header=BB6_1188 Depth=4
	v_cmp_lt_i64_e32 vcc, -1, v[8:9]
	v_mov_b32_e32 v1, 0xc7600000
	v_mov_b32_e32 v6, 0x47600000
	v_cndmask_b32_e32 v1, v1, v6, vcc
	v_cmp_eq_u32_e32 vcc, 0, v0
	v_mov_b32_e32 v0, 0x7f800001
	v_cndmask_b32_e32 v15, v0, v1, vcc
; %bb.2325:                             ;   in Loop: Header=BB6_1188 Depth=4
	s_or_b64 exec, exec, s[70:71]
.LBB6_2326:                             ;   in Loop: Header=BB6_1188 Depth=4
	s_or_b64 exec, exec, s[68:69]
.LBB6_2327:                             ;   in Loop: Header=BB6_1188 Depth=4
	s_or_b64 exec, exec, s[30:31]
	v_max_f32_e32 v0, v15, v15
	v_max_f32_e32 v1, v7, v7
	v_min_f32_e32 v7, v1, v0
.LBB6_2328:                             ;   in Loop: Header=BB6_1188 Depth=4
	v_and_b32_sdwa v6, v7, s97 dst_sel:DWORD dst_unused:UNUSED_PAD src0_sel:BYTE_3 src1_sel:DWORD
	v_and_b32_e32 v0, 0x7f800000, v7
	v_mov_b32_e32 v1, v51
	v_and_b32_e32 v50, 0x7fffff, v7
	v_or_b32_e32 v12, 0x7b, v6
	v_cmp_ne_u64_e32 vcc, s[52:53], v[0:1]
	s_and_saveexec_b64 s[30:31], vcc
	s_xor_b64 s[68:69], exec, s[30:31]
	s_cbranch_execz .LBB6_2356
; %bb.2329:                             ;   in Loop: Header=BB6_1188 Depth=4
	v_and_b32_e32 v0, 0x7fffffff, v7
	v_mov_b32_e32 v1, v51
	v_cmp_gt_u64_e32 vcc, s[54:55], v[0:1]
	s_and_saveexec_b64 s[70:71], vcc
	s_cbranch_execz .LBB6_2337
; %bb.2330:                             ;   in Loop: Header=BB6_1188 Depth=4
	v_cmp_ne_u32_e32 vcc, 0, v7
	v_mov_b32_e32 v12, 0
	s_and_saveexec_b64 s[72:73], vcc
	s_cbranch_execz .LBB6_2336
; %bb.2331:                             ;   in Loop: Header=BB6_1188 Depth=4
	v_bfe_u32 v0, v7, 23, 8
	v_cmp_eq_u32_e32 vcc, 0, v0
	v_add_u32_e32 v1, 0xffffff81, v0
	v_cmp_gt_u32_e64 s[30:31], s38, v0
	v_sub_u32_e32 v0, 0x71, v0
	v_mov_b32_e32 v8, 0xffffff82
	v_cndmask_b32_e64 v0, 0, v0, s[30:31]
	v_cndmask_b32_e32 v12, v1, v8, vcc
	v_mov_b32_e32 v1, 0x70
	v_cndmask_b32_e32 v15, v0, v1, vcc
	v_add_u32_e32 v0, 21, v15
	v_or_b32_e32 v7, 0x800000, v50
	v_lshlrev_b64 v[0:1], v0, -1
	v_cndmask_b32_e32 v50, v7, v50, vcc
	v_not_b32_e32 v1, v1
	v_not_b32_e32 v0, v0
	v_add_u32_e32 v7, 20, v15
	v_and_b32_e32 v1, 0, v1
	v_and_b32_e32 v0, v50, v0
	v_lshlrev_b64 v[8:9], v7, 1
	v_cmp_eq_u64_e32 vcc, v[0:1], v[8:9]
	v_lshrrev_b64 v[0:1], v15, v[50:51]
	v_lshrrev_b32_e32 v7, 23, v0
	v_add3_u32 v9, v15, v12, v7
	v_bfe_u32 v7, v0, 21, 1
	v_add_u32_e32 v7, -1, v7
	v_cndmask_b32_e32 v7, 0, v7, vcc
	v_add_u32_e32 v7, v7, v0
	v_and_b32_e32 v7, 0x1fffff, v7
	v_add_co_u32_e32 v0, vcc, v7, v0
	v_add_u32_e32 v8, 14, v9
	v_addc_co_u32_e32 v1, vcc, 0, v1, vcc
	v_cmp_ne_u32_e32 vcc, 0, v8
                                        ; implicit-def: $vgpr7
	s_and_saveexec_b64 s[30:31], vcc
	s_xor_b64 s[30:31], exec, s[30:31]
; %bb.2332:                             ;   in Loop: Header=BB6_1188 Depth=4
	v_add_u32_e32 v7, 15, v9
	v_cmp_lt_u64_e32 vcc, s[56:57], v[0:1]
	v_cndmask_b32_e32 v7, v8, v7, vcc
	v_cndmask_b32_e64 v8, 0, 1, vcc
	v_lshrrev_b64 v[0:1], v8, v[0:1]
; %bb.2333:                             ;   in Loop: Header=BB6_1188 Depth=4
	s_andn2_saveexec_b64 vcc, s[30:31]
; %bb.2334:                             ;   in Loop: Header=BB6_1188 Depth=4
	v_bfe_u32 v7, v0, 23, 1
; %bb.2335:                             ;   in Loop: Header=BB6_1188 Depth=4
	s_or_b64 exec, exec, vcc
	v_lshrrev_b64 v[0:1], 21, v[0:1]
	v_cmp_gt_i32_e32 vcc, 32, v7
	v_cndmask_b32_e32 v1, 0, v1, vcc
	v_cndmask_b32_e32 v0, 3, v0, vcc
	v_cmp_eq_u64_e64 s[30:31], 0, v[0:1]
	v_min_i32_e32 v1, 31, v7
	v_lshlrev_b32_e32 v1, 2, v1
	v_cmp_eq_u32_e32 vcc, 0, v7
	v_and_b32_e32 v1, 0xfc, v1
	v_and_or_b32 v0, v0, 3, v1
	s_and_b64 vcc, vcc, s[30:31]
	v_cndmask_b32_e64 v0, v0, 0, vcc
	v_or_b32_e32 v12, v0, v6
.LBB6_2336:                             ;   in Loop: Header=BB6_1188 Depth=4
	s_or_b64 exec, exec, s[72:73]
.LBB6_2337:                             ;   in Loop: Header=BB6_1188 Depth=4
	s_or_b64 exec, exec, s[70:71]
                                        ; implicit-def: $vgpr7
	s_andn2_saveexec_b64 s[30:31], s[68:69]
	s_cbranch_execnz .LBB6_2357
.LBB6_2338:                             ;   in Loop: Header=BB6_1188 Depth=4
	s_or_b64 exec, exec, s[30:31]
	s_and_b64 vcc, exec, s[28:29]
	v_cmp_ne_u16_sdwa s[30:31], v2, v51 src0_sel:BYTE_0 src1_sel:DWORD
	s_cbranch_vccnz .LBB6_2358
.LBB6_2339:                             ;   in Loop: Header=BB6_1188 Depth=4
	v_mov_b32_e32 v1, 0
	v_mov_b32_e32 v0, 0
	s_and_saveexec_b64 s[68:69], s[30:31]
	s_cbranch_execz .LBB6_2347
; %bb.2340:                             ;   in Loop: Header=BB6_1188 Depth=4
	v_cmp_ne_u16_sdwa vcc, sext(v2), s94 src0_sel:BYTE_0 src1_sel:DWORD
	v_bfrev_b32_e32 v0, 1
	s_and_saveexec_b64 s[70:71], vcc
	s_cbranch_execz .LBB6_2346
; %bb.2341:                             ;   in Loop: Header=BB6_1188 Depth=4
	v_and_b32_e32 v0, 0x7c, v2
	v_and_b32_e32 v6, 3, v2
	v_cmp_ne_u32_e32 vcc, s95, v0
                                        ; implicit-def: $vgpr0
	s_and_saveexec_b64 s[72:73], vcc
	s_xor_b64 s[72:73], exec, s[72:73]
	s_cbranch_execz .LBB6_2343
; %bb.2342:                             ;   in Loop: Header=BB6_1188 Depth=4
	v_ffbh_u32_e32 v7, v6
	v_min_u32_e32 v7, 32, v7
	v_subrev_u32_e32 v8, 29, v7
	v_bfe_u32 v0, v2, 2, 5
	v_lshlrev_b64 v[8:9], v8, v[2:3]
	v_sub_u32_e32 v7, 30, v7
	v_and_b32_e32 v8, 3, v8
	v_cmp_eq_u32_e32 vcc, 0, v0
	v_cndmask_b32_e32 v0, v0, v7, vcc
	v_cndmask_b32_e32 v6, v6, v8, vcc
	v_bfrev_b32_e32 v8, 28
	v_lshlrev_b32_e32 v7, 24, v2
	v_lshl_add_u32 v0, v0, 23, v8
	v_and_or_b32 v0, v7, s96, v0
	v_lshl_or_b32 v0, v6, 21, v0
                                        ; implicit-def: $vgpr6
.LBB6_2343:                             ;   in Loop: Header=BB6_1188 Depth=4
	s_andn2_saveexec_b64 s[72:73], s[72:73]
; %bb.2344:                             ;   in Loop: Header=BB6_1188 Depth=4
	v_mov_b32_e32 v0, -1
	v_cmp_gt_i16_sdwa vcc, sext(v2), v0 src0_sel:BYTE_0 src1_sel:DWORD
	v_mov_b32_e32 v0, 0xc7600000
	v_mov_b32_e32 v7, 0x47600000
	v_cndmask_b32_e32 v0, v0, v7, vcc
	v_cmp_eq_u32_e32 vcc, 0, v6
	v_mov_b32_e32 v6, 0x7f800001
	v_cndmask_b32_e32 v0, v6, v0, vcc
; %bb.2345:                             ;   in Loop: Header=BB6_1188 Depth=4
	s_or_b64 exec, exec, s[72:73]
.LBB6_2346:                             ;   in Loop: Header=BB6_1188 Depth=4
	s_or_b64 exec, exec, s[70:71]
.LBB6_2347:                             ;   in Loop: Header=BB6_1188 Depth=4
	s_or_b64 exec, exec, s[68:69]
	v_cmp_ne_u16_sdwa vcc, sext(v10), v51 src0_sel:BYTE_0 src1_sel:DWORD
	s_and_saveexec_b64 s[68:69], vcc
	s_cbranch_execz .LBB6_2355
; %bb.2348:                             ;   in Loop: Header=BB6_1188 Depth=4
	v_cmp_ne_u16_sdwa vcc, sext(v10), s94 src0_sel:BYTE_0 src1_sel:DWORD
	v_bfrev_b32_e32 v1, 1
	s_and_saveexec_b64 s[70:71], vcc
	s_cbranch_execz .LBB6_2354
; %bb.2349:                             ;   in Loop: Header=BB6_1188 Depth=4
	v_and_b32_e32 v1, 0x7c, v10
	v_and_b32_e32 v6, 3, v10
	v_cmp_ne_u32_e32 vcc, s95, v1
                                        ; implicit-def: $vgpr1
	s_and_saveexec_b64 s[72:73], vcc
	s_xor_b64 s[72:73], exec, s[72:73]
	s_cbranch_execz .LBB6_2351
; %bb.2350:                             ;   in Loop: Header=BB6_1188 Depth=4
	v_ffbh_u32_e32 v7, v6
	v_min_u32_e32 v7, 32, v7
	v_subrev_u32_e32 v8, 29, v7
	v_bfe_u32 v1, v10, 2, 5
	v_lshlrev_b64 v[8:9], v8, v[10:11]
	v_sub_u32_e32 v7, 30, v7
	v_and_b32_e32 v8, 3, v8
	v_cmp_eq_u32_e32 vcc, 0, v1
	v_cndmask_b32_e32 v1, v1, v7, vcc
	v_cndmask_b32_e32 v6, v6, v8, vcc
	v_bfrev_b32_e32 v8, 28
	v_lshlrev_b32_e32 v7, 24, v10
	v_lshl_add_u32 v1, v1, 23, v8
	v_and_or_b32 v1, v7, s96, v1
	v_lshl_or_b32 v1, v6, 21, v1
                                        ; implicit-def: $vgpr6
.LBB6_2351:                             ;   in Loop: Header=BB6_1188 Depth=4
	s_andn2_saveexec_b64 s[72:73], s[72:73]
; %bb.2352:                             ;   in Loop: Header=BB6_1188 Depth=4
	v_mov_b32_e32 v1, -1
	v_cmp_gt_i16_sdwa vcc, sext(v10), v1 src0_sel:BYTE_0 src1_sel:DWORD
	v_mov_b32_e32 v1, 0xc7600000
	v_mov_b32_e32 v7, 0x47600000
	v_cndmask_b32_e32 v1, v1, v7, vcc
	v_cmp_eq_u32_e32 vcc, 0, v6
	v_mov_b32_e32 v6, 0x7f800001
	v_cndmask_b32_e32 v1, v6, v1, vcc
; %bb.2353:                             ;   in Loop: Header=BB6_1188 Depth=4
	s_or_b64 exec, exec, s[72:73]
.LBB6_2354:                             ;   in Loop: Header=BB6_1188 Depth=4
	s_or_b64 exec, exec, s[70:71]
.LBB6_2355:                             ;   in Loop: Header=BB6_1188 Depth=4
	s_or_b64 exec, exec, s[68:69]
	v_max_f32_e32 v1, v1, v1
	v_max_f32_e32 v0, v0, v0
	;; [unrolled: 1-line block ×3, first 2 shown]
	s_branch .LBB6_2376
.LBB6_2356:                             ;   in Loop: Header=BB6_1188 Depth=4
	s_andn2_saveexec_b64 s[30:31], s[68:69]
	s_cbranch_execz .LBB6_2338
.LBB6_2357:                             ;   in Loop: Header=BB6_1188 Depth=4
	v_or_b32_sdwa v0, v7, s39 dst_sel:DWORD dst_unused:UNUSED_PAD src0_sel:BYTE_3 src1_sel:DWORD
	v_cmp_eq_u64_e32 vcc, 0, v[50:51]
	v_cndmask_b32_e32 v12, v0, v12, vcc
	s_or_b64 exec, exec, s[30:31]
	s_and_b64 vcc, exec, s[28:29]
	v_cmp_ne_u16_sdwa s[30:31], v2, v51 src0_sel:BYTE_0 src1_sel:DWORD
	s_cbranch_vccz .LBB6_2339
.LBB6_2358:                             ;   in Loop: Header=BB6_1188 Depth=4
                                        ; implicit-def: $vgpr0
	s_cbranch_execz .LBB6_2376
; %bb.2359:                             ;   in Loop: Header=BB6_1188 Depth=4
	v_mov_b32_e32 v1, 0
	v_mov_b32_e32 v0, 0
	s_and_saveexec_b64 s[68:69], s[30:31]
	s_cbranch_execz .LBB6_2367
; %bb.2360:                             ;   in Loop: Header=BB6_1188 Depth=4
	v_cmp_ne_u16_sdwa vcc, sext(v2), s94 src0_sel:BYTE_0 src1_sel:DWORD
	v_bfrev_b32_e32 v0, 1
	s_and_saveexec_b64 s[30:31], vcc
	s_cbranch_execz .LBB6_2366
; %bb.2361:                             ;   in Loop: Header=BB6_1188 Depth=4
	v_and_b32_e32 v0, 0x7c, v2
	v_and_b32_e32 v6, 3, v2
	v_cmp_ne_u32_e32 vcc, s95, v0
                                        ; implicit-def: $vgpr0
	s_and_saveexec_b64 s[70:71], vcc
	s_xor_b64 s[70:71], exec, s[70:71]
	s_cbranch_execz .LBB6_2363
; %bb.2362:                             ;   in Loop: Header=BB6_1188 Depth=4
	v_ffbh_u32_e32 v7, v6
	v_min_u32_e32 v7, 32, v7
	v_subrev_u32_e32 v8, 29, v7
	v_bfe_u32 v0, v2, 2, 5
	v_lshlrev_b64 v[8:9], v8, v[2:3]
	v_sub_u32_e32 v7, 30, v7
	v_and_b32_e32 v8, 3, v8
	v_cmp_eq_u32_e32 vcc, 0, v0
	v_cndmask_b32_e32 v0, v0, v7, vcc
	v_cndmask_b32_e32 v6, v6, v8, vcc
	v_bfrev_b32_e32 v8, 28
	v_lshlrev_b32_e32 v7, 24, v2
	v_lshl_add_u32 v0, v0, 23, v8
	v_and_or_b32 v0, v7, s96, v0
	v_lshl_or_b32 v0, v6, 21, v0
                                        ; implicit-def: $vgpr6
.LBB6_2363:                             ;   in Loop: Header=BB6_1188 Depth=4
	s_andn2_saveexec_b64 s[70:71], s[70:71]
; %bb.2364:                             ;   in Loop: Header=BB6_1188 Depth=4
	v_mov_b32_e32 v0, -1
	v_cmp_gt_i16_sdwa vcc, sext(v2), v0 src0_sel:BYTE_0 src1_sel:DWORD
	v_mov_b32_e32 v0, 0xc7600000
	v_mov_b32_e32 v7, 0x47600000
	v_cndmask_b32_e32 v0, v0, v7, vcc
	v_cmp_eq_u32_e32 vcc, 0, v6
	v_mov_b32_e32 v6, 0x7f800001
	v_cndmask_b32_e32 v0, v6, v0, vcc
; %bb.2365:                             ;   in Loop: Header=BB6_1188 Depth=4
	s_or_b64 exec, exec, s[70:71]
.LBB6_2366:                             ;   in Loop: Header=BB6_1188 Depth=4
	s_or_b64 exec, exec, s[30:31]
.LBB6_2367:                             ;   in Loop: Header=BB6_1188 Depth=4
	s_or_b64 exec, exec, s[68:69]
	v_cmp_ne_u16_sdwa vcc, sext(v10), v51 src0_sel:BYTE_0 src1_sel:DWORD
	s_and_saveexec_b64 s[30:31], vcc
	s_cbranch_execz .LBB6_2375
; %bb.2368:                             ;   in Loop: Header=BB6_1188 Depth=4
	v_cmp_ne_u16_sdwa vcc, sext(v10), s94 src0_sel:BYTE_0 src1_sel:DWORD
	v_bfrev_b32_e32 v1, 1
	s_and_saveexec_b64 s[68:69], vcc
	s_cbranch_execz .LBB6_2374
; %bb.2369:                             ;   in Loop: Header=BB6_1188 Depth=4
	v_and_b32_e32 v1, 0x7c, v10
	v_and_b32_e32 v6, 3, v10
	v_cmp_ne_u32_e32 vcc, s95, v1
                                        ; implicit-def: $vgpr1
	s_and_saveexec_b64 s[70:71], vcc
	s_xor_b64 s[70:71], exec, s[70:71]
	s_cbranch_execz .LBB6_2371
; %bb.2370:                             ;   in Loop: Header=BB6_1188 Depth=4
	v_ffbh_u32_e32 v7, v6
	v_min_u32_e32 v7, 32, v7
	v_subrev_u32_e32 v8, 29, v7
	v_bfe_u32 v1, v10, 2, 5
	v_lshlrev_b64 v[8:9], v8, v[10:11]
	v_sub_u32_e32 v7, 30, v7
	v_and_b32_e32 v8, 3, v8
	v_cmp_eq_u32_e32 vcc, 0, v1
	v_cndmask_b32_e32 v1, v1, v7, vcc
	v_cndmask_b32_e32 v6, v6, v8, vcc
	v_bfrev_b32_e32 v8, 28
	v_lshlrev_b32_e32 v7, 24, v10
	v_lshl_add_u32 v1, v1, 23, v8
	v_and_or_b32 v1, v7, s96, v1
	v_lshl_or_b32 v1, v6, 21, v1
                                        ; implicit-def: $vgpr6
.LBB6_2371:                             ;   in Loop: Header=BB6_1188 Depth=4
	s_andn2_saveexec_b64 s[70:71], s[70:71]
; %bb.2372:                             ;   in Loop: Header=BB6_1188 Depth=4
	v_mov_b32_e32 v1, -1
	v_cmp_gt_i16_sdwa vcc, sext(v10), v1 src0_sel:BYTE_0 src1_sel:DWORD
	v_mov_b32_e32 v1, 0xc7600000
	v_mov_b32_e32 v7, 0x47600000
	v_cndmask_b32_e32 v1, v1, v7, vcc
	v_cmp_eq_u32_e32 vcc, 0, v6
	v_mov_b32_e32 v6, 0x7f800001
	v_cndmask_b32_e32 v1, v6, v1, vcc
; %bb.2373:                             ;   in Loop: Header=BB6_1188 Depth=4
	s_or_b64 exec, exec, s[70:71]
.LBB6_2374:                             ;   in Loop: Header=BB6_1188 Depth=4
	s_or_b64 exec, exec, s[68:69]
.LBB6_2375:                             ;   in Loop: Header=BB6_1188 Depth=4
	s_or_b64 exec, exec, s[30:31]
	v_max_f32_e32 v1, v1, v1
	v_max_f32_e32 v0, v0, v0
	v_min_f32_e32 v0, v0, v1
.LBB6_2376:                             ;   in Loop: Header=BB6_1188 Depth=4
	v_and_b32_sdwa v6, v0, s97 dst_sel:DWORD dst_unused:UNUSED_PAD src0_sel:BYTE_3 src1_sel:DWORD
	v_and_b32_e32 v8, 0x7f800000, v0
	v_mov_b32_e32 v9, v51
	v_and_b32_e32 v50, 0x7fffff, v0
	v_or_b32_e32 v15, 0x7b, v6
	v_cmp_ne_u64_e32 vcc, s[52:53], v[8:9]
	s_and_saveexec_b64 s[30:31], vcc
	s_xor_b64 s[68:69], exec, s[30:31]
	s_cbranch_execz .LBB6_2386
; %bb.2377:                             ;   in Loop: Header=BB6_1188 Depth=4
	v_and_b32_e32 v8, 0x7fffffff, v0
	v_mov_b32_e32 v9, v51
	v_cmp_gt_u64_e32 vcc, s[54:55], v[8:9]
	s_and_saveexec_b64 s[70:71], vcc
	s_cbranch_execz .LBB6_2385
; %bb.2378:                             ;   in Loop: Header=BB6_1188 Depth=4
	v_cmp_ne_u32_e32 vcc, 0, v0
	v_mov_b32_e32 v15, 0
	s_and_saveexec_b64 s[72:73], vcc
	s_cbranch_execz .LBB6_2384
; %bb.2379:                             ;   in Loop: Header=BB6_1188 Depth=4
	v_bfe_u32 v0, v0, 23, 8
	v_cmp_eq_u32_e32 vcc, 0, v0
	v_add_u32_e32 v1, 0xffffff81, v0
	v_cmp_gt_u32_e64 s[30:31], s38, v0
	v_sub_u32_e32 v0, 0x71, v0
	v_mov_b32_e32 v8, 0xffffff82
	v_cndmask_b32_e64 v0, 0, v0, s[30:31]
	v_cndmask_b32_e32 v15, v1, v8, vcc
	v_mov_b32_e32 v1, 0x70
	v_cndmask_b32_e32 v39, v0, v1, vcc
	v_add_u32_e32 v0, 21, v39
	v_or_b32_e32 v7, 0x800000, v50
	v_lshlrev_b64 v[0:1], v0, -1
	v_cndmask_b32_e32 v50, v7, v50, vcc
	v_not_b32_e32 v1, v1
	v_not_b32_e32 v0, v0
	v_add_u32_e32 v7, 20, v39
	v_and_b32_e32 v1, 0, v1
	v_and_b32_e32 v0, v50, v0
	v_lshlrev_b64 v[8:9], v7, 1
	v_cmp_eq_u64_e32 vcc, v[0:1], v[8:9]
	v_lshrrev_b64 v[0:1], v39, v[50:51]
	v_lshrrev_b32_e32 v7, 23, v0
	v_add3_u32 v9, v39, v15, v7
	v_bfe_u32 v7, v0, 21, 1
	v_add_u32_e32 v7, -1, v7
	v_cndmask_b32_e32 v7, 0, v7, vcc
	v_add_u32_e32 v7, v7, v0
	v_and_b32_e32 v7, 0x1fffff, v7
	v_add_co_u32_e32 v0, vcc, v7, v0
	v_add_u32_e32 v8, 14, v9
	v_addc_co_u32_e32 v1, vcc, 0, v1, vcc
	v_cmp_ne_u32_e32 vcc, 0, v8
                                        ; implicit-def: $vgpr7
	s_and_saveexec_b64 s[30:31], vcc
	s_xor_b64 s[30:31], exec, s[30:31]
; %bb.2380:                             ;   in Loop: Header=BB6_1188 Depth=4
	v_add_u32_e32 v7, 15, v9
	v_cmp_lt_u64_e32 vcc, s[56:57], v[0:1]
	v_cndmask_b32_e32 v7, v8, v7, vcc
	v_cndmask_b32_e64 v8, 0, 1, vcc
	v_lshrrev_b64 v[0:1], v8, v[0:1]
; %bb.2381:                             ;   in Loop: Header=BB6_1188 Depth=4
	s_andn2_saveexec_b64 vcc, s[30:31]
; %bb.2382:                             ;   in Loop: Header=BB6_1188 Depth=4
	v_bfe_u32 v7, v0, 23, 1
; %bb.2383:                             ;   in Loop: Header=BB6_1188 Depth=4
	s_or_b64 exec, exec, vcc
	v_lshrrev_b64 v[0:1], 21, v[0:1]
	v_cmp_gt_i32_e32 vcc, 32, v7
	v_cndmask_b32_e32 v1, 0, v1, vcc
	v_cndmask_b32_e32 v0, 3, v0, vcc
	v_cmp_eq_u64_e64 s[30:31], 0, v[0:1]
	v_min_i32_e32 v1, 31, v7
	v_cmp_eq_u32_e32 vcc, 0, v7
	v_lshlrev_b32_e32 v1, 2, v1
	v_and_or_b32 v0, v0, 3, v1
	s_and_b64 vcc, vcc, s[30:31]
	v_cndmask_b32_e64 v0, v0, 0, vcc
	v_or_b32_e32 v15, v0, v6
.LBB6_2384:                             ;   in Loop: Header=BB6_1188 Depth=4
	s_or_b64 exec, exec, s[72:73]
.LBB6_2385:                             ;   in Loop: Header=BB6_1188 Depth=4
	s_or_b64 exec, exec, s[70:71]
                                        ; implicit-def: $vgpr0
.LBB6_2386:                             ;   in Loop: Header=BB6_1188 Depth=4
	s_andn2_saveexec_b64 s[30:31], s[68:69]
; %bb.2387:                             ;   in Loop: Header=BB6_1188 Depth=4
	v_or_b32_sdwa v0, v0, s39 dst_sel:DWORD dst_unused:UNUSED_PAD src0_sel:BYTE_3 src1_sel:DWORD
	v_cmp_eq_u64_e32 vcc, 0, v[50:51]
	v_cndmask_b32_e32 v15, v0, v15, vcc
; %bb.2388:                             ;   in Loop: Header=BB6_1188 Depth=4
	s_or_b64 exec, exec, s[30:31]
	v_lshrrev_b16_e32 v50, 8, v2
	v_lshrrev_b16_e32 v0, 8, v10
	s_and_b64 vcc, exec, s[28:29]
	v_cmp_ne_u16_e64 s[30:31], 0, v50
	s_cbranch_vccnz .LBB6_2406
; %bb.2389:                             ;   in Loop: Header=BB6_1188 Depth=4
	v_mov_b32_e32 v1, 0
	v_mov_b32_e32 v6, 0
	s_and_saveexec_b64 s[68:69], s[30:31]
	s_cbranch_execz .LBB6_2397
; %bb.2390:                             ;   in Loop: Header=BB6_1188 Depth=4
	v_cmp_ne_u16_e32 vcc, s97, v50
	v_bfrev_b32_e32 v6, 1
	s_and_saveexec_b64 s[70:71], vcc
	s_cbranch_execz .LBB6_2396
; %bb.2391:                             ;   in Loop: Header=BB6_1188 Depth=4
	v_and_b32_e32 v6, 0x7c, v50
	v_and_b32_e32 v7, 3, v50
	v_cmp_ne_u32_e32 vcc, s95, v6
                                        ; implicit-def: $vgpr6
	s_and_saveexec_b64 s[72:73], vcc
	s_xor_b64 s[72:73], exec, s[72:73]
	s_cbranch_execz .LBB6_2393
; %bb.2392:                             ;   in Loop: Header=BB6_1188 Depth=4
	v_ffbh_u32_e32 v8, v7
	v_min_u32_e32 v39, 32, v8
	v_subrev_u32_e32 v8, 29, v39
	v_bfe_u32 v6, v50, 2, 5
	v_lshlrev_b64 v[8:9], v8, v[50:51]
	v_sub_u32_e32 v9, 30, v39
	v_cmp_eq_u32_e32 vcc, 0, v6
	v_and_b32_e32 v8, 3, v8
	v_cndmask_b32_e32 v6, v6, v9, vcc
	v_bfrev_b32_e32 v9, 28
	v_cndmask_b32_e32 v7, v7, v8, vcc
	v_lshlrev_b32_e32 v8, 16, v2
	v_lshl_add_u32 v6, v6, 23, v9
	v_and_or_b32 v6, v8, s96, v6
	v_lshl_or_b32 v6, v7, 21, v6
                                        ; implicit-def: $vgpr7
.LBB6_2393:                             ;   in Loop: Header=BB6_1188 Depth=4
	s_andn2_saveexec_b64 s[72:73], s[72:73]
; %bb.2394:                             ;   in Loop: Header=BB6_1188 Depth=4
	v_cmp_lt_i16_e32 vcc, -1, v2
	v_mov_b32_e32 v6, 0xc7600000
	v_mov_b32_e32 v8, 0x47600000
	v_cndmask_b32_e32 v6, v6, v8, vcc
	v_cmp_eq_u32_e32 vcc, 0, v7
	v_mov_b32_e32 v7, 0x7f800001
	v_cndmask_b32_e32 v6, v7, v6, vcc
; %bb.2395:                             ;   in Loop: Header=BB6_1188 Depth=4
	s_or_b64 exec, exec, s[72:73]
.LBB6_2396:                             ;   in Loop: Header=BB6_1188 Depth=4
	s_or_b64 exec, exec, s[70:71]
.LBB6_2397:                             ;   in Loop: Header=BB6_1188 Depth=4
	s_or_b64 exec, exec, s[68:69]
	v_cmp_ne_u16_e32 vcc, 0, v0
	s_and_saveexec_b64 s[68:69], vcc
	s_cbranch_execz .LBB6_2405
; %bb.2398:                             ;   in Loop: Header=BB6_1188 Depth=4
	v_cmp_ne_u16_e32 vcc, s97, v0
	v_bfrev_b32_e32 v1, 1
	s_and_saveexec_b64 s[70:71], vcc
	s_cbranch_execz .LBB6_2404
; %bb.2399:                             ;   in Loop: Header=BB6_1188 Depth=4
	v_and_b32_e32 v1, 0x7c, v0
	v_and_b32_e32 v7, 3, v0
	v_cmp_ne_u32_e32 vcc, s95, v1
                                        ; implicit-def: $vgpr1
	s_and_saveexec_b64 s[72:73], vcc
	s_xor_b64 s[72:73], exec, s[72:73]
	s_cbranch_execz .LBB6_2401
; %bb.2400:                             ;   in Loop: Header=BB6_1188 Depth=4
	v_ffbh_u32_e32 v8, v7
	v_min_u32_e32 v48, 32, v8
	v_mov_b32_e32 v1, v51
	v_bfe_u32 v39, v0, 2, 5
	v_subrev_u32_e32 v8, 29, v48
	v_lshlrev_b64 v[8:9], v8, v[0:1]
	v_sub_u32_e32 v1, 30, v48
	v_cmp_eq_u32_e32 vcc, 0, v39
	v_and_b32_e32 v8, 3, v8
	v_cndmask_b32_e32 v1, v39, v1, vcc
	v_bfrev_b32_e32 v9, 28
	v_cndmask_b32_e32 v7, v7, v8, vcc
	v_lshlrev_b32_e32 v8, 16, v10
	v_lshl_add_u32 v1, v1, 23, v9
	v_and_or_b32 v1, v8, s96, v1
	v_lshl_or_b32 v1, v7, 21, v1
                                        ; implicit-def: $vgpr7
.LBB6_2401:                             ;   in Loop: Header=BB6_1188 Depth=4
	s_andn2_saveexec_b64 s[72:73], s[72:73]
; %bb.2402:                             ;   in Loop: Header=BB6_1188 Depth=4
	v_cmp_lt_i16_e32 vcc, -1, v10
	v_mov_b32_e32 v1, 0xc7600000
	v_mov_b32_e32 v8, 0x47600000
	v_cndmask_b32_e32 v1, v1, v8, vcc
	v_cmp_eq_u32_e32 vcc, 0, v7
	v_mov_b32_e32 v7, 0x7f800001
	v_cndmask_b32_e32 v1, v7, v1, vcc
; %bb.2403:                             ;   in Loop: Header=BB6_1188 Depth=4
	s_or_b64 exec, exec, s[72:73]
.LBB6_2404:                             ;   in Loop: Header=BB6_1188 Depth=4
	s_or_b64 exec, exec, s[70:71]
.LBB6_2405:                             ;   in Loop: Header=BB6_1188 Depth=4
	s_or_b64 exec, exec, s[68:69]
	v_max_f32_e32 v1, v1, v1
	v_max_f32_e32 v6, v6, v6
	;; [unrolled: 1-line block ×3, first 2 shown]
	s_branch .LBB6_2424
.LBB6_2406:                             ;   in Loop: Header=BB6_1188 Depth=4
                                        ; implicit-def: $vgpr1
	s_cbranch_execz .LBB6_2424
; %bb.2407:                             ;   in Loop: Header=BB6_1188 Depth=4
	v_mov_b32_e32 v1, 0
	v_mov_b32_e32 v6, 0
	s_and_saveexec_b64 s[68:69], s[30:31]
	s_cbranch_execz .LBB6_2415
; %bb.2408:                             ;   in Loop: Header=BB6_1188 Depth=4
	v_cmp_ne_u16_e32 vcc, s97, v50
	v_bfrev_b32_e32 v6, 1
	s_and_saveexec_b64 s[30:31], vcc
	s_cbranch_execz .LBB6_2414
; %bb.2409:                             ;   in Loop: Header=BB6_1188 Depth=4
	v_and_b32_e32 v6, 0x7c, v50
	v_and_b32_e32 v7, 3, v50
	v_cmp_ne_u32_e32 vcc, s95, v6
                                        ; implicit-def: $vgpr6
	s_and_saveexec_b64 s[70:71], vcc
	s_xor_b64 s[70:71], exec, s[70:71]
	s_cbranch_execz .LBB6_2411
; %bb.2410:                             ;   in Loop: Header=BB6_1188 Depth=4
	v_ffbh_u32_e32 v8, v7
	v_min_u32_e32 v39, 32, v8
	v_subrev_u32_e32 v8, 29, v39
	v_bfe_u32 v6, v50, 2, 5
	v_lshlrev_b64 v[8:9], v8, v[50:51]
	v_sub_u32_e32 v9, 30, v39
	v_cmp_eq_u32_e32 vcc, 0, v6
	v_and_b32_e32 v8, 3, v8
	v_cndmask_b32_e32 v6, v6, v9, vcc
	v_bfrev_b32_e32 v9, 28
	v_cndmask_b32_e32 v7, v7, v8, vcc
	v_lshlrev_b32_e32 v8, 16, v2
	v_lshl_add_u32 v6, v6, 23, v9
	v_and_or_b32 v6, v8, s96, v6
	v_lshl_or_b32 v6, v7, 21, v6
                                        ; implicit-def: $vgpr7
.LBB6_2411:                             ;   in Loop: Header=BB6_1188 Depth=4
	s_andn2_saveexec_b64 s[70:71], s[70:71]
; %bb.2412:                             ;   in Loop: Header=BB6_1188 Depth=4
	v_cmp_lt_i16_e32 vcc, -1, v2
	v_mov_b32_e32 v6, 0xc7600000
	v_mov_b32_e32 v8, 0x47600000
	v_cndmask_b32_e32 v6, v6, v8, vcc
	v_cmp_eq_u32_e32 vcc, 0, v7
	v_mov_b32_e32 v7, 0x7f800001
	v_cndmask_b32_e32 v6, v7, v6, vcc
; %bb.2413:                             ;   in Loop: Header=BB6_1188 Depth=4
	s_or_b64 exec, exec, s[70:71]
.LBB6_2414:                             ;   in Loop: Header=BB6_1188 Depth=4
	s_or_b64 exec, exec, s[30:31]
.LBB6_2415:                             ;   in Loop: Header=BB6_1188 Depth=4
	s_or_b64 exec, exec, s[68:69]
	v_cmp_ne_u16_e32 vcc, 0, v0
	s_and_saveexec_b64 s[30:31], vcc
	s_cbranch_execz .LBB6_2423
; %bb.2416:                             ;   in Loop: Header=BB6_1188 Depth=4
	v_cmp_ne_u16_e32 vcc, s97, v0
	v_bfrev_b32_e32 v1, 1
	s_and_saveexec_b64 s[68:69], vcc
	s_cbranch_execz .LBB6_2422
; %bb.2417:                             ;   in Loop: Header=BB6_1188 Depth=4
	v_and_b32_e32 v1, 0x7c, v0
	v_and_b32_e32 v7, 3, v0
	v_cmp_ne_u32_e32 vcc, s95, v1
                                        ; implicit-def: $vgpr1
	s_and_saveexec_b64 s[70:71], vcc
	s_xor_b64 s[70:71], exec, s[70:71]
	s_cbranch_execz .LBB6_2419
; %bb.2418:                             ;   in Loop: Header=BB6_1188 Depth=4
	v_ffbh_u32_e32 v9, v7
	v_min_u32_e32 v9, 32, v9
	v_mov_b32_e32 v1, v51
	v_subrev_u32_e32 v39, 29, v9
	v_bfe_u32 v8, v0, 2, 5
	v_lshlrev_b64 v[0:1], v39, v[0:1]
	v_sub_u32_e32 v1, 30, v9
	v_cmp_eq_u32_e32 vcc, 0, v8
	v_and_b32_e32 v0, 3, v0
	v_cndmask_b32_e32 v1, v8, v1, vcc
	v_bfrev_b32_e32 v8, 28
	v_cndmask_b32_e32 v0, v7, v0, vcc
	v_lshlrev_b32_e32 v7, 16, v10
	v_lshl_add_u32 v1, v1, 23, v8
	v_and_or_b32 v1, v7, s96, v1
	v_lshl_or_b32 v1, v0, 21, v1
                                        ; implicit-def: $vgpr7
.LBB6_2419:                             ;   in Loop: Header=BB6_1188 Depth=4
	s_andn2_saveexec_b64 s[70:71], s[70:71]
; %bb.2420:                             ;   in Loop: Header=BB6_1188 Depth=4
	v_cmp_lt_i16_e32 vcc, -1, v10
	v_mov_b32_e32 v0, 0xc7600000
	v_mov_b32_e32 v1, 0x47600000
	v_cndmask_b32_e32 v0, v0, v1, vcc
	v_cmp_eq_u32_e32 vcc, 0, v7
	v_mov_b32_e32 v1, 0x7f800001
	v_cndmask_b32_e32 v1, v1, v0, vcc
; %bb.2421:                             ;   in Loop: Header=BB6_1188 Depth=4
	s_or_b64 exec, exec, s[70:71]
.LBB6_2422:                             ;   in Loop: Header=BB6_1188 Depth=4
	s_or_b64 exec, exec, s[68:69]
.LBB6_2423:                             ;   in Loop: Header=BB6_1188 Depth=4
	s_or_b64 exec, exec, s[30:31]
	v_max_f32_e32 v0, v1, v1
	v_max_f32_e32 v1, v6, v6
	v_min_f32_e32 v1, v1, v0
.LBB6_2424:                             ;   in Loop: Header=BB6_1188 Depth=4
	v_and_b32_sdwa v6, v1, s97 dst_sel:DWORD dst_unused:UNUSED_PAD src0_sel:BYTE_3 src1_sel:DWORD
	v_and_b32_e32 v8, 0x7f800000, v1
	v_mov_b32_e32 v9, v51
	v_and_b32_e32 v50, 0x7fffff, v1
	v_or_b32_e32 v39, 0x7b, v6
	v_cmp_ne_u64_e32 vcc, s[52:53], v[8:9]
	s_and_saveexec_b64 s[30:31], vcc
	s_xor_b64 s[68:69], exec, s[30:31]
	s_cbranch_execz .LBB6_2434
; %bb.2425:                             ;   in Loop: Header=BB6_1188 Depth=4
	v_and_b32_e32 v8, 0x7fffffff, v1
	v_mov_b32_e32 v9, v51
	v_cmp_gt_u64_e32 vcc, s[54:55], v[8:9]
	s_and_saveexec_b64 s[70:71], vcc
	s_cbranch_execz .LBB6_2433
; %bb.2426:                             ;   in Loop: Header=BB6_1188 Depth=4
	v_cmp_ne_u32_e32 vcc, 0, v1
	v_mov_b32_e32 v39, 0
	s_and_saveexec_b64 s[72:73], vcc
	s_cbranch_execz .LBB6_2432
; %bb.2427:                             ;   in Loop: Header=BB6_1188 Depth=4
	v_bfe_u32 v0, v1, 23, 8
	v_cmp_eq_u32_e32 vcc, 0, v0
	v_add_u32_e32 v1, 0xffffff81, v0
	v_cmp_gt_u32_e64 s[30:31], s38, v0
	v_sub_u32_e32 v0, 0x71, v0
	v_mov_b32_e32 v8, 0xffffff82
	v_cndmask_b32_e64 v0, 0, v0, s[30:31]
	v_cndmask_b32_e32 v39, v1, v8, vcc
	v_mov_b32_e32 v1, 0x70
	v_cndmask_b32_e32 v48, v0, v1, vcc
	v_add_u32_e32 v0, 21, v48
	v_or_b32_e32 v7, 0x800000, v50
	v_lshlrev_b64 v[0:1], v0, -1
	v_cndmask_b32_e32 v50, v7, v50, vcc
	v_not_b32_e32 v1, v1
	v_not_b32_e32 v0, v0
	v_add_u32_e32 v7, 20, v48
	v_and_b32_e32 v1, 0, v1
	v_and_b32_e32 v0, v50, v0
	v_lshlrev_b64 v[8:9], v7, 1
	v_cmp_eq_u64_e32 vcc, v[0:1], v[8:9]
	v_lshrrev_b64 v[0:1], v48, v[50:51]
	v_lshrrev_b32_e32 v7, 23, v0
	v_add3_u32 v9, v48, v39, v7
	v_bfe_u32 v7, v0, 21, 1
	v_add_u32_e32 v7, -1, v7
	v_cndmask_b32_e32 v7, 0, v7, vcc
	v_add_u32_e32 v7, v7, v0
	v_and_b32_e32 v7, 0x1fffff, v7
	v_add_co_u32_e32 v0, vcc, v7, v0
	v_add_u32_e32 v8, 14, v9
	v_addc_co_u32_e32 v1, vcc, 0, v1, vcc
	v_cmp_ne_u32_e32 vcc, 0, v8
                                        ; implicit-def: $vgpr7
	s_and_saveexec_b64 s[30:31], vcc
	s_xor_b64 s[30:31], exec, s[30:31]
; %bb.2428:                             ;   in Loop: Header=BB6_1188 Depth=4
	v_add_u32_e32 v7, 15, v9
	v_cmp_lt_u64_e32 vcc, s[56:57], v[0:1]
	v_cndmask_b32_e32 v7, v8, v7, vcc
	v_cndmask_b32_e64 v8, 0, 1, vcc
	v_lshrrev_b64 v[0:1], v8, v[0:1]
; %bb.2429:                             ;   in Loop: Header=BB6_1188 Depth=4
	s_andn2_saveexec_b64 vcc, s[30:31]
; %bb.2430:                             ;   in Loop: Header=BB6_1188 Depth=4
	v_bfe_u32 v7, v0, 23, 1
; %bb.2431:                             ;   in Loop: Header=BB6_1188 Depth=4
	s_or_b64 exec, exec, vcc
	v_lshrrev_b64 v[0:1], 21, v[0:1]
	v_cmp_gt_i32_e32 vcc, 32, v7
	v_cndmask_b32_e32 v1, 0, v1, vcc
	v_cndmask_b32_e32 v0, 3, v0, vcc
	v_cmp_eq_u64_e64 s[30:31], 0, v[0:1]
	v_min_i32_e32 v1, 31, v7
	v_cmp_eq_u32_e32 vcc, 0, v7
	v_lshlrev_b32_e32 v1, 2, v1
	v_and_or_b32 v0, v0, 3, v1
	s_and_b64 vcc, vcc, s[30:31]
	v_cndmask_b32_e64 v0, v0, 0, vcc
	v_or_b32_e32 v39, v0, v6
.LBB6_2432:                             ;   in Loop: Header=BB6_1188 Depth=4
	s_or_b64 exec, exec, s[72:73]
.LBB6_2433:                             ;   in Loop: Header=BB6_1188 Depth=4
	s_or_b64 exec, exec, s[70:71]
                                        ; implicit-def: $vgpr1
.LBB6_2434:                             ;   in Loop: Header=BB6_1188 Depth=4
	s_andn2_saveexec_b64 s[30:31], s[68:69]
; %bb.2435:                             ;   in Loop: Header=BB6_1188 Depth=4
	v_or_b32_sdwa v0, v1, s39 dst_sel:DWORD dst_unused:UNUSED_PAD src0_sel:BYTE_3 src1_sel:DWORD
	v_cmp_eq_u64_e32 vcc, 0, v[50:51]
	v_cndmask_b32_e32 v39, v0, v39, vcc
; %bb.2436:                             ;   in Loop: Header=BB6_1188 Depth=4
	s_or_b64 exec, exec, s[30:31]
	v_lshrrev_b32_e32 v6, 16, v2
	v_lshrrev_b32_e32 v0, 16, v10
	s_and_b64 vcc, exec, s[28:29]
	v_cmp_ne_u16_sdwa s[30:31], v6, v51 src0_sel:BYTE_0 src1_sel:DWORD
	s_cbranch_vccnz .LBB6_2454
; %bb.2437:                             ;   in Loop: Header=BB6_1188 Depth=4
	v_mov_b32_e32 v7, 0
	v_mov_b32_e32 v1, 0
	s_and_saveexec_b64 s[68:69], s[30:31]
	s_cbranch_execz .LBB6_2445
; %bb.2438:                             ;   in Loop: Header=BB6_1188 Depth=4
	v_cmp_ne_u16_sdwa vcc, v6, s97 src0_sel:BYTE_0 src1_sel:DWORD
	v_bfrev_b32_e32 v1, 1
	s_and_saveexec_b64 s[70:71], vcc
	s_cbranch_execz .LBB6_2444
; %bb.2439:                             ;   in Loop: Header=BB6_1188 Depth=4
	v_and_b32_e32 v1, 0x7c0000, v2
	v_bfe_u32 v8, v2, 16, 2
	v_cmp_ne_u32_e32 vcc, s36, v1
                                        ; implicit-def: $vgpr1
	s_and_saveexec_b64 s[72:73], vcc
	s_xor_b64 s[72:73], exec, s[72:73]
	s_cbranch_execz .LBB6_2441
; %bb.2440:                             ;   in Loop: Header=BB6_1188 Depth=4
	v_ffbh_u32_e32 v9, v8
	v_min_u32_e32 v9, 32, v9
	v_subrev_u32_e32 v48, 29, v9
	v_bfe_u32 v1, v2, 18, 5
	v_lshlrev_b64 v[48:49], v48, v[6:7]
	v_sub_u32_e32 v9, 30, v9
	v_and_b32_e32 v48, 3, v48
	v_cmp_eq_u32_e32 vcc, 0, v1
	v_cndmask_b32_e32 v1, v1, v9, vcc
	v_cndmask_b32_e32 v8, v8, v48, vcc
	v_bfrev_b32_e32 v48, 28
	v_lshlrev_b32_e32 v9, 24, v6
	v_lshl_add_u32 v1, v1, 23, v48
	v_and_or_b32 v1, v9, s96, v1
	v_lshl_or_b32 v1, v8, 21, v1
                                        ; implicit-def: $vgpr8
.LBB6_2441:                             ;   in Loop: Header=BB6_1188 Depth=4
	s_andn2_saveexec_b64 s[72:73], s[72:73]
; %bb.2442:                             ;   in Loop: Header=BB6_1188 Depth=4
	v_mov_b32_e32 v1, -1
	v_cmp_gt_i16_sdwa vcc, sext(v6), v1 src0_sel:BYTE_0 src1_sel:DWORD
	v_mov_b32_e32 v1, 0xc7600000
	v_mov_b32_e32 v9, 0x47600000
	v_cndmask_b32_e32 v1, v1, v9, vcc
	v_cmp_eq_u32_e32 vcc, 0, v8
	v_mov_b32_e32 v8, 0x7f800001
	v_cndmask_b32_e32 v1, v8, v1, vcc
; %bb.2443:                             ;   in Loop: Header=BB6_1188 Depth=4
	s_or_b64 exec, exec, s[72:73]
.LBB6_2444:                             ;   in Loop: Header=BB6_1188 Depth=4
	s_or_b64 exec, exec, s[70:71]
.LBB6_2445:                             ;   in Loop: Header=BB6_1188 Depth=4
	s_or_b64 exec, exec, s[68:69]
	v_cmp_ne_u16_sdwa vcc, v0, v51 src0_sel:BYTE_0 src1_sel:DWORD
	s_and_saveexec_b64 s[68:69], vcc
	s_cbranch_execz .LBB6_2453
; %bb.2446:                             ;   in Loop: Header=BB6_1188 Depth=4
	v_cmp_ne_u16_sdwa vcc, v0, s97 src0_sel:BYTE_0 src1_sel:DWORD
	v_bfrev_b32_e32 v7, 1
	s_and_saveexec_b64 s[70:71], vcc
	s_cbranch_execz .LBB6_2452
; %bb.2447:                             ;   in Loop: Header=BB6_1188 Depth=4
	v_and_b32_e32 v7, 0x7c0000, v10
	v_bfe_u32 v8, v10, 16, 2
	v_cmp_ne_u32_e32 vcc, s36, v7
                                        ; implicit-def: $vgpr7
	s_and_saveexec_b64 s[72:73], vcc
	s_xor_b64 s[72:73], exec, s[72:73]
	s_cbranch_execz .LBB6_2449
; %bb.2448:                             ;   in Loop: Header=BB6_1188 Depth=4
	v_ffbh_u32_e32 v9, v8
	v_min_u32_e32 v9, 32, v9
	v_subrev_u32_e32 v48, 29, v9
	v_bfe_u32 v7, v10, 18, 5
	v_lshlrev_b64 v[48:49], v48, v[0:1]
	v_sub_u32_e32 v9, 30, v9
	v_and_b32_e32 v48, 3, v48
	v_cmp_eq_u32_e32 vcc, 0, v7
	v_cndmask_b32_e32 v7, v7, v9, vcc
	v_cndmask_b32_e32 v8, v8, v48, vcc
	v_bfrev_b32_e32 v48, 28
	v_lshlrev_b32_e32 v9, 24, v0
	v_lshl_add_u32 v7, v7, 23, v48
	v_and_or_b32 v7, v9, s96, v7
	v_lshl_or_b32 v7, v8, 21, v7
                                        ; implicit-def: $vgpr8
.LBB6_2449:                             ;   in Loop: Header=BB6_1188 Depth=4
	s_andn2_saveexec_b64 s[72:73], s[72:73]
; %bb.2450:                             ;   in Loop: Header=BB6_1188 Depth=4
	v_mov_b32_e32 v7, -1
	v_cmp_gt_i16_sdwa vcc, sext(v0), v7 src0_sel:BYTE_0 src1_sel:DWORD
	v_mov_b32_e32 v7, 0xc7600000
	v_mov_b32_e32 v9, 0x47600000
	v_cndmask_b32_e32 v7, v7, v9, vcc
	v_cmp_eq_u32_e32 vcc, 0, v8
	v_mov_b32_e32 v8, 0x7f800001
	v_cndmask_b32_e32 v7, v8, v7, vcc
; %bb.2451:                             ;   in Loop: Header=BB6_1188 Depth=4
	s_or_b64 exec, exec, s[72:73]
.LBB6_2452:                             ;   in Loop: Header=BB6_1188 Depth=4
	s_or_b64 exec, exec, s[70:71]
.LBB6_2453:                             ;   in Loop: Header=BB6_1188 Depth=4
	s_or_b64 exec, exec, s[68:69]
	v_max_f32_e32 v7, v7, v7
	v_max_f32_e32 v1, v1, v1
	v_max_f32_e32 v1, v1, v7
	s_branch .LBB6_2472
.LBB6_2454:                             ;   in Loop: Header=BB6_1188 Depth=4
                                        ; implicit-def: $vgpr1
	s_cbranch_execz .LBB6_2472
; %bb.2455:                             ;   in Loop: Header=BB6_1188 Depth=4
	v_mov_b32_e32 v7, 0
	v_mov_b32_e32 v1, 0
	s_and_saveexec_b64 s[68:69], s[30:31]
	s_cbranch_execz .LBB6_2463
; %bb.2456:                             ;   in Loop: Header=BB6_1188 Depth=4
	v_cmp_ne_u16_sdwa vcc, v6, s97 src0_sel:BYTE_0 src1_sel:DWORD
	v_bfrev_b32_e32 v1, 1
	s_and_saveexec_b64 s[30:31], vcc
	s_cbranch_execz .LBB6_2462
; %bb.2457:                             ;   in Loop: Header=BB6_1188 Depth=4
	v_and_b32_e32 v1, 0x7c0000, v2
	v_bfe_u32 v8, v2, 16, 2
	v_cmp_ne_u32_e32 vcc, s36, v1
                                        ; implicit-def: $vgpr1
	s_and_saveexec_b64 s[70:71], vcc
	s_xor_b64 s[70:71], exec, s[70:71]
	s_cbranch_execz .LBB6_2459
; %bb.2458:                             ;   in Loop: Header=BB6_1188 Depth=4
	v_ffbh_u32_e32 v9, v8
	v_bfe_u32 v1, v2, 18, 5
	v_min_u32_e32 v9, 32, v9
	v_subrev_u32_e32 v48, 29, v9
	v_sub_u32_e32 v9, 30, v9
	v_cmp_eq_u32_e32 vcc, 0, v1
	v_lshlrev_b64 v[48:49], v48, v[6:7]
	v_cndmask_b32_e32 v1, v1, v9, vcc
	v_bfrev_b32_e32 v9, 28
	v_and_b32_e32 v48, 3, v48
	v_lshlrev_b32_e32 v6, 24, v6
	v_lshl_add_u32 v1, v1, 23, v9
	v_cndmask_b32_e32 v8, v8, v48, vcc
	v_and_or_b32 v1, v6, s96, v1
	v_lshl_or_b32 v1, v8, 21, v1
                                        ; implicit-def: $vgpr8
                                        ; implicit-def: $vgpr6
.LBB6_2459:                             ;   in Loop: Header=BB6_1188 Depth=4
	s_andn2_saveexec_b64 s[70:71], s[70:71]
; %bb.2460:                             ;   in Loop: Header=BB6_1188 Depth=4
	v_mov_b32_e32 v1, -1
	v_cmp_gt_i16_sdwa vcc, sext(v6), v1 src0_sel:BYTE_0 src1_sel:DWORD
	v_mov_b32_e32 v1, 0xc7600000
	v_mov_b32_e32 v6, 0x47600000
	v_cndmask_b32_e32 v1, v1, v6, vcc
	v_cmp_eq_u32_e32 vcc, 0, v8
	v_mov_b32_e32 v6, 0x7f800001
	v_cndmask_b32_e32 v1, v6, v1, vcc
; %bb.2461:                             ;   in Loop: Header=BB6_1188 Depth=4
	s_or_b64 exec, exec, s[70:71]
.LBB6_2462:                             ;   in Loop: Header=BB6_1188 Depth=4
	s_or_b64 exec, exec, s[30:31]
.LBB6_2463:                             ;   in Loop: Header=BB6_1188 Depth=4
	s_or_b64 exec, exec, s[68:69]
	v_cmp_ne_u16_sdwa vcc, v0, v51 src0_sel:BYTE_0 src1_sel:DWORD
	s_and_saveexec_b64 s[30:31], vcc
	s_cbranch_execz .LBB6_2471
; %bb.2464:                             ;   in Loop: Header=BB6_1188 Depth=4
	v_cmp_ne_u16_sdwa vcc, v0, s97 src0_sel:BYTE_0 src1_sel:DWORD
	v_bfrev_b32_e32 v7, 1
	s_and_saveexec_b64 s[68:69], vcc
	s_cbranch_execz .LBB6_2470
; %bb.2465:                             ;   in Loop: Header=BB6_1188 Depth=4
	v_and_b32_e32 v7, 0x7c0000, v10
	v_bfe_u32 v6, v10, 16, 2
	v_cmp_ne_u32_e32 vcc, s36, v7
                                        ; implicit-def: $vgpr7
	s_and_saveexec_b64 s[70:71], vcc
	s_xor_b64 s[70:71], exec, s[70:71]
	s_cbranch_execz .LBB6_2467
; %bb.2466:                             ;   in Loop: Header=BB6_1188 Depth=4
	v_ffbh_u32_e32 v8, v6
	v_min_u32_e32 v48, 32, v8
	v_subrev_u32_e32 v8, 29, v48
	v_bfe_u32 v7, v10, 18, 5
	v_lshlrev_b64 v[8:9], v8, v[0:1]
	v_sub_u32_e32 v9, 30, v48
	v_and_b32_e32 v8, 3, v8
	v_cmp_eq_u32_e32 vcc, 0, v7
	v_cndmask_b32_e32 v7, v7, v9, vcc
	v_cndmask_b32_e32 v6, v6, v8, vcc
	v_bfrev_b32_e32 v8, 28
	v_lshlrev_b32_e32 v0, 24, v0
	v_lshl_add_u32 v7, v7, 23, v8
	v_and_or_b32 v0, v0, s96, v7
	v_lshl_or_b32 v7, v6, 21, v0
                                        ; implicit-def: $vgpr6
                                        ; implicit-def: $vgpr0
.LBB6_2467:                             ;   in Loop: Header=BB6_1188 Depth=4
	s_andn2_saveexec_b64 s[70:71], s[70:71]
; %bb.2468:                             ;   in Loop: Header=BB6_1188 Depth=4
	v_mov_b32_e32 v7, -1
	v_cmp_gt_i16_sdwa vcc, sext(v0), v7 src0_sel:BYTE_0 src1_sel:DWORD
	v_mov_b32_e32 v0, 0xc7600000
	v_mov_b32_e32 v7, 0x47600000
	v_cndmask_b32_e32 v0, v0, v7, vcc
	v_cmp_eq_u32_e32 vcc, 0, v6
	v_mov_b32_e32 v6, 0x7f800001
	v_cndmask_b32_e32 v7, v6, v0, vcc
; %bb.2469:                             ;   in Loop: Header=BB6_1188 Depth=4
	s_or_b64 exec, exec, s[70:71]
.LBB6_2470:                             ;   in Loop: Header=BB6_1188 Depth=4
	s_or_b64 exec, exec, s[68:69]
.LBB6_2471:                             ;   in Loop: Header=BB6_1188 Depth=4
	s_or_b64 exec, exec, s[30:31]
	v_max_f32_e32 v0, v7, v7
	v_max_f32_e32 v1, v1, v1
	v_min_f32_e32 v1, v1, v0
.LBB6_2472:                             ;   in Loop: Header=BB6_1188 Depth=4
	v_and_b32_sdwa v6, v1, s97 dst_sel:DWORD dst_unused:UNUSED_PAD src0_sel:BYTE_3 src1_sel:DWORD
	v_and_b32_e32 v8, 0x7f800000, v1
	v_mov_b32_e32 v9, v51
	v_and_b32_e32 v50, 0x7fffff, v1
	v_or_b32_e32 v48, 0x7b, v6
	v_cmp_ne_u64_e32 vcc, s[52:53], v[8:9]
	s_and_saveexec_b64 s[30:31], vcc
	s_xor_b64 s[68:69], exec, s[30:31]
	s_cbranch_execz .LBB6_2482
; %bb.2473:                             ;   in Loop: Header=BB6_1188 Depth=4
	v_and_b32_e32 v8, 0x7fffffff, v1
	v_mov_b32_e32 v9, v51
	v_cmp_gt_u64_e32 vcc, s[54:55], v[8:9]
	s_and_saveexec_b64 s[70:71], vcc
	s_cbranch_execz .LBB6_2481
; %bb.2474:                             ;   in Loop: Header=BB6_1188 Depth=4
	v_cmp_ne_u32_e32 vcc, 0, v1
	v_mov_b32_e32 v48, 0
	s_and_saveexec_b64 s[72:73], vcc
	s_cbranch_execz .LBB6_2480
; %bb.2475:                             ;   in Loop: Header=BB6_1188 Depth=4
	v_bfe_u32 v0, v1, 23, 8
	v_cmp_eq_u32_e32 vcc, 0, v0
	v_add_u32_e32 v1, 0xffffff81, v0
	v_cmp_gt_u32_e64 s[30:31], s38, v0
	v_sub_u32_e32 v0, 0x71, v0
	v_mov_b32_e32 v8, 0xffffff82
	v_cndmask_b32_e64 v0, 0, v0, s[30:31]
	v_cndmask_b32_e32 v48, v1, v8, vcc
	v_mov_b32_e32 v1, 0x70
	v_cndmask_b32_e32 v49, v0, v1, vcc
	v_add_u32_e32 v0, 21, v49
	v_or_b32_e32 v7, 0x800000, v50
	v_lshlrev_b64 v[0:1], v0, -1
	v_cndmask_b32_e32 v50, v7, v50, vcc
	v_not_b32_e32 v1, v1
	v_not_b32_e32 v0, v0
	v_add_u32_e32 v7, 20, v49
	v_and_b32_e32 v1, 0, v1
	v_and_b32_e32 v0, v50, v0
	v_lshlrev_b64 v[8:9], v7, 1
	v_cmp_eq_u64_e32 vcc, v[0:1], v[8:9]
	v_lshrrev_b64 v[0:1], v49, v[50:51]
	v_lshrrev_b32_e32 v7, 23, v0
	v_add3_u32 v9, v49, v48, v7
	v_bfe_u32 v7, v0, 21, 1
	v_add_u32_e32 v7, -1, v7
	v_cndmask_b32_e32 v7, 0, v7, vcc
	v_add_u32_e32 v7, v7, v0
	v_and_b32_e32 v7, 0x1fffff, v7
	v_add_co_u32_e32 v0, vcc, v7, v0
	v_add_u32_e32 v8, 14, v9
	v_addc_co_u32_e32 v1, vcc, 0, v1, vcc
	v_cmp_ne_u32_e32 vcc, 0, v8
                                        ; implicit-def: $vgpr7
	s_and_saveexec_b64 s[30:31], vcc
	s_xor_b64 s[30:31], exec, s[30:31]
; %bb.2476:                             ;   in Loop: Header=BB6_1188 Depth=4
	v_add_u32_e32 v7, 15, v9
	v_cmp_lt_u64_e32 vcc, s[56:57], v[0:1]
	v_cndmask_b32_e32 v7, v8, v7, vcc
	v_cndmask_b32_e64 v8, 0, 1, vcc
	v_lshrrev_b64 v[0:1], v8, v[0:1]
; %bb.2477:                             ;   in Loop: Header=BB6_1188 Depth=4
	s_andn2_saveexec_b64 vcc, s[30:31]
; %bb.2478:                             ;   in Loop: Header=BB6_1188 Depth=4
	v_bfe_u32 v7, v0, 23, 1
; %bb.2479:                             ;   in Loop: Header=BB6_1188 Depth=4
	s_or_b64 exec, exec, vcc
	v_lshrrev_b64 v[0:1], 21, v[0:1]
	v_cmp_gt_i32_e32 vcc, 32, v7
	v_cndmask_b32_e32 v1, 0, v1, vcc
	v_cndmask_b32_e32 v0, 3, v0, vcc
	v_cmp_eq_u64_e64 s[30:31], 0, v[0:1]
	v_min_i32_e32 v1, 31, v7
	v_cmp_eq_u32_e32 vcc, 0, v7
	v_lshlrev_b32_e32 v1, 2, v1
	v_and_or_b32 v0, v0, 3, v1
	s_and_b64 vcc, vcc, s[30:31]
	v_cndmask_b32_e64 v0, v0, 0, vcc
	v_or_b32_e32 v48, v0, v6
.LBB6_2480:                             ;   in Loop: Header=BB6_1188 Depth=4
	s_or_b64 exec, exec, s[72:73]
.LBB6_2481:                             ;   in Loop: Header=BB6_1188 Depth=4
	s_or_b64 exec, exec, s[70:71]
                                        ; implicit-def: $vgpr1
.LBB6_2482:                             ;   in Loop: Header=BB6_1188 Depth=4
	s_andn2_saveexec_b64 s[30:31], s[68:69]
; %bb.2483:                             ;   in Loop: Header=BB6_1188 Depth=4
	v_or_b32_sdwa v0, v1, s39 dst_sel:DWORD dst_unused:UNUSED_PAD src0_sel:BYTE_3 src1_sel:DWORD
	v_cmp_eq_u64_e32 vcc, 0, v[50:51]
	v_cndmask_b32_e32 v48, v0, v48, vcc
; %bb.2484:                             ;   in Loop: Header=BB6_1188 Depth=4
	s_or_b64 exec, exec, s[30:31]
	v_lshrrev_b32_e32 v6, 24, v2
	v_lshrrev_b32_e32 v0, 24, v10
	s_and_b64 vcc, exec, s[28:29]
	v_cmp_lt_u32_e64 s[30:31], s43, v2
	s_cbranch_vccnz .LBB6_2502
; %bb.2485:                             ;   in Loop: Header=BB6_1188 Depth=4
	v_mov_b32_e32 v7, 0
	v_mov_b32_e32 v1, 0
	s_and_saveexec_b64 s[68:69], s[30:31]
	s_cbranch_execz .LBB6_2493
; %bb.2486:                             ;   in Loop: Header=BB6_1188 Depth=4
	v_cmp_ne_u32_e32 vcc, s97, v6
	v_bfrev_b32_e32 v1, 1
	s_and_saveexec_b64 s[70:71], vcc
	s_cbranch_execz .LBB6_2492
; %bb.2487:                             ;   in Loop: Header=BB6_1188 Depth=4
	v_and_b32_e32 v1, 0x7c000000, v2
	v_bfe_u32 v8, v2, 24, 2
	v_cmp_ne_u32_e32 vcc, s37, v1
                                        ; implicit-def: $vgpr1
	s_and_saveexec_b64 s[72:73], vcc
	s_xor_b64 s[72:73], exec, s[72:73]
	s_cbranch_execz .LBB6_2489
; %bb.2488:                             ;   in Loop: Header=BB6_1188 Depth=4
	v_ffbh_u32_e32 v9, v8
	v_bfe_u32 v1, v2, 26, 5
	v_min_u32_e32 v9, 32, v9
	v_subrev_u32_e32 v49, 29, v9
	v_sub_u32_e32 v9, 30, v9
	v_cmp_eq_u32_e32 vcc, 0, v1
	v_lshlrev_b64 v[52:53], v49, v[6:7]
	v_cndmask_b32_e32 v1, v1, v9, vcc
	v_bfrev_b32_e32 v9, 28
	v_and_b32_e32 v49, 3, v52
	v_lshl_add_u32 v1, v1, 23, v9
	v_cndmask_b32_e32 v8, v8, v49, vcc
	v_and_or_b32 v1, v2, s96, v1
	v_lshl_or_b32 v1, v8, 21, v1
                                        ; implicit-def: $vgpr8
.LBB6_2489:                             ;   in Loop: Header=BB6_1188 Depth=4
	s_andn2_saveexec_b64 s[72:73], s[72:73]
; %bb.2490:                             ;   in Loop: Header=BB6_1188 Depth=4
	v_cmp_lt_i32_e32 vcc, -1, v2
	v_mov_b32_e32 v1, 0xc7600000
	v_mov_b32_e32 v9, 0x47600000
	v_cndmask_b32_e32 v1, v1, v9, vcc
	v_cmp_eq_u32_e32 vcc, 0, v8
	v_mov_b32_e32 v8, 0x7f800001
	v_cndmask_b32_e32 v1, v8, v1, vcc
; %bb.2491:                             ;   in Loop: Header=BB6_1188 Depth=4
	s_or_b64 exec, exec, s[72:73]
.LBB6_2492:                             ;   in Loop: Header=BB6_1188 Depth=4
	s_or_b64 exec, exec, s[70:71]
.LBB6_2493:                             ;   in Loop: Header=BB6_1188 Depth=4
	s_or_b64 exec, exec, s[68:69]
	v_cmp_lt_u32_e32 vcc, s43, v10
	s_and_saveexec_b64 s[68:69], vcc
	s_cbranch_execz .LBB6_2501
; %bb.2494:                             ;   in Loop: Header=BB6_1188 Depth=4
	v_cmp_ne_u32_e32 vcc, s97, v0
	v_bfrev_b32_e32 v7, 1
	s_and_saveexec_b64 s[70:71], vcc
	s_cbranch_execz .LBB6_2500
; %bb.2495:                             ;   in Loop: Header=BB6_1188 Depth=4
	v_and_b32_e32 v7, 0x7c000000, v10
	v_bfe_u32 v8, v10, 24, 2
	v_cmp_ne_u32_e32 vcc, s37, v7
                                        ; implicit-def: $vgpr7
	s_and_saveexec_b64 s[72:73], vcc
	s_xor_b64 s[72:73], exec, s[72:73]
	s_cbranch_execz .LBB6_2497
; %bb.2496:                             ;   in Loop: Header=BB6_1188 Depth=4
	v_ffbh_u32_e32 v9, v8
	v_bfe_u32 v7, v10, 26, 5
	v_min_u32_e32 v9, 32, v9
	v_subrev_u32_e32 v49, 29, v9
	v_sub_u32_e32 v9, 30, v9
	v_cmp_eq_u32_e32 vcc, 0, v7
	v_lshlrev_b64 v[52:53], v49, v[0:1]
	v_cndmask_b32_e32 v7, v7, v9, vcc
	v_bfrev_b32_e32 v9, 28
	v_and_b32_e32 v49, 3, v52
	v_lshl_add_u32 v7, v7, 23, v9
	v_cndmask_b32_e32 v8, v8, v49, vcc
	v_and_or_b32 v7, v10, s96, v7
	v_lshl_or_b32 v7, v8, 21, v7
                                        ; implicit-def: $vgpr8
.LBB6_2497:                             ;   in Loop: Header=BB6_1188 Depth=4
	s_andn2_saveexec_b64 s[72:73], s[72:73]
; %bb.2498:                             ;   in Loop: Header=BB6_1188 Depth=4
	v_cmp_lt_i32_e32 vcc, -1, v10
	v_mov_b32_e32 v7, 0xc7600000
	v_mov_b32_e32 v9, 0x47600000
	v_cndmask_b32_e32 v7, v7, v9, vcc
	v_cmp_eq_u32_e32 vcc, 0, v8
	v_mov_b32_e32 v8, 0x7f800001
	v_cndmask_b32_e32 v7, v8, v7, vcc
; %bb.2499:                             ;   in Loop: Header=BB6_1188 Depth=4
	s_or_b64 exec, exec, s[72:73]
.LBB6_2500:                             ;   in Loop: Header=BB6_1188 Depth=4
	s_or_b64 exec, exec, s[70:71]
.LBB6_2501:                             ;   in Loop: Header=BB6_1188 Depth=4
	s_or_b64 exec, exec, s[68:69]
	v_max_f32_e32 v7, v7, v7
	v_max_f32_e32 v1, v1, v1
	;; [unrolled: 1-line block ×3, first 2 shown]
	s_branch .LBB6_2520
.LBB6_2502:                             ;   in Loop: Header=BB6_1188 Depth=4
                                        ; implicit-def: $vgpr1
	s_cbranch_execz .LBB6_2520
; %bb.2503:                             ;   in Loop: Header=BB6_1188 Depth=4
	v_mov_b32_e32 v7, 0
	v_mov_b32_e32 v1, 0
	s_and_saveexec_b64 s[68:69], s[30:31]
	s_cbranch_execz .LBB6_2511
; %bb.2504:                             ;   in Loop: Header=BB6_1188 Depth=4
	v_cmp_ne_u32_e32 vcc, s97, v6
	v_bfrev_b32_e32 v1, 1
	s_and_saveexec_b64 s[30:31], vcc
	s_cbranch_execz .LBB6_2510
; %bb.2505:                             ;   in Loop: Header=BB6_1188 Depth=4
	v_and_b32_e32 v1, 0x7c000000, v2
	v_bfe_u32 v8, v2, 24, 2
	v_cmp_ne_u32_e32 vcc, s37, v1
                                        ; implicit-def: $vgpr1
	s_and_saveexec_b64 s[70:71], vcc
	s_xor_b64 s[70:71], exec, s[70:71]
	s_cbranch_execz .LBB6_2507
; %bb.2506:                             ;   in Loop: Header=BB6_1188 Depth=4
	v_ffbh_u32_e32 v9, v8
	v_min_u32_e32 v9, 32, v9
	v_subrev_u32_e32 v49, 29, v9
	v_bfe_u32 v1, v2, 26, 5
	v_lshlrev_b64 v[52:53], v49, v[6:7]
	v_sub_u32_e32 v6, 30, v9
	v_and_b32_e32 v9, 3, v52
	v_cmp_eq_u32_e32 vcc, 0, v1
	v_cndmask_b32_e32 v1, v1, v6, vcc
	v_cndmask_b32_e32 v6, v8, v9, vcc
	v_bfrev_b32_e32 v8, 28
	v_lshl_add_u32 v1, v1, 23, v8
	v_and_or_b32 v1, v2, s96, v1
	v_lshl_or_b32 v1, v6, 21, v1
                                        ; implicit-def: $vgpr8
.LBB6_2507:                             ;   in Loop: Header=BB6_1188 Depth=4
	s_andn2_saveexec_b64 s[70:71], s[70:71]
; %bb.2508:                             ;   in Loop: Header=BB6_1188 Depth=4
	v_cmp_lt_i32_e32 vcc, -1, v2
	v_mov_b32_e32 v1, 0xc7600000
	v_mov_b32_e32 v6, 0x47600000
	v_cndmask_b32_e32 v1, v1, v6, vcc
	v_cmp_eq_u32_e32 vcc, 0, v8
	v_mov_b32_e32 v6, 0x7f800001
	v_cndmask_b32_e32 v1, v6, v1, vcc
; %bb.2509:                             ;   in Loop: Header=BB6_1188 Depth=4
	s_or_b64 exec, exec, s[70:71]
.LBB6_2510:                             ;   in Loop: Header=BB6_1188 Depth=4
	s_or_b64 exec, exec, s[30:31]
.LBB6_2511:                             ;   in Loop: Header=BB6_1188 Depth=4
	s_or_b64 exec, exec, s[68:69]
	v_cmp_lt_u32_e32 vcc, s43, v10
	s_and_saveexec_b64 s[30:31], vcc
	s_cbranch_execz .LBB6_2519
; %bb.2512:                             ;   in Loop: Header=BB6_1188 Depth=4
	v_cmp_ne_u32_e32 vcc, s97, v0
	v_bfrev_b32_e32 v7, 1
	s_and_saveexec_b64 s[68:69], vcc
	s_cbranch_execz .LBB6_2518
; %bb.2513:                             ;   in Loop: Header=BB6_1188 Depth=4
	v_and_b32_e32 v7, 0x7c000000, v10
	v_bfe_u32 v6, v10, 24, 2
	v_cmp_ne_u32_e32 vcc, s37, v7
                                        ; implicit-def: $vgpr7
	s_and_saveexec_b64 s[70:71], vcc
	s_xor_b64 s[70:71], exec, s[70:71]
	s_cbranch_execz .LBB6_2515
; %bb.2514:                             ;   in Loop: Header=BB6_1188 Depth=4
	v_ffbh_u32_e32 v8, v6
	v_min_u32_e32 v49, 32, v8
	v_bfe_u32 v7, v10, 26, 5
	v_subrev_u32_e32 v8, 29, v49
	v_lshlrev_b64 v[8:9], v8, v[0:1]
	v_sub_u32_e32 v0, 30, v49
	v_cmp_eq_u32_e32 vcc, 0, v7
	v_cndmask_b32_e32 v0, v7, v0, vcc
	v_bfrev_b32_e32 v7, 28
	v_and_b32_e32 v8, 3, v8
	v_lshl_add_u32 v0, v0, 23, v7
	v_cndmask_b32_e32 v6, v6, v8, vcc
	v_and_or_b32 v0, v10, s96, v0
	v_lshl_or_b32 v7, v6, 21, v0
                                        ; implicit-def: $vgpr6
.LBB6_2515:                             ;   in Loop: Header=BB6_1188 Depth=4
	s_andn2_saveexec_b64 s[70:71], s[70:71]
; %bb.2516:                             ;   in Loop: Header=BB6_1188 Depth=4
	v_cmp_lt_i32_e32 vcc, -1, v10
	v_mov_b32_e32 v0, 0xc7600000
	v_mov_b32_e32 v7, 0x47600000
	v_cndmask_b32_e32 v0, v0, v7, vcc
	v_cmp_eq_u32_e32 vcc, 0, v6
	v_mov_b32_e32 v6, 0x7f800001
	v_cndmask_b32_e32 v7, v6, v0, vcc
; %bb.2517:                             ;   in Loop: Header=BB6_1188 Depth=4
	s_or_b64 exec, exec, s[70:71]
.LBB6_2518:                             ;   in Loop: Header=BB6_1188 Depth=4
	s_or_b64 exec, exec, s[68:69]
.LBB6_2519:                             ;   in Loop: Header=BB6_1188 Depth=4
	s_or_b64 exec, exec, s[30:31]
	v_max_f32_e32 v0, v7, v7
	v_max_f32_e32 v1, v1, v1
	v_min_f32_e32 v1, v1, v0
.LBB6_2520:                             ;   in Loop: Header=BB6_1188 Depth=4
	v_and_b32_sdwa v6, v1, s97 dst_sel:DWORD dst_unused:UNUSED_PAD src0_sel:BYTE_3 src1_sel:DWORD
	v_and_b32_e32 v8, 0x7f800000, v1
	v_mov_b32_e32 v9, v51
	v_and_b32_e32 v50, 0x7fffff, v1
	v_or_b32_e32 v49, 0x7b, v6
	v_cmp_ne_u64_e32 vcc, s[52:53], v[8:9]
	s_and_saveexec_b64 s[30:31], vcc
	s_xor_b64 s[68:69], exec, s[30:31]
	s_cbranch_execz .LBB6_2530
; %bb.2521:                             ;   in Loop: Header=BB6_1188 Depth=4
	v_and_b32_e32 v8, 0x7fffffff, v1
	v_mov_b32_e32 v9, v51
	v_cmp_gt_u64_e32 vcc, s[54:55], v[8:9]
	s_and_saveexec_b64 s[70:71], vcc
	s_cbranch_execz .LBB6_2529
; %bb.2522:                             ;   in Loop: Header=BB6_1188 Depth=4
	v_cmp_ne_u32_e32 vcc, 0, v1
	v_mov_b32_e32 v49, 0
	s_and_saveexec_b64 s[72:73], vcc
	s_cbranch_execz .LBB6_2528
; %bb.2523:                             ;   in Loop: Header=BB6_1188 Depth=4
	v_bfe_u32 v0, v1, 23, 8
	v_cmp_eq_u32_e32 vcc, 0, v0
	v_add_u32_e32 v1, 0xffffff81, v0
	v_cmp_gt_u32_e64 s[30:31], s38, v0
	v_sub_u32_e32 v0, 0x71, v0
	v_mov_b32_e32 v8, 0xffffff82
	v_cndmask_b32_e64 v0, 0, v0, s[30:31]
	v_cndmask_b32_e32 v49, v1, v8, vcc
	v_mov_b32_e32 v1, 0x70
	v_cndmask_b32_e32 v52, v0, v1, vcc
	v_add_u32_e32 v0, 21, v52
	v_or_b32_e32 v7, 0x800000, v50
	v_lshlrev_b64 v[0:1], v0, -1
	v_cndmask_b32_e32 v50, v7, v50, vcc
	v_not_b32_e32 v1, v1
	v_not_b32_e32 v0, v0
	v_add_u32_e32 v7, 20, v52
	v_and_b32_e32 v1, 0, v1
	v_and_b32_e32 v0, v50, v0
	v_lshlrev_b64 v[8:9], v7, 1
	v_cmp_eq_u64_e32 vcc, v[0:1], v[8:9]
	v_lshrrev_b64 v[0:1], v52, v[50:51]
	v_lshrrev_b32_e32 v7, 23, v0
	v_add3_u32 v9, v52, v49, v7
	v_bfe_u32 v7, v0, 21, 1
	v_add_u32_e32 v7, -1, v7
	v_cndmask_b32_e32 v7, 0, v7, vcc
	v_add_u32_e32 v7, v7, v0
	v_and_b32_e32 v7, 0x1fffff, v7
	v_add_co_u32_e32 v0, vcc, v7, v0
	v_add_u32_e32 v8, 14, v9
	v_addc_co_u32_e32 v1, vcc, 0, v1, vcc
	v_cmp_ne_u32_e32 vcc, 0, v8
                                        ; implicit-def: $vgpr7
	s_and_saveexec_b64 s[30:31], vcc
	s_xor_b64 s[30:31], exec, s[30:31]
; %bb.2524:                             ;   in Loop: Header=BB6_1188 Depth=4
	v_add_u32_e32 v7, 15, v9
	v_cmp_lt_u64_e32 vcc, s[56:57], v[0:1]
	v_cndmask_b32_e32 v7, v8, v7, vcc
	v_cndmask_b32_e64 v8, 0, 1, vcc
	v_lshrrev_b64 v[0:1], v8, v[0:1]
; %bb.2525:                             ;   in Loop: Header=BB6_1188 Depth=4
	s_andn2_saveexec_b64 vcc, s[30:31]
; %bb.2526:                             ;   in Loop: Header=BB6_1188 Depth=4
	v_bfe_u32 v7, v0, 23, 1
; %bb.2527:                             ;   in Loop: Header=BB6_1188 Depth=4
	s_or_b64 exec, exec, vcc
	v_lshrrev_b64 v[0:1], 21, v[0:1]
	v_cmp_gt_i32_e32 vcc, 32, v7
	v_cndmask_b32_e32 v1, 0, v1, vcc
	v_cndmask_b32_e32 v0, 3, v0, vcc
	v_cmp_eq_u64_e64 s[30:31], 0, v[0:1]
	v_min_i32_e32 v1, 31, v7
	v_cmp_eq_u32_e32 vcc, 0, v7
	v_lshlrev_b32_e32 v1, 2, v1
	v_and_or_b32 v0, v0, 3, v1
	s_and_b64 vcc, vcc, s[30:31]
	v_cndmask_b32_e64 v0, v0, 0, vcc
	v_or_b32_e32 v49, v0, v6
.LBB6_2528:                             ;   in Loop: Header=BB6_1188 Depth=4
	s_or_b64 exec, exec, s[72:73]
.LBB6_2529:                             ;   in Loop: Header=BB6_1188 Depth=4
	s_or_b64 exec, exec, s[70:71]
                                        ; implicit-def: $vgpr1
.LBB6_2530:                             ;   in Loop: Header=BB6_1188 Depth=4
	s_andn2_saveexec_b64 s[30:31], s[68:69]
; %bb.2531:                             ;   in Loop: Header=BB6_1188 Depth=4
	v_or_b32_sdwa v0, v1, s39 dst_sel:DWORD dst_unused:UNUSED_PAD src0_sel:BYTE_3 src1_sel:DWORD
	v_cmp_eq_u64_e32 vcc, 0, v[50:51]
	v_cndmask_b32_e32 v49, v0, v49, vcc
; %bb.2532:                             ;   in Loop: Header=BB6_1188 Depth=4
	s_or_b64 exec, exec, s[30:31]
	v_mov_b32_e32 v50, v3
	v_mov_b32_e32 v0, v11
	;; [unrolled: 1-line block ×3, first 2 shown]
	s_and_b64 vcc, exec, s[28:29]
	v_cmp_ne_u16_sdwa s[30:31], v3, v51 src0_sel:BYTE_0 src1_sel:DWORD
	s_cbranch_vccnz .LBB6_2550
; %bb.2533:                             ;   in Loop: Header=BB6_1188 Depth=4
	v_mov_b32_e32 v7, 0
	v_mov_b32_e32 v6, 0
	s_and_saveexec_b64 s[68:69], s[30:31]
	s_cbranch_execz .LBB6_2541
; %bb.2534:                             ;   in Loop: Header=BB6_1188 Depth=4
	v_cmp_ne_u16_sdwa vcc, v3, s97 src0_sel:BYTE_0 src1_sel:DWORD
	v_bfrev_b32_e32 v6, 1
	s_and_saveexec_b64 s[70:71], vcc
	s_cbranch_execz .LBB6_2540
; %bb.2535:                             ;   in Loop: Header=BB6_1188 Depth=4
	v_and_b32_e32 v6, 0x7c, v3
	v_and_b32_e32 v8, 3, v3
	v_cmp_ne_u32_e32 vcc, s95, v6
                                        ; implicit-def: $vgpr6
	s_and_saveexec_b64 s[72:73], vcc
	s_xor_b64 s[72:73], exec, s[72:73]
	s_cbranch_execz .LBB6_2537
; %bb.2536:                             ;   in Loop: Header=BB6_1188 Depth=4
	v_ffbh_u32_e32 v9, v8
	v_min_u32_e32 v9, 32, v9
	v_subrev_u32_e32 v52, 29, v9
	v_bfe_u32 v6, v3, 2, 5
	v_lshlrev_b64 v[52:53], v52, v[50:51]
	v_sub_u32_e32 v9, 30, v9
	v_and_b32_e32 v52, 3, v52
	v_cmp_eq_u32_e32 vcc, 0, v6
	v_cndmask_b32_e32 v6, v6, v9, vcc
	v_cndmask_b32_e32 v8, v8, v52, vcc
	v_bfrev_b32_e32 v52, 28
	v_lshlrev_b32_e32 v9, 24, v3
	v_lshl_add_u32 v6, v6, 23, v52
	v_and_or_b32 v6, v9, s96, v6
	v_lshl_or_b32 v6, v8, 21, v6
                                        ; implicit-def: $vgpr8
.LBB6_2537:                             ;   in Loop: Header=BB6_1188 Depth=4
	s_andn2_saveexec_b64 s[72:73], s[72:73]
; %bb.2538:                             ;   in Loop: Header=BB6_1188 Depth=4
	v_mov_b32_e32 v6, -1
	v_cmp_gt_i16_sdwa vcc, sext(v3), v6 src0_sel:BYTE_0 src1_sel:DWORD
	v_mov_b32_e32 v6, 0xc7600000
	v_mov_b32_e32 v9, 0x47600000
	v_cndmask_b32_e32 v6, v6, v9, vcc
	v_cmp_eq_u32_e32 vcc, 0, v8
	v_mov_b32_e32 v8, 0x7f800001
	v_cndmask_b32_e32 v6, v8, v6, vcc
; %bb.2539:                             ;   in Loop: Header=BB6_1188 Depth=4
	s_or_b64 exec, exec, s[72:73]
.LBB6_2540:                             ;   in Loop: Header=BB6_1188 Depth=4
	s_or_b64 exec, exec, s[70:71]
.LBB6_2541:                             ;   in Loop: Header=BB6_1188 Depth=4
	s_or_b64 exec, exec, s[68:69]
	v_cmp_ne_u16_sdwa vcc, v11, v51 src0_sel:BYTE_0 src1_sel:DWORD
	s_and_saveexec_b64 s[68:69], vcc
	s_cbranch_execz .LBB6_2549
; %bb.2542:                             ;   in Loop: Header=BB6_1188 Depth=4
	v_cmp_ne_u16_sdwa vcc, v11, s97 src0_sel:BYTE_0 src1_sel:DWORD
	v_bfrev_b32_e32 v7, 1
	s_and_saveexec_b64 s[70:71], vcc
	s_cbranch_execz .LBB6_2548
; %bb.2543:                             ;   in Loop: Header=BB6_1188 Depth=4
	v_and_b32_e32 v7, 0x7c, v11
	v_and_b32_e32 v8, 3, v11
	v_cmp_ne_u32_e32 vcc, s95, v7
                                        ; implicit-def: $vgpr7
	s_and_saveexec_b64 s[72:73], vcc
	s_xor_b64 s[72:73], exec, s[72:73]
	s_cbranch_execz .LBB6_2545
; %bb.2544:                             ;   in Loop: Header=BB6_1188 Depth=4
	v_ffbh_u32_e32 v9, v8
	v_min_u32_e32 v9, 32, v9
	v_subrev_u32_e32 v52, 29, v9
	v_bfe_u32 v7, v11, 2, 5
	v_lshlrev_b64 v[52:53], v52, v[0:1]
	v_sub_u32_e32 v9, 30, v9
	v_and_b32_e32 v52, 3, v52
	v_cmp_eq_u32_e32 vcc, 0, v7
	v_cndmask_b32_e32 v7, v7, v9, vcc
	v_cndmask_b32_e32 v8, v8, v52, vcc
	v_bfrev_b32_e32 v52, 28
	v_lshlrev_b32_e32 v9, 24, v11
	v_lshl_add_u32 v7, v7, 23, v52
	v_and_or_b32 v7, v9, s96, v7
	v_lshl_or_b32 v7, v8, 21, v7
                                        ; implicit-def: $vgpr8
.LBB6_2545:                             ;   in Loop: Header=BB6_1188 Depth=4
	s_andn2_saveexec_b64 s[72:73], s[72:73]
; %bb.2546:                             ;   in Loop: Header=BB6_1188 Depth=4
	v_mov_b32_e32 v7, -1
	v_cmp_gt_i16_sdwa vcc, sext(v11), v7 src0_sel:BYTE_0 src1_sel:DWORD
	v_mov_b32_e32 v7, 0xc7600000
	v_mov_b32_e32 v9, 0x47600000
	v_cndmask_b32_e32 v7, v7, v9, vcc
	v_cmp_eq_u32_e32 vcc, 0, v8
	v_mov_b32_e32 v8, 0x7f800001
	v_cndmask_b32_e32 v7, v8, v7, vcc
; %bb.2547:                             ;   in Loop: Header=BB6_1188 Depth=4
	s_or_b64 exec, exec, s[72:73]
.LBB6_2548:                             ;   in Loop: Header=BB6_1188 Depth=4
	s_or_b64 exec, exec, s[70:71]
.LBB6_2549:                             ;   in Loop: Header=BB6_1188 Depth=4
	s_or_b64 exec, exec, s[68:69]
	v_max_f32_e32 v7, v7, v7
	v_max_f32_e32 v6, v6, v6
	v_max_f32_e32 v8, v6, v7
	s_branch .LBB6_2568
.LBB6_2550:                             ;   in Loop: Header=BB6_1188 Depth=4
                                        ; implicit-def: $vgpr8
	s_cbranch_execz .LBB6_2568
; %bb.2551:                             ;   in Loop: Header=BB6_1188 Depth=4
	v_mov_b32_e32 v7, 0
	v_mov_b32_e32 v6, 0
	s_and_saveexec_b64 s[68:69], s[30:31]
	s_cbranch_execz .LBB6_2559
; %bb.2552:                             ;   in Loop: Header=BB6_1188 Depth=4
	v_cmp_ne_u16_sdwa vcc, v3, s97 src0_sel:BYTE_0 src1_sel:DWORD
	v_bfrev_b32_e32 v6, 1
	s_and_saveexec_b64 s[30:31], vcc
	s_cbranch_execz .LBB6_2558
; %bb.2553:                             ;   in Loop: Header=BB6_1188 Depth=4
	v_and_b32_e32 v6, 0x7c, v3
	v_and_b32_e32 v8, 3, v3
	v_cmp_ne_u32_e32 vcc, s95, v6
                                        ; implicit-def: $vgpr6
	s_and_saveexec_b64 s[70:71], vcc
	s_xor_b64 s[70:71], exec, s[70:71]
	s_cbranch_execz .LBB6_2555
; %bb.2554:                             ;   in Loop: Header=BB6_1188 Depth=4
	v_ffbh_u32_e32 v9, v8
	v_min_u32_e32 v9, 32, v9
	v_subrev_u32_e32 v52, 29, v9
	v_bfe_u32 v6, v3, 2, 5
	v_lshlrev_b64 v[52:53], v52, v[50:51]
	v_sub_u32_e32 v9, 30, v9
	v_and_b32_e32 v52, 3, v52
	v_cmp_eq_u32_e32 vcc, 0, v6
	v_cndmask_b32_e32 v6, v6, v9, vcc
	v_cndmask_b32_e32 v8, v8, v52, vcc
	v_bfrev_b32_e32 v52, 28
	v_lshlrev_b32_e32 v9, 24, v3
	v_lshl_add_u32 v6, v6, 23, v52
	v_and_or_b32 v6, v9, s96, v6
	v_lshl_or_b32 v6, v8, 21, v6
                                        ; implicit-def: $vgpr8
.LBB6_2555:                             ;   in Loop: Header=BB6_1188 Depth=4
	s_andn2_saveexec_b64 s[70:71], s[70:71]
; %bb.2556:                             ;   in Loop: Header=BB6_1188 Depth=4
	v_mov_b32_e32 v6, -1
	v_cmp_gt_i16_sdwa vcc, sext(v3), v6 src0_sel:BYTE_0 src1_sel:DWORD
	v_mov_b32_e32 v6, 0xc7600000
	v_mov_b32_e32 v9, 0x47600000
	v_cndmask_b32_e32 v6, v6, v9, vcc
	v_cmp_eq_u32_e32 vcc, 0, v8
	v_mov_b32_e32 v8, 0x7f800001
	v_cndmask_b32_e32 v6, v8, v6, vcc
; %bb.2557:                             ;   in Loop: Header=BB6_1188 Depth=4
	s_or_b64 exec, exec, s[70:71]
.LBB6_2558:                             ;   in Loop: Header=BB6_1188 Depth=4
	s_or_b64 exec, exec, s[30:31]
.LBB6_2559:                             ;   in Loop: Header=BB6_1188 Depth=4
	s_or_b64 exec, exec, s[68:69]
	v_cmp_ne_u16_sdwa vcc, v11, v51 src0_sel:BYTE_0 src1_sel:DWORD
	s_and_saveexec_b64 s[30:31], vcc
	s_cbranch_execz .LBB6_2567
; %bb.2560:                             ;   in Loop: Header=BB6_1188 Depth=4
	v_cmp_ne_u16_sdwa vcc, v11, s97 src0_sel:BYTE_0 src1_sel:DWORD
	v_bfrev_b32_e32 v7, 1
	s_and_saveexec_b64 s[68:69], vcc
	s_cbranch_execz .LBB6_2566
; %bb.2561:                             ;   in Loop: Header=BB6_1188 Depth=4
	v_and_b32_e32 v7, 0x7c, v11
	v_and_b32_e32 v8, 3, v11
	v_cmp_ne_u32_e32 vcc, s95, v7
                                        ; implicit-def: $vgpr7
	s_and_saveexec_b64 s[70:71], vcc
	s_xor_b64 s[70:71], exec, s[70:71]
	s_cbranch_execz .LBB6_2563
; %bb.2562:                             ;   in Loop: Header=BB6_1188 Depth=4
	v_ffbh_u32_e32 v9, v8
	v_min_u32_e32 v9, 32, v9
	v_subrev_u32_e32 v52, 29, v9
	v_bfe_u32 v7, v11, 2, 5
	v_lshlrev_b64 v[52:53], v52, v[0:1]
	v_sub_u32_e32 v1, 30, v9
	v_and_b32_e32 v9, 3, v52
	v_cmp_eq_u32_e32 vcc, 0, v7
	v_cndmask_b32_e32 v1, v7, v1, vcc
	v_cndmask_b32_e32 v7, v8, v9, vcc
	v_bfrev_b32_e32 v9, 28
	v_lshlrev_b32_e32 v8, 24, v11
	v_lshl_add_u32 v1, v1, 23, v9
	v_and_or_b32 v1, v8, s96, v1
	v_lshl_or_b32 v7, v7, 21, v1
                                        ; implicit-def: $vgpr8
.LBB6_2563:                             ;   in Loop: Header=BB6_1188 Depth=4
	s_andn2_saveexec_b64 s[70:71], s[70:71]
; %bb.2564:                             ;   in Loop: Header=BB6_1188 Depth=4
	v_mov_b32_e32 v1, -1
	v_cmp_gt_i16_sdwa vcc, sext(v11), v1 src0_sel:BYTE_0 src1_sel:DWORD
	v_mov_b32_e32 v1, 0xc7600000
	v_mov_b32_e32 v7, 0x47600000
	v_cndmask_b32_e32 v1, v1, v7, vcc
	v_cmp_eq_u32_e32 vcc, 0, v8
	v_mov_b32_e32 v7, 0x7f800001
	v_cndmask_b32_e32 v7, v7, v1, vcc
; %bb.2565:                             ;   in Loop: Header=BB6_1188 Depth=4
	s_or_b64 exec, exec, s[70:71]
.LBB6_2566:                             ;   in Loop: Header=BB6_1188 Depth=4
	s_or_b64 exec, exec, s[68:69]
.LBB6_2567:                             ;   in Loop: Header=BB6_1188 Depth=4
	s_or_b64 exec, exec, s[30:31]
	v_max_f32_e32 v1, v7, v7
	v_max_f32_e32 v6, v6, v6
	v_min_f32_e32 v8, v6, v1
.LBB6_2568:                             ;   in Loop: Header=BB6_1188 Depth=4
	v_and_b32_sdwa v1, v8, s97 dst_sel:DWORD dst_unused:UNUSED_PAD src0_sel:BYTE_3 src1_sel:DWORD
	v_and_b32_e32 v54, 0x7f800000, v8
	v_mov_b32_e32 v55, v51
	v_and_b32_e32 v6, 0x7fffff, v8
	v_mov_b32_e32 v7, v51
	v_or_b32_e32 v52, 0x7b, v1
	v_cmp_ne_u64_e32 vcc, s[52:53], v[54:55]
	s_and_saveexec_b64 s[30:31], vcc
	s_xor_b64 s[68:69], exec, s[30:31]
	s_cbranch_execz .LBB6_2578
; %bb.2569:                             ;   in Loop: Header=BB6_1188 Depth=4
	v_and_b32_e32 v54, 0x7fffffff, v8
	v_mov_b32_e32 v55, v51
	v_cmp_gt_u64_e32 vcc, s[54:55], v[54:55]
	s_and_saveexec_b64 s[70:71], vcc
	s_cbranch_execz .LBB6_2577
; %bb.2570:                             ;   in Loop: Header=BB6_1188 Depth=4
	v_cmp_ne_u32_e32 vcc, 0, v8
	v_mov_b32_e32 v52, 0
	s_and_saveexec_b64 s[72:73], vcc
	s_cbranch_execz .LBB6_2576
; %bb.2571:                             ;   in Loop: Header=BB6_1188 Depth=4
	v_bfe_u32 v8, v8, 23, 8
	v_cmp_eq_u32_e32 vcc, 0, v8
	v_add_u32_e32 v9, 0xffffff81, v8
	v_cmp_gt_u32_e64 s[30:31], s38, v8
	v_sub_u32_e32 v8, 0x71, v8
	v_mov_b32_e32 v53, 0xffffff82
	v_cndmask_b32_e64 v8, 0, v8, s[30:31]
	v_cndmask_b32_e32 v54, v9, v53, vcc
	v_mov_b32_e32 v9, 0x70
	v_cndmask_b32_e32 v55, v8, v9, vcc
	v_add_u32_e32 v8, 21, v55
	v_or_b32_e32 v52, 0x800000, v6
	v_lshlrev_b64 v[8:9], v8, -1
	v_cndmask_b32_e32 v6, v52, v6, vcc
	v_not_b32_e32 v9, v9
	v_not_b32_e32 v8, v8
	v_add_u32_e32 v52, 20, v55
	v_and_b32_e32 v9, 0, v9
	v_and_b32_e32 v8, v6, v8
	v_lshlrev_b64 v[52:53], v52, 1
	v_lshrrev_b64 v[6:7], v55, v[6:7]
	v_cmp_eq_u64_e32 vcc, v[8:9], v[52:53]
	v_lshrrev_b32_e32 v8, 23, v6
	v_add3_u32 v52, v55, v54, v8
	v_bfe_u32 v8, v6, 21, 1
	v_add_u32_e32 v8, -1, v8
	v_cndmask_b32_e32 v8, 0, v8, vcc
	v_add_u32_e32 v8, v8, v6
	v_and_b32_e32 v8, 0x1fffff, v8
	v_add_co_u32_e32 v6, vcc, v8, v6
	v_add_u32_e32 v9, 14, v52
	v_addc_co_u32_e32 v7, vcc, 0, v7, vcc
	v_cmp_ne_u32_e32 vcc, 0, v9
                                        ; implicit-def: $vgpr8
	s_and_saveexec_b64 s[30:31], vcc
	s_xor_b64 s[30:31], exec, s[30:31]
; %bb.2572:                             ;   in Loop: Header=BB6_1188 Depth=4
	v_add_u32_e32 v8, 15, v52
	v_cmp_lt_u64_e32 vcc, s[56:57], v[6:7]
	v_cndmask_b32_e32 v8, v9, v8, vcc
	v_cndmask_b32_e64 v9, 0, 1, vcc
	v_lshrrev_b64 v[6:7], v9, v[6:7]
; %bb.2573:                             ;   in Loop: Header=BB6_1188 Depth=4
	s_andn2_saveexec_b64 vcc, s[30:31]
; %bb.2574:                             ;   in Loop: Header=BB6_1188 Depth=4
	v_bfe_u32 v8, v6, 23, 1
; %bb.2575:                             ;   in Loop: Header=BB6_1188 Depth=4
	s_or_b64 exec, exec, vcc
	v_lshrrev_b64 v[6:7], 21, v[6:7]
	v_cmp_gt_i32_e32 vcc, 32, v8
	v_cndmask_b32_e32 v7, 0, v7, vcc
	v_cndmask_b32_e32 v6, 3, v6, vcc
	v_cmp_eq_u64_e64 s[30:31], 0, v[6:7]
	v_min_i32_e32 v7, 31, v8
	v_cmp_eq_u32_e32 vcc, 0, v8
	v_lshlrev_b32_e32 v7, 2, v7
	v_and_or_b32 v6, v6, 3, v7
	s_and_b64 vcc, vcc, s[30:31]
	v_cndmask_b32_e64 v6, v6, 0, vcc
	v_or_b32_e32 v52, v6, v1
.LBB6_2576:                             ;   in Loop: Header=BB6_1188 Depth=4
	s_or_b64 exec, exec, s[72:73]
.LBB6_2577:                             ;   in Loop: Header=BB6_1188 Depth=4
	s_or_b64 exec, exec, s[70:71]
                                        ; implicit-def: $vgpr8
                                        ; implicit-def: $vgpr6_vgpr7
.LBB6_2578:                             ;   in Loop: Header=BB6_1188 Depth=4
	s_andn2_saveexec_b64 s[30:31], s[68:69]
; %bb.2579:                             ;   in Loop: Header=BB6_1188 Depth=4
	v_or_b32_sdwa v1, v8, s39 dst_sel:DWORD dst_unused:UNUSED_PAD src0_sel:BYTE_3 src1_sel:DWORD
	v_cmp_eq_u64_e32 vcc, 0, v[6:7]
	v_cndmask_b32_e32 v52, v1, v52, vcc
; %bb.2580:                             ;   in Loop: Header=BB6_1188 Depth=4
	s_or_b64 exec, exec, s[30:31]
	v_lshrrev_b16_e32 v8, 8, v50
	v_lshrrev_b16_e32 v6, 8, v0
	s_and_b64 vcc, exec, s[28:29]
	v_cmp_ne_u16_e64 s[30:31], 0, v8
	s_cbranch_vccnz .LBB6_2598
; %bb.2581:                             ;   in Loop: Header=BB6_1188 Depth=4
	v_mov_b32_e32 v7, 0
	v_mov_b32_e32 v1, 0
	s_and_saveexec_b64 s[68:69], s[30:31]
	s_cbranch_execz .LBB6_2589
; %bb.2582:                             ;   in Loop: Header=BB6_1188 Depth=4
	v_cmp_ne_u16_e32 vcc, s97, v8
	v_bfrev_b32_e32 v1, 1
	s_and_saveexec_b64 s[70:71], vcc
	s_cbranch_execz .LBB6_2588
; %bb.2583:                             ;   in Loop: Header=BB6_1188 Depth=4
	v_and_b32_e32 v1, 0x7c, v8
	v_and_b32_e32 v53, 3, v8
	v_cmp_ne_u32_e32 vcc, s95, v1
                                        ; implicit-def: $vgpr1
	s_and_saveexec_b64 s[72:73], vcc
	s_xor_b64 s[72:73], exec, s[72:73]
	s_cbranch_execz .LBB6_2585
; %bb.2584:                             ;   in Loop: Header=BB6_1188 Depth=4
	v_ffbh_u32_e32 v54, v53
	v_min_u32_e32 v42, 32, v54
	v_mov_b32_e32 v9, v51
	v_subrev_u32_e32 v54, 29, v42
	v_bfe_u32 v1, v8, 2, 5
	v_lshlrev_b64 v[54:55], v54, v[8:9]
	v_sub_u32_e32 v9, 30, v42
	v_and_b32_e32 v54, 3, v54
	v_cmp_eq_u32_e32 vcc, 0, v1
	v_cndmask_b32_e32 v1, v1, v9, vcc
	v_cndmask_b32_e32 v9, v53, v54, vcc
	v_bfrev_b32_e32 v54, 28
	v_lshlrev_b32_e32 v53, 16, v50
	v_lshl_add_u32 v1, v1, 23, v54
	v_and_or_b32 v1, v53, s96, v1
	v_lshl_or_b32 v1, v9, 21, v1
                                        ; implicit-def: $vgpr53
.LBB6_2585:                             ;   in Loop: Header=BB6_1188 Depth=4
	s_andn2_saveexec_b64 s[72:73], s[72:73]
; %bb.2586:                             ;   in Loop: Header=BB6_1188 Depth=4
	v_cmp_lt_i16_e32 vcc, -1, v50
	v_mov_b32_e32 v1, 0xc7600000
	v_mov_b32_e32 v9, 0x47600000
	v_cndmask_b32_e32 v1, v1, v9, vcc
	v_cmp_eq_u32_e32 vcc, 0, v53
	v_mov_b32_e32 v9, 0x7f800001
	v_cndmask_b32_e32 v1, v9, v1, vcc
; %bb.2587:                             ;   in Loop: Header=BB6_1188 Depth=4
	s_or_b64 exec, exec, s[72:73]
.LBB6_2588:                             ;   in Loop: Header=BB6_1188 Depth=4
	s_or_b64 exec, exec, s[70:71]
.LBB6_2589:                             ;   in Loop: Header=BB6_1188 Depth=4
	s_or_b64 exec, exec, s[68:69]
	v_cmp_ne_u16_e32 vcc, 0, v6
	s_and_saveexec_b64 s[68:69], vcc
	s_cbranch_execz .LBB6_2597
; %bb.2590:                             ;   in Loop: Header=BB6_1188 Depth=4
	v_cmp_ne_u16_e32 vcc, s97, v6
	v_bfrev_b32_e32 v7, 1
	s_and_saveexec_b64 s[70:71], vcc
	s_cbranch_execz .LBB6_2596
; %bb.2591:                             ;   in Loop: Header=BB6_1188 Depth=4
	v_and_b32_e32 v7, 0x7c, v6
	v_and_b32_e32 v9, 3, v6
	v_cmp_ne_u32_e32 vcc, s95, v7
                                        ; implicit-def: $vgpr7
	s_and_saveexec_b64 s[72:73], vcc
	s_xor_b64 s[72:73], exec, s[72:73]
	s_cbranch_execz .LBB6_2593
; %bb.2592:                             ;   in Loop: Header=BB6_1188 Depth=4
	v_ffbh_u32_e32 v54, v9
	v_min_u32_e32 v42, 32, v54
	v_mov_b32_e32 v7, v51
	v_subrev_u32_e32 v54, 29, v42
	v_bfe_u32 v53, v6, 2, 5
	v_lshlrev_b64 v[54:55], v54, v[6:7]
	v_sub_u32_e32 v7, 30, v42
	v_and_b32_e32 v54, 3, v54
	v_cmp_eq_u32_e32 vcc, 0, v53
	v_cndmask_b32_e32 v7, v53, v7, vcc
	v_cndmask_b32_e32 v9, v9, v54, vcc
	v_bfrev_b32_e32 v54, 28
	v_lshlrev_b32_e32 v53, 16, v0
	v_lshl_add_u32 v7, v7, 23, v54
	v_and_or_b32 v7, v53, s96, v7
	v_lshl_or_b32 v7, v9, 21, v7
                                        ; implicit-def: $vgpr9
.LBB6_2593:                             ;   in Loop: Header=BB6_1188 Depth=4
	s_andn2_saveexec_b64 s[72:73], s[72:73]
; %bb.2594:                             ;   in Loop: Header=BB6_1188 Depth=4
	v_cmp_lt_i16_e32 vcc, -1, v0
	v_mov_b32_e32 v7, 0xc7600000
	v_mov_b32_e32 v53, 0x47600000
	v_cndmask_b32_e32 v7, v7, v53, vcc
	v_cmp_eq_u32_e32 vcc, 0, v9
	v_mov_b32_e32 v9, 0x7f800001
	v_cndmask_b32_e32 v7, v9, v7, vcc
; %bb.2595:                             ;   in Loop: Header=BB6_1188 Depth=4
	s_or_b64 exec, exec, s[72:73]
.LBB6_2596:                             ;   in Loop: Header=BB6_1188 Depth=4
	s_or_b64 exec, exec, s[70:71]
.LBB6_2597:                             ;   in Loop: Header=BB6_1188 Depth=4
	s_or_b64 exec, exec, s[68:69]
	v_max_f32_e32 v7, v7, v7
	v_max_f32_e32 v1, v1, v1
	;; [unrolled: 1-line block ×3, first 2 shown]
	s_branch .LBB6_2616
.LBB6_2598:                             ;   in Loop: Header=BB6_1188 Depth=4
                                        ; implicit-def: $vgpr1
	s_cbranch_execz .LBB6_2616
; %bb.2599:                             ;   in Loop: Header=BB6_1188 Depth=4
	v_mov_b32_e32 v7, 0
	v_mov_b32_e32 v9, 0
	s_and_saveexec_b64 s[68:69], s[30:31]
	s_cbranch_execz .LBB6_2607
; %bb.2600:                             ;   in Loop: Header=BB6_1188 Depth=4
	v_cmp_ne_u16_e32 vcc, s97, v8
	v_bfrev_b32_e32 v9, 1
	s_and_saveexec_b64 s[30:31], vcc
	s_cbranch_execz .LBB6_2606
; %bb.2601:                             ;   in Loop: Header=BB6_1188 Depth=4
	v_and_b32_e32 v9, 0x7c, v8
	v_and_b32_e32 v1, 3, v8
	v_cmp_ne_u32_e32 vcc, s95, v9
                                        ; implicit-def: $vgpr9
	s_and_saveexec_b64 s[70:71], vcc
	s_xor_b64 s[70:71], exec, s[70:71]
	s_cbranch_execz .LBB6_2603
; %bb.2602:                             ;   in Loop: Header=BB6_1188 Depth=4
	v_ffbh_u32_e32 v54, v1
	v_min_u32_e32 v54, 32, v54
	v_mov_b32_e32 v9, v51
	v_subrev_u32_e32 v55, 29, v54
	v_bfe_u32 v53, v8, 2, 5
	v_lshlrev_b64 v[8:9], v55, v[8:9]
	v_sub_u32_e32 v9, 30, v54
	v_and_b32_e32 v8, 3, v8
	v_cmp_eq_u32_e32 vcc, 0, v53
	v_cndmask_b32_e32 v9, v53, v9, vcc
	v_cndmask_b32_e32 v1, v1, v8, vcc
	v_lshlrev_b32_e32 v8, 16, v50
	v_bfrev_b32_e32 v50, 28
	v_lshl_add_u32 v9, v9, 23, v50
	v_and_or_b32 v8, v8, s96, v9
	v_lshl_or_b32 v9, v1, 21, v8
                                        ; implicit-def: $vgpr1
.LBB6_2603:                             ;   in Loop: Header=BB6_1188 Depth=4
	s_andn2_saveexec_b64 s[70:71], s[70:71]
; %bb.2604:                             ;   in Loop: Header=BB6_1188 Depth=4
	v_cmp_lt_i16_e32 vcc, -1, v50
	v_mov_b32_e32 v8, 0xc7600000
	v_mov_b32_e32 v9, 0x47600000
	v_cndmask_b32_e32 v8, v8, v9, vcc
	v_cmp_eq_u32_e32 vcc, 0, v1
	v_mov_b32_e32 v1, 0x7f800001
	v_cndmask_b32_e32 v9, v1, v8, vcc
; %bb.2605:                             ;   in Loop: Header=BB6_1188 Depth=4
	s_or_b64 exec, exec, s[70:71]
.LBB6_2606:                             ;   in Loop: Header=BB6_1188 Depth=4
	s_or_b64 exec, exec, s[30:31]
.LBB6_2607:                             ;   in Loop: Header=BB6_1188 Depth=4
	s_or_b64 exec, exec, s[68:69]
	v_cmp_ne_u16_e32 vcc, 0, v6
	s_and_saveexec_b64 s[30:31], vcc
	s_cbranch_execz .LBB6_2615
; %bb.2608:                             ;   in Loop: Header=BB6_1188 Depth=4
	v_cmp_ne_u16_e32 vcc, s97, v6
	v_bfrev_b32_e32 v7, 1
	s_and_saveexec_b64 s[68:69], vcc
	s_cbranch_execz .LBB6_2614
; %bb.2609:                             ;   in Loop: Header=BB6_1188 Depth=4
	v_and_b32_e32 v1, 0x7c, v6
	v_and_b32_e32 v8, 3, v6
	v_cmp_ne_u32_e32 vcc, s95, v1
                                        ; implicit-def: $vgpr7
	s_and_saveexec_b64 s[70:71], vcc
	s_xor_b64 s[70:71], exec, s[70:71]
	s_cbranch_execz .LBB6_2611
; %bb.2610:                             ;   in Loop: Header=BB6_1188 Depth=4
	v_ffbh_u32_e32 v50, v8
	v_min_u32_e32 v50, 32, v50
	v_mov_b32_e32 v7, v51
	v_subrev_u32_e32 v53, 29, v50
	v_bfe_u32 v1, v6, 2, 5
	v_lshlrev_b64 v[6:7], v53, v[6:7]
	v_sub_u32_e32 v7, 30, v50
	v_cmp_eq_u32_e32 vcc, 0, v1
	v_cndmask_b32_e32 v1, v1, v7, vcc
	v_bfrev_b32_e32 v7, 28
	v_and_b32_e32 v6, 3, v6
	v_lshlrev_b32_e32 v0, 16, v0
	v_lshl_add_u32 v1, v1, 23, v7
	v_cndmask_b32_e32 v6, v8, v6, vcc
	v_and_or_b32 v0, v0, s96, v1
	v_lshl_or_b32 v7, v6, 21, v0
                                        ; implicit-def: $vgpr8
                                        ; implicit-def: $vgpr0_vgpr1
.LBB6_2611:                             ;   in Loop: Header=BB6_1188 Depth=4
	s_andn2_saveexec_b64 s[70:71], s[70:71]
; %bb.2612:                             ;   in Loop: Header=BB6_1188 Depth=4
	v_cmp_lt_i16_e32 vcc, -1, v0
	v_mov_b32_e32 v0, 0xc7600000
	v_mov_b32_e32 v1, 0x47600000
	v_cndmask_b32_e32 v0, v0, v1, vcc
	v_cmp_eq_u32_e32 vcc, 0, v8
	v_mov_b32_e32 v1, 0x7f800001
	v_cndmask_b32_e32 v7, v1, v0, vcc
; %bb.2613:                             ;   in Loop: Header=BB6_1188 Depth=4
	s_or_b64 exec, exec, s[70:71]
.LBB6_2614:                             ;   in Loop: Header=BB6_1188 Depth=4
	s_or_b64 exec, exec, s[68:69]
.LBB6_2615:                             ;   in Loop: Header=BB6_1188 Depth=4
	s_or_b64 exec, exec, s[30:31]
	v_max_f32_e32 v0, v7, v7
	v_max_f32_e32 v1, v9, v9
	v_min_f32_e32 v1, v1, v0
.LBB6_2616:                             ;   in Loop: Header=BB6_1188 Depth=4
	v_and_b32_sdwa v6, v1, s97 dst_sel:DWORD dst_unused:UNUSED_PAD src0_sel:BYTE_3 src1_sel:DWORD
	v_and_b32_e32 v8, 0x7f800000, v1
	v_mov_b32_e32 v9, v51
	v_and_b32_e32 v50, 0x7fffff, v1
	v_or_b32_e32 v7, 0x7b, v6
	v_cmp_ne_u64_e32 vcc, s[52:53], v[8:9]
	s_and_saveexec_b64 s[30:31], vcc
	s_xor_b64 s[68:69], exec, s[30:31]
	s_cbranch_execz .LBB6_2626
; %bb.2617:                             ;   in Loop: Header=BB6_1188 Depth=4
	v_and_b32_e32 v8, 0x7fffffff, v1
	v_mov_b32_e32 v9, v51
	v_cmp_gt_u64_e32 vcc, s[54:55], v[8:9]
	s_and_saveexec_b64 s[70:71], vcc
	s_cbranch_execz .LBB6_2625
; %bb.2618:                             ;   in Loop: Header=BB6_1188 Depth=4
	v_cmp_ne_u32_e32 vcc, 0, v1
	v_mov_b32_e32 v7, 0
	s_and_saveexec_b64 s[72:73], vcc
	s_cbranch_execz .LBB6_2624
; %bb.2619:                             ;   in Loop: Header=BB6_1188 Depth=4
	v_bfe_u32 v0, v1, 23, 8
	v_cmp_eq_u32_e32 vcc, 0, v0
	v_add_u32_e32 v1, 0xffffff81, v0
	v_cmp_gt_u32_e64 s[30:31], s38, v0
	v_sub_u32_e32 v0, 0x71, v0
	v_mov_b32_e32 v8, 0xffffff82
	v_cndmask_b32_e64 v0, 0, v0, s[30:31]
	v_cndmask_b32_e32 v53, v1, v8, vcc
	v_mov_b32_e32 v1, 0x70
	v_cndmask_b32_e32 v54, v0, v1, vcc
	v_add_u32_e32 v0, 21, v54
	v_or_b32_e32 v7, 0x800000, v50
	v_lshlrev_b64 v[0:1], v0, -1
	v_cndmask_b32_e32 v50, v7, v50, vcc
	v_not_b32_e32 v1, v1
	v_not_b32_e32 v0, v0
	v_add_u32_e32 v7, 20, v54
	v_and_b32_e32 v1, 0, v1
	v_and_b32_e32 v0, v50, v0
	v_lshlrev_b64 v[8:9], v7, 1
	v_cmp_eq_u64_e32 vcc, v[0:1], v[8:9]
	v_lshrrev_b64 v[0:1], v54, v[50:51]
	v_lshrrev_b32_e32 v7, 23, v0
	v_add3_u32 v9, v54, v53, v7
	v_bfe_u32 v7, v0, 21, 1
	v_add_u32_e32 v7, -1, v7
	v_cndmask_b32_e32 v7, 0, v7, vcc
	v_add_u32_e32 v7, v7, v0
	v_and_b32_e32 v7, 0x1fffff, v7
	v_add_co_u32_e32 v0, vcc, v7, v0
	v_add_u32_e32 v8, 14, v9
	v_addc_co_u32_e32 v1, vcc, 0, v1, vcc
	v_cmp_ne_u32_e32 vcc, 0, v8
                                        ; implicit-def: $vgpr7
	s_and_saveexec_b64 s[30:31], vcc
	s_xor_b64 s[30:31], exec, s[30:31]
; %bb.2620:                             ;   in Loop: Header=BB6_1188 Depth=4
	v_add_u32_e32 v7, 15, v9
	v_cmp_lt_u64_e32 vcc, s[56:57], v[0:1]
	v_cndmask_b32_e32 v7, v8, v7, vcc
	v_cndmask_b32_e64 v8, 0, 1, vcc
	v_lshrrev_b64 v[0:1], v8, v[0:1]
; %bb.2621:                             ;   in Loop: Header=BB6_1188 Depth=4
	s_andn2_saveexec_b64 vcc, s[30:31]
; %bb.2622:                             ;   in Loop: Header=BB6_1188 Depth=4
	v_bfe_u32 v7, v0, 23, 1
; %bb.2623:                             ;   in Loop: Header=BB6_1188 Depth=4
	s_or_b64 exec, exec, vcc
	v_lshrrev_b64 v[0:1], 21, v[0:1]
	v_cmp_gt_i32_e32 vcc, 32, v7
	v_cndmask_b32_e32 v1, 0, v1, vcc
	v_cndmask_b32_e32 v0, 3, v0, vcc
	v_cmp_eq_u64_e64 s[30:31], 0, v[0:1]
	v_min_i32_e32 v1, 31, v7
	v_cmp_eq_u32_e32 vcc, 0, v7
	v_lshlrev_b32_e32 v1, 2, v1
	v_and_or_b32 v0, v0, 3, v1
	s_and_b64 vcc, vcc, s[30:31]
	v_cndmask_b32_e64 v0, v0, 0, vcc
	v_or_b32_e32 v7, v0, v6
.LBB6_2624:                             ;   in Loop: Header=BB6_1188 Depth=4
	s_or_b64 exec, exec, s[72:73]
.LBB6_2625:                             ;   in Loop: Header=BB6_1188 Depth=4
	s_or_b64 exec, exec, s[70:71]
                                        ; implicit-def: $vgpr1
.LBB6_2626:                             ;   in Loop: Header=BB6_1188 Depth=4
	s_andn2_saveexec_b64 s[30:31], s[68:69]
; %bb.2627:                             ;   in Loop: Header=BB6_1188 Depth=4
	v_or_b32_sdwa v0, v1, s39 dst_sel:DWORD dst_unused:UNUSED_PAD src0_sel:BYTE_3 src1_sel:DWORD
	v_cmp_eq_u64_e32 vcc, 0, v[50:51]
	v_cndmask_b32_e32 v7, v0, v7, vcc
; %bb.2628:                             ;   in Loop: Header=BB6_1188 Depth=4
	s_or_b64 exec, exec, s[30:31]
	v_lshrrev_b32_e32 v6, 16, v3
	v_lshrrev_b32_e32 v0, 16, v11
	s_and_b64 vcc, exec, s[28:29]
	v_cmp_ne_u16_sdwa s[30:31], v6, v51 src0_sel:BYTE_0 src1_sel:DWORD
	s_cbranch_vccnz .LBB6_2646
; %bb.2629:                             ;   in Loop: Header=BB6_1188 Depth=4
	v_mov_b32_e32 v8, 0
	v_mov_b32_e32 v1, 0
	s_and_saveexec_b64 s[68:69], s[30:31]
	s_cbranch_execz .LBB6_2637
; %bb.2630:                             ;   in Loop: Header=BB6_1188 Depth=4
	v_cmp_ne_u16_sdwa vcc, v6, s97 src0_sel:BYTE_0 src1_sel:DWORD
	v_bfrev_b32_e32 v1, 1
	s_and_saveexec_b64 s[70:71], vcc
	s_cbranch_execz .LBB6_2636
; %bb.2631:                             ;   in Loop: Header=BB6_1188 Depth=4
	v_and_b32_e32 v1, 0x7c0000, v3
	v_bfe_u32 v9, v3, 16, 2
	v_cmp_ne_u32_e32 vcc, s36, v1
                                        ; implicit-def: $vgpr1
	s_and_saveexec_b64 s[72:73], vcc
	s_xor_b64 s[72:73], exec, s[72:73]
	s_cbranch_execz .LBB6_2633
; %bb.2632:                             ;   in Loop: Header=BB6_1188 Depth=4
	v_ffbh_u32_e32 v50, v9
	v_min_u32_e32 v50, 32, v50
	v_subrev_u32_e32 v53, 29, v50
	v_bfe_u32 v1, v3, 18, 5
	v_lshlrev_b64 v[54:55], v53, v[6:7]
	v_sub_u32_e32 v50, 30, v50
	v_and_b32_e32 v53, 3, v54
	v_cmp_eq_u32_e32 vcc, 0, v1
	v_cndmask_b32_e32 v1, v1, v50, vcc
	v_cndmask_b32_e32 v9, v9, v53, vcc
	v_bfrev_b32_e32 v53, 28
	v_lshlrev_b32_e32 v50, 24, v6
	v_lshl_add_u32 v1, v1, 23, v53
	v_and_or_b32 v1, v50, s96, v1
	v_lshl_or_b32 v1, v9, 21, v1
                                        ; implicit-def: $vgpr9
.LBB6_2633:                             ;   in Loop: Header=BB6_1188 Depth=4
	s_andn2_saveexec_b64 s[72:73], s[72:73]
; %bb.2634:                             ;   in Loop: Header=BB6_1188 Depth=4
	v_mov_b32_e32 v1, -1
	v_cmp_gt_i16_sdwa vcc, sext(v6), v1 src0_sel:BYTE_0 src1_sel:DWORD
	v_mov_b32_e32 v1, 0xc7600000
	v_mov_b32_e32 v50, 0x47600000
	v_cndmask_b32_e32 v1, v1, v50, vcc
	v_cmp_eq_u32_e32 vcc, 0, v9
	v_mov_b32_e32 v9, 0x7f800001
	v_cndmask_b32_e32 v1, v9, v1, vcc
; %bb.2635:                             ;   in Loop: Header=BB6_1188 Depth=4
	s_or_b64 exec, exec, s[72:73]
.LBB6_2636:                             ;   in Loop: Header=BB6_1188 Depth=4
	s_or_b64 exec, exec, s[70:71]
.LBB6_2637:                             ;   in Loop: Header=BB6_1188 Depth=4
	s_or_b64 exec, exec, s[68:69]
	v_cmp_ne_u16_sdwa vcc, v0, v51 src0_sel:BYTE_0 src1_sel:DWORD
	s_and_saveexec_b64 s[68:69], vcc
	s_cbranch_execz .LBB6_2645
; %bb.2638:                             ;   in Loop: Header=BB6_1188 Depth=4
	v_cmp_ne_u16_sdwa vcc, v0, s97 src0_sel:BYTE_0 src1_sel:DWORD
	v_bfrev_b32_e32 v8, 1
	s_and_saveexec_b64 s[70:71], vcc
	s_cbranch_execz .LBB6_2644
; %bb.2639:                             ;   in Loop: Header=BB6_1188 Depth=4
	v_and_b32_e32 v8, 0x7c0000, v11
	v_bfe_u32 v9, v11, 16, 2
	v_cmp_ne_u32_e32 vcc, s36, v8
                                        ; implicit-def: $vgpr8
	s_and_saveexec_b64 s[72:73], vcc
	s_xor_b64 s[72:73], exec, s[72:73]
	s_cbranch_execz .LBB6_2641
; %bb.2640:                             ;   in Loop: Header=BB6_1188 Depth=4
	v_ffbh_u32_e32 v50, v9
	v_min_u32_e32 v50, 32, v50
	v_subrev_u32_e32 v53, 29, v50
	v_bfe_u32 v8, v11, 18, 5
	v_lshlrev_b64 v[54:55], v53, v[0:1]
	v_sub_u32_e32 v50, 30, v50
	v_and_b32_e32 v53, 3, v54
	v_cmp_eq_u32_e32 vcc, 0, v8
	v_cndmask_b32_e32 v8, v8, v50, vcc
	v_cndmask_b32_e32 v9, v9, v53, vcc
	v_bfrev_b32_e32 v53, 28
	v_lshlrev_b32_e32 v50, 24, v0
	v_lshl_add_u32 v8, v8, 23, v53
	v_and_or_b32 v8, v50, s96, v8
	v_lshl_or_b32 v8, v9, 21, v8
                                        ; implicit-def: $vgpr9
.LBB6_2641:                             ;   in Loop: Header=BB6_1188 Depth=4
	s_andn2_saveexec_b64 s[72:73], s[72:73]
; %bb.2642:                             ;   in Loop: Header=BB6_1188 Depth=4
	v_mov_b32_e32 v8, -1
	v_cmp_gt_i16_sdwa vcc, sext(v0), v8 src0_sel:BYTE_0 src1_sel:DWORD
	v_mov_b32_e32 v8, 0xc7600000
	v_mov_b32_e32 v50, 0x47600000
	v_cndmask_b32_e32 v8, v8, v50, vcc
	v_cmp_eq_u32_e32 vcc, 0, v9
	v_mov_b32_e32 v9, 0x7f800001
	v_cndmask_b32_e32 v8, v9, v8, vcc
; %bb.2643:                             ;   in Loop: Header=BB6_1188 Depth=4
	s_or_b64 exec, exec, s[72:73]
.LBB6_2644:                             ;   in Loop: Header=BB6_1188 Depth=4
	s_or_b64 exec, exec, s[70:71]
.LBB6_2645:                             ;   in Loop: Header=BB6_1188 Depth=4
	s_or_b64 exec, exec, s[68:69]
	v_max_f32_e32 v8, v8, v8
	v_max_f32_e32 v1, v1, v1
	;; [unrolled: 1-line block ×3, first 2 shown]
	s_branch .LBB6_2664
.LBB6_2646:                             ;   in Loop: Header=BB6_1188 Depth=4
                                        ; implicit-def: $vgpr1
	s_cbranch_execz .LBB6_2664
; %bb.2647:                             ;   in Loop: Header=BB6_1188 Depth=4
	v_mov_b32_e32 v8, 0
	v_mov_b32_e32 v1, 0
	s_and_saveexec_b64 s[68:69], s[30:31]
	s_cbranch_execz .LBB6_2655
; %bb.2648:                             ;   in Loop: Header=BB6_1188 Depth=4
	v_cmp_ne_u16_sdwa vcc, v6, s97 src0_sel:BYTE_0 src1_sel:DWORD
	v_bfrev_b32_e32 v1, 1
	s_and_saveexec_b64 s[30:31], vcc
	s_cbranch_execz .LBB6_2654
; %bb.2649:                             ;   in Loop: Header=BB6_1188 Depth=4
	v_and_b32_e32 v1, 0x7c0000, v3
	v_bfe_u32 v9, v3, 16, 2
	v_cmp_ne_u32_e32 vcc, s36, v1
                                        ; implicit-def: $vgpr1
	s_and_saveexec_b64 s[70:71], vcc
	s_xor_b64 s[70:71], exec, s[70:71]
	s_cbranch_execz .LBB6_2651
; %bb.2650:                             ;   in Loop: Header=BB6_1188 Depth=4
	v_ffbh_u32_e32 v50, v9
	v_bfe_u32 v1, v3, 18, 5
	v_min_u32_e32 v50, 32, v50
	v_subrev_u32_e32 v53, 29, v50
	v_sub_u32_e32 v50, 30, v50
	v_cmp_eq_u32_e32 vcc, 0, v1
	v_lshlrev_b64 v[54:55], v53, v[6:7]
	v_cndmask_b32_e32 v1, v1, v50, vcc
	v_bfrev_b32_e32 v50, 28
	v_and_b32_e32 v53, 3, v54
	v_lshlrev_b32_e32 v6, 24, v6
	v_lshl_add_u32 v1, v1, 23, v50
	v_cndmask_b32_e32 v9, v9, v53, vcc
	v_and_or_b32 v1, v6, s96, v1
	v_lshl_or_b32 v1, v9, 21, v1
                                        ; implicit-def: $vgpr9
                                        ; implicit-def: $vgpr6
.LBB6_2651:                             ;   in Loop: Header=BB6_1188 Depth=4
	s_andn2_saveexec_b64 s[70:71], s[70:71]
; %bb.2652:                             ;   in Loop: Header=BB6_1188 Depth=4
	v_mov_b32_e32 v1, -1
	v_cmp_gt_i16_sdwa vcc, sext(v6), v1 src0_sel:BYTE_0 src1_sel:DWORD
	v_mov_b32_e32 v1, 0xc7600000
	v_mov_b32_e32 v6, 0x47600000
	v_cndmask_b32_e32 v1, v1, v6, vcc
	v_cmp_eq_u32_e32 vcc, 0, v9
	v_mov_b32_e32 v6, 0x7f800001
	v_cndmask_b32_e32 v1, v6, v1, vcc
; %bb.2653:                             ;   in Loop: Header=BB6_1188 Depth=4
	s_or_b64 exec, exec, s[70:71]
.LBB6_2654:                             ;   in Loop: Header=BB6_1188 Depth=4
	s_or_b64 exec, exec, s[30:31]
.LBB6_2655:                             ;   in Loop: Header=BB6_1188 Depth=4
	s_or_b64 exec, exec, s[68:69]
	v_cmp_ne_u16_sdwa vcc, v0, v51 src0_sel:BYTE_0 src1_sel:DWORD
	s_and_saveexec_b64 s[30:31], vcc
	s_cbranch_execz .LBB6_2663
; %bb.2656:                             ;   in Loop: Header=BB6_1188 Depth=4
	v_cmp_ne_u16_sdwa vcc, v0, s97 src0_sel:BYTE_0 src1_sel:DWORD
	v_bfrev_b32_e32 v8, 1
	s_and_saveexec_b64 s[68:69], vcc
	s_cbranch_execz .LBB6_2662
; %bb.2657:                             ;   in Loop: Header=BB6_1188 Depth=4
	v_and_b32_e32 v8, 0x7c0000, v11
	v_bfe_u32 v6, v11, 16, 2
	v_cmp_ne_u32_e32 vcc, s36, v8
                                        ; implicit-def: $vgpr8
	s_and_saveexec_b64 s[70:71], vcc
	s_xor_b64 s[70:71], exec, s[70:71]
	s_cbranch_execz .LBB6_2659
; %bb.2658:                             ;   in Loop: Header=BB6_1188 Depth=4
	v_ffbh_u32_e32 v8, v6
	v_min_u32_e32 v53, 32, v8
	v_subrev_u32_e32 v8, 29, v53
	v_bfe_u32 v50, v11, 18, 5
	v_lshlrev_b64 v[8:9], v8, v[0:1]
	v_sub_u32_e32 v9, 30, v53
	v_and_b32_e32 v8, 3, v8
	v_cmp_eq_u32_e32 vcc, 0, v50
	v_cndmask_b32_e32 v9, v50, v9, vcc
	v_cndmask_b32_e32 v6, v6, v8, vcc
	v_bfrev_b32_e32 v8, 28
	v_lshlrev_b32_e32 v0, 24, v0
	v_lshl_add_u32 v8, v9, 23, v8
	v_and_or_b32 v0, v0, s96, v8
	v_lshl_or_b32 v8, v6, 21, v0
                                        ; implicit-def: $vgpr6
                                        ; implicit-def: $vgpr0
.LBB6_2659:                             ;   in Loop: Header=BB6_1188 Depth=4
	s_andn2_saveexec_b64 s[70:71], s[70:71]
; %bb.2660:                             ;   in Loop: Header=BB6_1188 Depth=4
	v_mov_b32_e32 v8, -1
	v_cmp_gt_i16_sdwa vcc, sext(v0), v8 src0_sel:BYTE_0 src1_sel:DWORD
	v_mov_b32_e32 v0, 0xc7600000
	v_mov_b32_e32 v8, 0x47600000
	v_cndmask_b32_e32 v0, v0, v8, vcc
	v_cmp_eq_u32_e32 vcc, 0, v6
	v_mov_b32_e32 v6, 0x7f800001
	v_cndmask_b32_e32 v8, v6, v0, vcc
; %bb.2661:                             ;   in Loop: Header=BB6_1188 Depth=4
	s_or_b64 exec, exec, s[70:71]
.LBB6_2662:                             ;   in Loop: Header=BB6_1188 Depth=4
	s_or_b64 exec, exec, s[68:69]
.LBB6_2663:                             ;   in Loop: Header=BB6_1188 Depth=4
	s_or_b64 exec, exec, s[30:31]
	v_max_f32_e32 v0, v8, v8
	v_max_f32_e32 v1, v1, v1
	v_min_f32_e32 v1, v1, v0
.LBB6_2664:                             ;   in Loop: Header=BB6_1188 Depth=4
	v_and_b32_sdwa v6, v1, s97 dst_sel:DWORD dst_unused:UNUSED_PAD src0_sel:BYTE_3 src1_sel:DWORD
	v_and_b32_e32 v54, 0x7f800000, v1
	v_mov_b32_e32 v55, v51
	v_and_b32_e32 v50, 0x7fffff, v1
	v_or_b32_e32 v8, 0x7b, v6
	v_cmp_ne_u64_e32 vcc, s[52:53], v[54:55]
	s_and_saveexec_b64 s[30:31], vcc
	s_xor_b64 s[68:69], exec, s[30:31]
	s_cbranch_execz .LBB6_2674
; %bb.2665:                             ;   in Loop: Header=BB6_1188 Depth=4
	v_and_b32_e32 v54, 0x7fffffff, v1
	v_mov_b32_e32 v55, v51
	v_cmp_gt_u64_e32 vcc, s[54:55], v[54:55]
	s_and_saveexec_b64 s[70:71], vcc
	s_cbranch_execz .LBB6_2673
; %bb.2666:                             ;   in Loop: Header=BB6_1188 Depth=4
	v_cmp_ne_u32_e32 vcc, 0, v1
	v_mov_b32_e32 v8, 0
	s_and_saveexec_b64 s[72:73], vcc
	s_cbranch_execz .LBB6_2672
; %bb.2667:                             ;   in Loop: Header=BB6_1188 Depth=4
	v_bfe_u32 v0, v1, 23, 8
	v_cmp_eq_u32_e32 vcc, 0, v0
	v_add_u32_e32 v1, 0xffffff81, v0
	v_cmp_gt_u32_e64 s[30:31], s38, v0
	v_sub_u32_e32 v0, 0x71, v0
	v_mov_b32_e32 v9, 0xffffff82
	v_cndmask_b32_e64 v0, 0, v0, s[30:31]
	v_cndmask_b32_e32 v53, v1, v9, vcc
	v_mov_b32_e32 v1, 0x70
	v_cndmask_b32_e32 v54, v0, v1, vcc
	v_add_u32_e32 v0, 21, v54
	v_or_b32_e32 v8, 0x800000, v50
	v_lshlrev_b64 v[0:1], v0, -1
	v_cndmask_b32_e32 v50, v8, v50, vcc
	v_not_b32_e32 v1, v1
	v_not_b32_e32 v0, v0
	v_add_u32_e32 v8, 20, v54
	v_and_b32_e32 v1, 0, v1
	v_and_b32_e32 v0, v50, v0
	v_lshlrev_b64 v[8:9], v8, 1
	v_cmp_eq_u64_e32 vcc, v[0:1], v[8:9]
	v_lshrrev_b64 v[0:1], v54, v[50:51]
	v_lshrrev_b32_e32 v8, 23, v0
	v_add3_u32 v50, v54, v53, v8
	v_bfe_u32 v8, v0, 21, 1
	v_add_u32_e32 v8, -1, v8
	v_cndmask_b32_e32 v8, 0, v8, vcc
	v_add_u32_e32 v8, v8, v0
	v_and_b32_e32 v8, 0x1fffff, v8
	v_add_co_u32_e32 v0, vcc, v8, v0
	v_add_u32_e32 v9, 14, v50
	v_addc_co_u32_e32 v1, vcc, 0, v1, vcc
	v_cmp_ne_u32_e32 vcc, 0, v9
                                        ; implicit-def: $vgpr8
	s_and_saveexec_b64 s[30:31], vcc
	s_xor_b64 s[30:31], exec, s[30:31]
; %bb.2668:                             ;   in Loop: Header=BB6_1188 Depth=4
	v_add_u32_e32 v8, 15, v50
	v_cmp_lt_u64_e32 vcc, s[56:57], v[0:1]
	v_cndmask_b32_e32 v8, v9, v8, vcc
	v_cndmask_b32_e64 v9, 0, 1, vcc
	v_lshrrev_b64 v[0:1], v9, v[0:1]
; %bb.2669:                             ;   in Loop: Header=BB6_1188 Depth=4
	s_andn2_saveexec_b64 vcc, s[30:31]
; %bb.2670:                             ;   in Loop: Header=BB6_1188 Depth=4
	v_bfe_u32 v8, v0, 23, 1
; %bb.2671:                             ;   in Loop: Header=BB6_1188 Depth=4
	s_or_b64 exec, exec, vcc
	v_lshrrev_b64 v[0:1], 21, v[0:1]
	v_cmp_gt_i32_e32 vcc, 32, v8
	v_cndmask_b32_e32 v1, 0, v1, vcc
	v_cndmask_b32_e32 v0, 3, v0, vcc
	v_cmp_eq_u64_e64 s[30:31], 0, v[0:1]
	v_min_i32_e32 v1, 31, v8
	v_cmp_eq_u32_e32 vcc, 0, v8
	v_lshlrev_b32_e32 v1, 2, v1
	v_and_or_b32 v0, v0, 3, v1
	s_and_b64 vcc, vcc, s[30:31]
	v_cndmask_b32_e64 v0, v0, 0, vcc
	v_or_b32_e32 v8, v0, v6
.LBB6_2672:                             ;   in Loop: Header=BB6_1188 Depth=4
	s_or_b64 exec, exec, s[72:73]
.LBB6_2673:                             ;   in Loop: Header=BB6_1188 Depth=4
	s_or_b64 exec, exec, s[70:71]
                                        ; implicit-def: $vgpr1
.LBB6_2674:                             ;   in Loop: Header=BB6_1188 Depth=4
	s_andn2_saveexec_b64 s[30:31], s[68:69]
; %bb.2675:                             ;   in Loop: Header=BB6_1188 Depth=4
	v_or_b32_sdwa v0, v1, s39 dst_sel:DWORD dst_unused:UNUSED_PAD src0_sel:BYTE_3 src1_sel:DWORD
	v_cmp_eq_u64_e32 vcc, 0, v[50:51]
	v_cndmask_b32_e32 v8, v0, v8, vcc
; %bb.2676:                             ;   in Loop: Header=BB6_1188 Depth=4
	s_or_b64 exec, exec, s[30:31]
	v_lshrrev_b32_e32 v6, 24, v3
	v_lshrrev_b32_e32 v0, 24, v11
	s_and_b64 vcc, exec, s[28:29]
	v_cmp_lt_u64_e64 s[28:29], s[42:43], v[2:3]
	s_cbranch_vccnz .LBB6_2694
; %bb.2677:                             ;   in Loop: Header=BB6_1188 Depth=4
	v_mov_b32_e32 v9, 0
	v_mov_b32_e32 v1, 0
	s_and_saveexec_b64 s[30:31], s[28:29]
	s_cbranch_execz .LBB6_2685
; %bb.2678:                             ;   in Loop: Header=BB6_1188 Depth=4
	v_cmp_ne_u32_e32 vcc, s97, v6
	v_bfrev_b32_e32 v1, 1
	s_and_saveexec_b64 s[68:69], vcc
	s_cbranch_execz .LBB6_2684
; %bb.2679:                             ;   in Loop: Header=BB6_1188 Depth=4
	v_and_b32_e32 v1, 0x7c000000, v3
	v_bfe_u32 v50, v3, 24, 2
	v_cmp_ne_u32_e32 vcc, s37, v1
                                        ; implicit-def: $vgpr1
	s_and_saveexec_b64 s[70:71], vcc
	s_xor_b64 s[70:71], exec, s[70:71]
	s_cbranch_execz .LBB6_2681
; %bb.2680:                             ;   in Loop: Header=BB6_1188 Depth=4
	v_ffbh_u32_e32 v53, v50
	v_bfe_u32 v1, v3, 26, 5
	v_min_u32_e32 v53, 32, v53
	v_subrev_u32_e32 v54, 29, v53
	v_sub_u32_e32 v53, 30, v53
	v_cmp_eq_u32_e32 vcc, 0, v1
	v_lshlrev_b64 v[54:55], v54, v[6:7]
	v_cndmask_b32_e32 v1, v1, v53, vcc
	v_bfrev_b32_e32 v53, 28
	v_and_b32_e32 v54, 3, v54
	v_lshl_add_u32 v1, v1, 23, v53
	v_cndmask_b32_e32 v50, v50, v54, vcc
	v_and_or_b32 v1, v3, s96, v1
	v_lshl_or_b32 v1, v50, 21, v1
                                        ; implicit-def: $vgpr50
.LBB6_2681:                             ;   in Loop: Header=BB6_1188 Depth=4
	s_andn2_saveexec_b64 s[70:71], s[70:71]
; %bb.2682:                             ;   in Loop: Header=BB6_1188 Depth=4
	v_cmp_lt_i64_e32 vcc, -1, v[2:3]
	v_mov_b32_e32 v1, 0xc7600000
	v_mov_b32_e32 v53, 0x47600000
	v_cndmask_b32_e32 v1, v1, v53, vcc
	v_cmp_eq_u32_e32 vcc, 0, v50
	v_mov_b32_e32 v50, 0x7f800001
	v_cndmask_b32_e32 v1, v50, v1, vcc
; %bb.2683:                             ;   in Loop: Header=BB6_1188 Depth=4
	s_or_b64 exec, exec, s[70:71]
.LBB6_2684:                             ;   in Loop: Header=BB6_1188 Depth=4
	s_or_b64 exec, exec, s[68:69]
.LBB6_2685:                             ;   in Loop: Header=BB6_1188 Depth=4
	s_or_b64 exec, exec, s[30:31]
	v_cmp_lt_u64_e32 vcc, s[42:43], v[10:11]
	s_and_saveexec_b64 s[30:31], vcc
	s_cbranch_execz .LBB6_2693
; %bb.2686:                             ;   in Loop: Header=BB6_1188 Depth=4
	v_cmp_ne_u32_e32 vcc, s97, v0
	v_bfrev_b32_e32 v9, 1
	s_and_saveexec_b64 s[68:69], vcc
	s_cbranch_execz .LBB6_2692
; %bb.2687:                             ;   in Loop: Header=BB6_1188 Depth=4
	v_and_b32_e32 v9, 0x7c000000, v11
	v_bfe_u32 v50, v11, 24, 2
	v_cmp_ne_u32_e32 vcc, s37, v9
                                        ; implicit-def: $vgpr9
	s_and_saveexec_b64 s[70:71], vcc
	s_xor_b64 s[70:71], exec, s[70:71]
	s_cbranch_execz .LBB6_2689
; %bb.2688:                             ;   in Loop: Header=BB6_1188 Depth=4
	v_ffbh_u32_e32 v53, v50
	v_bfe_u32 v9, v11, 26, 5
	v_min_u32_e32 v53, 32, v53
	v_subrev_u32_e32 v54, 29, v53
	v_sub_u32_e32 v53, 30, v53
	v_cmp_eq_u32_e32 vcc, 0, v9
	v_lshlrev_b64 v[54:55], v54, v[0:1]
	v_cndmask_b32_e32 v9, v9, v53, vcc
	v_bfrev_b32_e32 v53, 28
	v_and_b32_e32 v54, 3, v54
	v_lshl_add_u32 v9, v9, 23, v53
	v_cndmask_b32_e32 v50, v50, v54, vcc
	v_and_or_b32 v9, v11, s96, v9
	v_lshl_or_b32 v9, v50, 21, v9
                                        ; implicit-def: $vgpr50
.LBB6_2689:                             ;   in Loop: Header=BB6_1188 Depth=4
	s_andn2_saveexec_b64 s[70:71], s[70:71]
; %bb.2690:                             ;   in Loop: Header=BB6_1188 Depth=4
	v_cmp_lt_i64_e32 vcc, -1, v[10:11]
	v_mov_b32_e32 v9, 0xc7600000
	v_mov_b32_e32 v53, 0x47600000
	v_cndmask_b32_e32 v9, v9, v53, vcc
	v_cmp_eq_u32_e32 vcc, 0, v50
	v_mov_b32_e32 v50, 0x7f800001
	v_cndmask_b32_e32 v9, v50, v9, vcc
; %bb.2691:                             ;   in Loop: Header=BB6_1188 Depth=4
	s_or_b64 exec, exec, s[70:71]
.LBB6_2692:                             ;   in Loop: Header=BB6_1188 Depth=4
	s_or_b64 exec, exec, s[68:69]
.LBB6_2693:                             ;   in Loop: Header=BB6_1188 Depth=4
	s_or_b64 exec, exec, s[30:31]
	v_max_f32_e32 v9, v9, v9
	v_max_f32_e32 v1, v1, v1
	;; [unrolled: 1-line block ×3, first 2 shown]
	s_branch .LBB6_2712
.LBB6_2694:                             ;   in Loop: Header=BB6_1188 Depth=4
                                        ; implicit-def: $vgpr1
	s_cbranch_execz .LBB6_2712
; %bb.2695:                             ;   in Loop: Header=BB6_1188 Depth=4
	v_mov_b32_e32 v9, 0
	v_mov_b32_e32 v1, 0
	s_and_saveexec_b64 s[30:31], s[28:29]
	s_cbranch_execz .LBB6_2703
; %bb.2696:                             ;   in Loop: Header=BB6_1188 Depth=4
	v_cmp_ne_u32_e32 vcc, s97, v6
	v_bfrev_b32_e32 v1, 1
	s_and_saveexec_b64 s[28:29], vcc
	s_cbranch_execz .LBB6_2702
; %bb.2697:                             ;   in Loop: Header=BB6_1188 Depth=4
	v_and_b32_e32 v1, 0x7c000000, v3
	v_bfe_u32 v50, v3, 24, 2
	v_cmp_ne_u32_e32 vcc, s37, v1
                                        ; implicit-def: $vgpr1
	s_and_saveexec_b64 s[68:69], vcc
	s_xor_b64 s[68:69], exec, s[68:69]
	s_cbranch_execz .LBB6_2699
; %bb.2698:                             ;   in Loop: Header=BB6_1188 Depth=4
	v_ffbh_u32_e32 v2, v50
	v_min_u32_e32 v2, 32, v2
	v_subrev_u32_e32 v53, 29, v2
	v_bfe_u32 v1, v3, 26, 5
	v_lshlrev_b64 v[54:55], v53, v[6:7]
	v_sub_u32_e32 v2, 30, v2
	v_and_b32_e32 v6, 3, v54
	v_cmp_eq_u32_e32 vcc, 0, v1
	v_cndmask_b32_e32 v1, v1, v2, vcc
	v_cndmask_b32_e32 v2, v50, v6, vcc
	v_bfrev_b32_e32 v6, 28
	v_lshl_add_u32 v1, v1, 23, v6
	v_and_or_b32 v1, v3, s96, v1
	v_lshl_or_b32 v1, v2, 21, v1
                                        ; implicit-def: $vgpr50
                                        ; implicit-def: $vgpr2_vgpr3
.LBB6_2699:                             ;   in Loop: Header=BB6_1188 Depth=4
	s_andn2_saveexec_b64 s[68:69], s[68:69]
; %bb.2700:                             ;   in Loop: Header=BB6_1188 Depth=4
	v_cmp_lt_i64_e32 vcc, -1, v[2:3]
	v_mov_b32_e32 v1, 0xc7600000
	v_mov_b32_e32 v2, 0x47600000
	v_cndmask_b32_e32 v1, v1, v2, vcc
	v_cmp_eq_u32_e32 vcc, 0, v50
	v_mov_b32_e32 v2, 0x7f800001
	v_cndmask_b32_e32 v1, v2, v1, vcc
; %bb.2701:                             ;   in Loop: Header=BB6_1188 Depth=4
	s_or_b64 exec, exec, s[68:69]
.LBB6_2702:                             ;   in Loop: Header=BB6_1188 Depth=4
	s_or_b64 exec, exec, s[28:29]
.LBB6_2703:                             ;   in Loop: Header=BB6_1188 Depth=4
	s_or_b64 exec, exec, s[30:31]
	v_cmp_lt_u64_e32 vcc, s[42:43], v[10:11]
	s_and_saveexec_b64 s[28:29], vcc
	s_cbranch_execz .LBB6_2711
; %bb.2704:                             ;   in Loop: Header=BB6_1188 Depth=4
	v_cmp_ne_u32_e32 vcc, s97, v0
	v_bfrev_b32_e32 v9, 1
	s_and_saveexec_b64 s[30:31], vcc
	s_cbranch_execz .LBB6_2710
; %bb.2705:                             ;   in Loop: Header=BB6_1188 Depth=4
	v_and_b32_e32 v3, 0x7c000000, v11
	v_bfe_u32 v2, v11, 24, 2
	v_cmp_ne_u32_e32 vcc, s37, v3
                                        ; implicit-def: $vgpr9
	s_and_saveexec_b64 s[68:69], vcc
	s_xor_b64 s[68:69], exec, s[68:69]
	s_cbranch_execz .LBB6_2707
; %bb.2706:                             ;   in Loop: Header=BB6_1188 Depth=4
	v_ffbh_u32_e32 v6, v2
	v_min_u32_e32 v6, 32, v6
	v_bfe_u32 v3, v11, 26, 5
	v_subrev_u32_e32 v9, 29, v6
	v_lshlrev_b64 v[54:55], v9, v[0:1]
	v_sub_u32_e32 v0, 30, v6
	v_cmp_eq_u32_e32 vcc, 0, v3
	v_cndmask_b32_e32 v0, v3, v0, vcc
	v_bfrev_b32_e32 v3, 28
	v_and_b32_e32 v6, 3, v54
	v_lshl_add_u32 v0, v0, 23, v3
	v_cndmask_b32_e32 v2, v2, v6, vcc
	v_and_or_b32 v0, v11, s96, v0
	v_lshl_or_b32 v9, v2, 21, v0
                                        ; implicit-def: $vgpr2
                                        ; implicit-def: $vgpr10_vgpr11
.LBB6_2707:                             ;   in Loop: Header=BB6_1188 Depth=4
	s_andn2_saveexec_b64 s[68:69], s[68:69]
; %bb.2708:                             ;   in Loop: Header=BB6_1188 Depth=4
	v_cmp_lt_i64_e32 vcc, -1, v[10:11]
	v_mov_b32_e32 v0, 0xc7600000
	v_mov_b32_e32 v3, 0x47600000
	v_cndmask_b32_e32 v0, v0, v3, vcc
	v_cmp_eq_u32_e32 vcc, 0, v2
	v_mov_b32_e32 v2, 0x7f800001
	v_cndmask_b32_e32 v9, v2, v0, vcc
; %bb.2709:                             ;   in Loop: Header=BB6_1188 Depth=4
	s_or_b64 exec, exec, s[68:69]
.LBB6_2710:                             ;   in Loop: Header=BB6_1188 Depth=4
	s_or_b64 exec, exec, s[30:31]
.LBB6_2711:                             ;   in Loop: Header=BB6_1188 Depth=4
	s_or_b64 exec, exec, s[28:29]
	v_max_f32_e32 v0, v9, v9
	v_max_f32_e32 v1, v1, v1
	v_min_f32_e32 v1, v1, v0
.LBB6_2712:                             ;   in Loop: Header=BB6_1188 Depth=4
	v_and_b32_sdwa v2, v1, s97 dst_sel:DWORD dst_unused:UNUSED_PAD src0_sel:BYTE_3 src1_sel:DWORD
	v_and_b32_e32 v10, 0x7f800000, v1
	v_mov_b32_e32 v11, v51
	v_and_b32_e32 v50, 0x7fffff, v1
	v_or_b32_e32 v0, 0x7b, v2
	v_cmp_ne_u64_e32 vcc, s[52:53], v[10:11]
	s_and_saveexec_b64 s[28:29], vcc
	s_xor_b64 s[30:31], exec, s[28:29]
	s_cbranch_execz .LBB6_2722
; %bb.2713:                             ;   in Loop: Header=BB6_1188 Depth=4
	v_and_b32_e32 v10, 0x7fffffff, v1
	v_mov_b32_e32 v11, v51
	v_cmp_gt_u64_e32 vcc, s[54:55], v[10:11]
	s_and_saveexec_b64 s[68:69], vcc
	s_cbranch_execz .LBB6_2721
; %bb.2714:                             ;   in Loop: Header=BB6_1188 Depth=4
	v_cmp_ne_u32_e32 vcc, 0, v1
	v_mov_b32_e32 v0, 0
	s_and_saveexec_b64 s[70:71], vcc
	s_cbranch_execz .LBB6_2720
; %bb.2715:                             ;   in Loop: Header=BB6_1188 Depth=4
	v_bfe_u32 v0, v1, 23, 8
	v_cmp_eq_u32_e32 vcc, 0, v0
	v_add_u32_e32 v1, 0xffffff81, v0
	v_cmp_gt_u32_e64 s[28:29], s38, v0
	v_sub_u32_e32 v0, 0x71, v0
	v_mov_b32_e32 v6, 0xffffff82
	v_cndmask_b32_e64 v0, 0, v0, s[28:29]
	v_cndmask_b32_e32 v6, v1, v6, vcc
	v_mov_b32_e32 v1, 0x70
	v_cndmask_b32_e32 v9, v0, v1, vcc
	v_add_u32_e32 v0, 21, v9
	v_or_b32_e32 v3, 0x800000, v50
	v_lshlrev_b64 v[0:1], v0, -1
	v_cndmask_b32_e32 v50, v3, v50, vcc
	v_not_b32_e32 v1, v1
	v_not_b32_e32 v0, v0
	v_add_u32_e32 v3, 20, v9
	v_and_b32_e32 v1, 0, v1
	v_and_b32_e32 v0, v50, v0
	v_lshlrev_b64 v[10:11], v3, 1
	v_cmp_eq_u64_e32 vcc, v[0:1], v[10:11]
	v_lshrrev_b64 v[0:1], v9, v[50:51]
	v_lshrrev_b32_e32 v3, 23, v0
	v_add3_u32 v9, v9, v6, v3
	v_bfe_u32 v3, v0, 21, 1
	v_add_u32_e32 v3, -1, v3
	v_cndmask_b32_e32 v3, 0, v3, vcc
	v_add_u32_e32 v3, v3, v0
	v_and_b32_e32 v3, 0x1fffff, v3
	v_add_co_u32_e32 v0, vcc, v3, v0
	v_add_u32_e32 v6, 14, v9
	v_addc_co_u32_e32 v1, vcc, 0, v1, vcc
	v_cmp_ne_u32_e32 vcc, 0, v6
                                        ; implicit-def: $vgpr3
	s_and_saveexec_b64 s[28:29], vcc
	s_xor_b64 s[28:29], exec, s[28:29]
; %bb.2716:                             ;   in Loop: Header=BB6_1188 Depth=4
	v_add_u32_e32 v3, 15, v9
	v_cmp_lt_u64_e32 vcc, s[56:57], v[0:1]
	v_cndmask_b32_e32 v3, v6, v3, vcc
	v_cndmask_b32_e64 v6, 0, 1, vcc
	v_lshrrev_b64 v[0:1], v6, v[0:1]
; %bb.2717:                             ;   in Loop: Header=BB6_1188 Depth=4
	s_andn2_saveexec_b64 s[28:29], s[28:29]
; %bb.2718:                             ;   in Loop: Header=BB6_1188 Depth=4
	v_bfe_u32 v3, v0, 23, 1
; %bb.2719:                             ;   in Loop: Header=BB6_1188 Depth=4
	s_or_b64 exec, exec, s[28:29]
	v_lshrrev_b64 v[0:1], 21, v[0:1]
	v_cmp_gt_i32_e32 vcc, 32, v3
	v_cndmask_b32_e32 v1, 0, v1, vcc
	v_cndmask_b32_e32 v0, 3, v0, vcc
	v_cmp_eq_u64_e64 s[28:29], 0, v[0:1]
	v_min_i32_e32 v1, 31, v3
	v_lshlrev_b32_e32 v1, 2, v1
	v_cmp_eq_u32_e32 vcc, 0, v3
	v_and_b32_e32 v1, 0xfc, v1
	v_and_or_b32 v0, v0, 3, v1
	s_and_b64 s[28:29], vcc, s[28:29]
	v_cndmask_b32_e64 v0, v0, 0, s[28:29]
	v_or_b32_e32 v0, v0, v2
.LBB6_2720:                             ;   in Loop: Header=BB6_1188 Depth=4
	s_or_b64 exec, exec, s[70:71]
.LBB6_2721:                             ;   in Loop: Header=BB6_1188 Depth=4
	s_or_b64 exec, exec, s[68:69]
                                        ; implicit-def: $vgpr1
.LBB6_2722:                             ;   in Loop: Header=BB6_1188 Depth=4
	s_andn2_saveexec_b64 s[28:29], s[30:31]
	s_cbranch_execz .LBB6_1187
; %bb.2723:                             ;   in Loop: Header=BB6_1188 Depth=4
	v_or_b32_sdwa v1, v1, s39 dst_sel:DWORD dst_unused:UNUSED_PAD src0_sel:BYTE_3 src1_sel:DWORD
	v_cmp_eq_u64_e32 vcc, 0, v[50:51]
	v_cndmask_b32_e32 v0, v1, v0, vcc
	s_branch .LBB6_1187
.LBB6_2724:                             ;   in Loop: Header=BB6_274 Depth=3
	s_or_b64 exec, exec, s[68:69]
	v_accvgpr_mov_b32 a13, a3
	v_accvgpr_read_b32 v59, a15
	v_accvgpr_read_b32 v25, a17
	;; [unrolled: 1-line block ×4, first 2 shown]
	v_accvgpr_mov_b32 a12, a2
	v_accvgpr_read_b32 v58, a14
	v_accvgpr_read_b32 v24, a16
	;; [unrolled: 1-line block ×10, first 2 shown]
.LBB6_2725:                             ;   in Loop: Header=BB6_274 Depth=3
	s_or_b64 exec, exec, s[34:35]
	v_lshlrev_b32_e32 v0, 10, v4
	v_cmp_ne_u32_e32 vcc, v3, v0
	s_and_saveexec_b64 s[66:67], vcc
	s_cbranch_execz .LBB6_2781
; %bb.2726:                             ;   in Loop: Header=BB6_274 Depth=3
	v_add_u32_e32 v1, v2, v1
	v_and_b32_e32 v1, 0xffffffc0, v1
	v_sub_u32_e32 v1, v2, v1
	v_lshlrev_b32_e32 v2, 6, v60
	v_sub_u32_e32 v1, v1, v2
	v_add_u32_e32 v0, v0, v1
	v_sub_u32_e32 v8, v3, v0
	v_cmp_lt_i32_e32 vcc, 0, v8
	s_and_b64 exec, exec, vcc
	s_cbranch_execz .LBB6_2781
; %bb.2727:                             ;   in Loop: Header=BB6_274 Depth=3
	s_trap 2
	ds_read_b128 v[2:5], v0
	ds_read_b64 v[6:7], v0
	v_add_u32_e32 v9, v0, v9
	v_ashrrev_i32_e32 v10, 31, v9
	s_bitcmp1_b32 s76, 0
	s_waitcnt lgkmcnt(0)
	v_add_co_u32_e32 v0, vcc, v2, v9
	v_addc_co_u32_e32 v1, vcc, v3, v10, vcc
	v_add_co_u32_e32 v2, vcc, v4, v9
	v_addc_co_u32_e32 v3, vcc, v5, v10, vcc
	;; [unrolled: 2-line block ×3, first 2 shown]
	s_mov_b64 s[68:69], 0
	s_cselect_b64 s[70:71], -1, 0
	s_branch .LBB6_2729
.LBB6_2728:                             ;   in Loop: Header=BB6_2729 Depth=4
	s_or_b64 exec, exec, s[28:29]
	flat_store_byte v[4:5], v7 glc slc
	v_accvgpr_read_b32 v7, a44
	v_add_co_u32_e32 v0, vcc, v0, v7
	v_accvgpr_read_b32 v9, a45
	v_addc_co_u32_e32 v1, vcc, v1, v9, vcc
	v_add_co_u32_e32 v2, vcc, v2, v7
	v_accvgpr_read_b32 v6, a31
	v_addc_co_u32_e32 v3, vcc, v3, v9, vcc
	v_sub_u32_e32 v8, v8, v6
	v_cmp_gt_i32_e32 vcc, 1, v8
	s_or_b64 s[68:69], vcc, s[68:69]
	v_add_co_u32_e32 v4, vcc, v4, v7
	v_addc_co_u32_e32 v5, vcc, v5, v9, vcc
	s_andn2_b64 exec, exec, s[68:69]
	s_cbranch_execz .LBB6_2781
.LBB6_2729:                             ;   Parent Loop BB6_47 Depth=1
                                        ;     Parent Loop BB6_271 Depth=2
                                        ;       Parent Loop BB6_274 Depth=3
                                        ; =>      This Inner Loop Header: Depth=4
	flat_load_ubyte v7, v[0:1] glc slc
	flat_load_ubyte v9, v[2:3] glc slc
	v_mov_b32_e32 v10, -1
	v_mov_b32_e32 v12, 0x47600000
	s_and_b64 vcc, exec, s[70:71]
	s_waitcnt vmcnt(0) lgkmcnt(0)
	v_bfe_i32 v6, v7, 0, 8
	v_lshlrev_b32_e32 v11, 24, v9
	v_cmp_gt_i16_sdwa s[34:35], sext(v9), v10 src0_sel:BYTE_0 src1_sel:DWORD
	v_mov_b32_e32 v10, 0xc7600000
	v_cmp_ne_u16_e64 s[30:31], 0, v9
	v_and_b32_e32 v50, 0xffff, v9
	v_cmp_ne_u16_e64 s[28:29], s97, v9
	v_cndmask_b32_e64 v10, v10, v12, s[34:35]
	v_and_b32_e32 v12, 0xffff, v7
	v_cmp_ne_u16_e64 s[34:35], 0, v7
	v_and_b32_e32 v11, 0x80000000, v11
	s_cbranch_vccz .LBB6_2747
; %bb.2730:                             ;   in Loop: Header=BB6_2729 Depth=4
	v_mov_b32_e32 v13, 0
	v_mov_b32_e32 v7, 0
	s_and_saveexec_b64 s[72:73], s[34:35]
	s_cbranch_execz .LBB6_2738
; %bb.2731:                             ;   in Loop: Header=BB6_2729 Depth=4
	v_cmp_ne_u16_e32 vcc, s94, v6
	v_bfrev_b32_e32 v7, 1
	s_and_saveexec_b64 s[74:75], vcc
	s_cbranch_execz .LBB6_2737
; %bb.2732:                             ;   in Loop: Header=BB6_2729 Depth=4
	v_and_b32_e32 v7, 0x7c, v12
	v_and_b32_e32 v14, 3, v12
	v_cmp_ne_u32_e32 vcc, s95, v7
                                        ; implicit-def: $vgpr7
	s_and_saveexec_b64 s[50:51], vcc
	s_xor_b64 s[76:77], exec, s[50:51]
	s_cbranch_execz .LBB6_2734
; %bb.2733:                             ;   in Loop: Header=BB6_2729 Depth=4
	v_ffbh_u32_e32 v16, v14
	v_min_u32_e32 v19, 32, v16
	v_mov_b32_e32 v7, v51
	v_bfe_u32 v15, v12, 2, 5
	v_subrev_u32_e32 v16, 29, v19
	v_lshlrev_b64 v[16:17], v16, v[6:7]
	v_sub_u32_e32 v7, 30, v19
	v_cmp_eq_u32_e32 vcc, 0, v15
	v_cndmask_b32_e32 v7, v15, v7, vcc
	v_bfrev_b32_e32 v15, 28
	v_bfe_i32 v18, v6, 0, 16
	v_and_b32_e32 v16, 3, v16
	v_lshl_add_u32 v7, v7, 23, v15
	v_cndmask_b32_e32 v14, v14, v16, vcc
	v_and_or_b32 v7, v18, s96, v7
	v_lshl_or_b32 v7, v14, 21, v7
                                        ; implicit-def: $vgpr14
.LBB6_2734:                             ;   in Loop: Header=BB6_2729 Depth=4
	s_andn2_saveexec_b64 s[76:77], s[76:77]
; %bb.2735:                             ;   in Loop: Header=BB6_2729 Depth=4
	v_cmp_lt_i16_e32 vcc, -1, v6
	v_mov_b32_e32 v7, 0xc7600000
	v_mov_b32_e32 v15, 0x47600000
	v_cndmask_b32_e32 v7, v7, v15, vcc
	v_cmp_eq_u32_e32 vcc, 0, v14
	v_mov_b32_e32 v14, 0x7f800001
	v_cndmask_b32_e32 v7, v14, v7, vcc
; %bb.2736:                             ;   in Loop: Header=BB6_2729 Depth=4
	s_or_b64 exec, exec, s[76:77]
.LBB6_2737:                             ;   in Loop: Header=BB6_2729 Depth=4
	s_or_b64 exec, exec, s[74:75]
.LBB6_2738:                             ;   in Loop: Header=BB6_2729 Depth=4
	s_or_b64 exec, exec, s[72:73]
	s_and_saveexec_b64 s[72:73], s[30:31]
	s_cbranch_execz .LBB6_2746
; %bb.2739:                             ;   in Loop: Header=BB6_2729 Depth=4
	v_bfrev_b32_e32 v13, 1
	s_and_saveexec_b64 s[74:75], s[28:29]
	s_cbranch_execz .LBB6_2745
; %bb.2740:                             ;   in Loop: Header=BB6_2729 Depth=4
	v_mov_b32_e32 v13, 3
	v_and_b32_sdwa v14, sext(v9), v13 dst_sel:DWORD dst_unused:UNUSED_PAD src0_sel:BYTE_0 src1_sel:DWORD
	v_and_b32_sdwa v13, sext(v9), s95 dst_sel:DWORD dst_unused:UNUSED_PAD src0_sel:BYTE_0 src1_sel:DWORD
	v_cmp_ne_u32_e32 vcc, s95, v13
                                        ; implicit-def: $vgpr13
	s_and_saveexec_b64 s[50:51], vcc
	s_xor_b64 s[76:77], exec, s[50:51]
	s_cbranch_execz .LBB6_2742
; %bb.2741:                             ;   in Loop: Header=BB6_2729 Depth=4
	v_ffbh_u32_e32 v15, v14
	v_min_u32_e32 v15, 32, v15
	v_and_b32_sdwa v13, sext(v9), s93 dst_sel:DWORD dst_unused:UNUSED_PAD src0_sel:BYTE_0 src1_sel:DWORD
	v_subrev_u32_e32 v16, 29, v15
	v_bfe_u32 v13, v13, 2, 5
	v_lshlrev_b64 v[16:17], v16, v[50:51]
	v_and_b32_e32 v16, 3, v16
	v_cmp_eq_u32_e32 vcc, 0, v13
	v_sub_u32_e32 v15, 30, v15
	v_cndmask_b32_e32 v14, v14, v16, vcc
	v_cndmask_b32_e32 v13, v13, v15, vcc
	v_lshlrev_b32_e32 v14, 21, v14
	v_lshl_or_b32 v13, v13, 23, v14
	v_add_u32_e32 v13, 0x38000000, v13
	v_or_b32_e32 v13, v13, v11
                                        ; implicit-def: $vgpr14
.LBB6_2742:                             ;   in Loop: Header=BB6_2729 Depth=4
	s_andn2_saveexec_b64 s[76:77], s[76:77]
; %bb.2743:                             ;   in Loop: Header=BB6_2729 Depth=4
	v_cmp_eq_u32_e32 vcc, 0, v14
	v_mov_b32_e32 v13, 0x7f800001
	v_cndmask_b32_e32 v13, v13, v10, vcc
; %bb.2744:                             ;   in Loop: Header=BB6_2729 Depth=4
	s_or_b64 exec, exec, s[76:77]
.LBB6_2745:                             ;   in Loop: Header=BB6_2729 Depth=4
	s_or_b64 exec, exec, s[74:75]
.LBB6_2746:                             ;   in Loop: Header=BB6_2729 Depth=4
	s_or_b64 exec, exec, s[72:73]
	v_max_f32_e32 v13, v13, v13
	v_max_f32_e32 v7, v7, v7
	;; [unrolled: 1-line block ×3, first 2 shown]
	s_branch .LBB6_2765
.LBB6_2747:                             ;   in Loop: Header=BB6_2729 Depth=4
                                        ; implicit-def: $vgpr13
	s_cbranch_execz .LBB6_2765
; %bb.2748:                             ;   in Loop: Header=BB6_2729 Depth=4
	v_mov_b32_e32 v13, 0
	v_mov_b32_e32 v7, 0
	s_and_saveexec_b64 s[72:73], s[34:35]
	s_cbranch_execz .LBB6_2756
; %bb.2749:                             ;   in Loop: Header=BB6_2729 Depth=4
	v_cmp_ne_u16_e32 vcc, s94, v6
	v_bfrev_b32_e32 v7, 1
	s_and_saveexec_b64 s[34:35], vcc
	s_cbranch_execz .LBB6_2755
; %bb.2750:                             ;   in Loop: Header=BB6_2729 Depth=4
	v_and_b32_e32 v7, 0x7c, v12
	v_and_b32_e32 v14, 3, v12
	v_cmp_ne_u32_e32 vcc, s95, v7
                                        ; implicit-def: $vgpr7
	s_and_saveexec_b64 s[50:51], vcc
	s_xor_b64 s[74:75], exec, s[50:51]
	s_cbranch_execz .LBB6_2752
; %bb.2751:                             ;   in Loop: Header=BB6_2729 Depth=4
	v_ffbh_u32_e32 v16, v14
	v_min_u32_e32 v16, 32, v16
	v_mov_b32_e32 v7, v51
	v_subrev_u32_e32 v17, 29, v16
	v_bfe_u32 v12, v12, 2, 5
	v_bfe_i32 v15, v6, 0, 16
	v_lshlrev_b64 v[6:7], v17, v[6:7]
	v_sub_u32_e32 v7, 30, v16
	v_cmp_eq_u32_e32 vcc, 0, v12
	v_cndmask_b32_e32 v7, v12, v7, vcc
	v_bfrev_b32_e32 v12, 28
	v_and_b32_e32 v6, 3, v6
	v_lshl_add_u32 v7, v7, 23, v12
	v_cndmask_b32_e32 v6, v14, v6, vcc
	v_and_or_b32 v7, v15, s96, v7
	v_lshl_or_b32 v7, v6, 21, v7
                                        ; implicit-def: $vgpr14
                                        ; implicit-def: $vgpr6
.LBB6_2752:                             ;   in Loop: Header=BB6_2729 Depth=4
	s_andn2_saveexec_b64 s[74:75], s[74:75]
; %bb.2753:                             ;   in Loop: Header=BB6_2729 Depth=4
	v_cmp_lt_i16_e32 vcc, -1, v6
	v_mov_b32_e32 v6, 0xc7600000
	v_mov_b32_e32 v7, 0x47600000
	v_cndmask_b32_e32 v6, v6, v7, vcc
	v_cmp_eq_u32_e32 vcc, 0, v14
	v_mov_b32_e32 v7, 0x7f800001
	v_cndmask_b32_e32 v7, v7, v6, vcc
; %bb.2754:                             ;   in Loop: Header=BB6_2729 Depth=4
	s_or_b64 exec, exec, s[74:75]
.LBB6_2755:                             ;   in Loop: Header=BB6_2729 Depth=4
	s_or_b64 exec, exec, s[34:35]
.LBB6_2756:                             ;   in Loop: Header=BB6_2729 Depth=4
	s_or_b64 exec, exec, s[72:73]
	s_and_saveexec_b64 s[34:35], s[30:31]
	s_cbranch_execz .LBB6_2764
; %bb.2757:                             ;   in Loop: Header=BB6_2729 Depth=4
	v_bfrev_b32_e32 v13, 1
	s_and_saveexec_b64 s[30:31], s[28:29]
	s_cbranch_execz .LBB6_2763
; %bb.2758:                             ;   in Loop: Header=BB6_2729 Depth=4
	v_mov_b32_e32 v6, 3
	v_and_b32_sdwa v12, sext(v9), s95 dst_sel:DWORD dst_unused:UNUSED_PAD src0_sel:BYTE_0 src1_sel:DWORD
	v_and_b32_sdwa v6, sext(v9), v6 dst_sel:DWORD dst_unused:UNUSED_PAD src0_sel:BYTE_0 src1_sel:DWORD
	v_cmp_ne_u32_e32 vcc, s95, v12
                                        ; implicit-def: $vgpr13
	s_and_saveexec_b64 s[28:29], vcc
	s_xor_b64 s[28:29], exec, s[28:29]
	s_cbranch_execz .LBB6_2760
; %bb.2759:                             ;   in Loop: Header=BB6_2729 Depth=4
	v_ffbh_u32_e32 v10, v6
	v_min_u32_e32 v10, 32, v10
	v_and_b32_sdwa v9, sext(v9), s93 dst_sel:DWORD dst_unused:UNUSED_PAD src0_sel:BYTE_0 src1_sel:DWORD
	v_subrev_u32_e32 v12, 29, v10
	v_bfe_u32 v9, v9, 2, 5
	v_lshlrev_b64 v[12:13], v12, v[50:51]
	v_and_b32_e32 v12, 3, v12
	v_cmp_eq_u32_e32 vcc, 0, v9
	v_sub_u32_e32 v10, 30, v10
	v_cndmask_b32_e32 v6, v6, v12, vcc
	v_cndmask_b32_e32 v9, v9, v10, vcc
	v_lshlrev_b32_e32 v6, 21, v6
	v_lshl_or_b32 v6, v9, 23, v6
	v_add_u32_e32 v6, 0x38000000, v6
	v_or_b32_e32 v13, v6, v11
                                        ; implicit-def: $vgpr6
                                        ; implicit-def: $vgpr10
.LBB6_2760:                             ;   in Loop: Header=BB6_2729 Depth=4
	s_andn2_saveexec_b64 s[28:29], s[28:29]
; %bb.2761:                             ;   in Loop: Header=BB6_2729 Depth=4
	v_cmp_eq_u32_e32 vcc, 0, v6
	v_mov_b32_e32 v6, 0x7f800001
	v_cndmask_b32_e32 v13, v6, v10, vcc
; %bb.2762:                             ;   in Loop: Header=BB6_2729 Depth=4
	s_or_b64 exec, exec, s[28:29]
.LBB6_2763:                             ;   in Loop: Header=BB6_2729 Depth=4
	s_or_b64 exec, exec, s[30:31]
.LBB6_2764:                             ;   in Loop: Header=BB6_2729 Depth=4
	s_or_b64 exec, exec, s[34:35]
	v_max_f32_e32 v6, v13, v13
	v_max_f32_e32 v7, v7, v7
	v_min_f32_e32 v13, v7, v6
.LBB6_2765:                             ;   in Loop: Header=BB6_2729 Depth=4
	v_and_b32_sdwa v9, v13, s97 dst_sel:DWORD dst_unused:UNUSED_PAD src0_sel:BYTE_3 src1_sel:DWORD
	v_and_b32_e32 v10, 0x7f800000, v13
	v_mov_b32_e32 v11, v51
	v_and_b32_e32 v50, 0x7fffff, v13
	v_or_b32_e32 v7, 0x7b, v9
	v_cmp_ne_u64_e32 vcc, s[52:53], v[10:11]
	s_and_saveexec_b64 s[28:29], vcc
	s_xor_b64 s[30:31], exec, s[28:29]
	s_cbranch_execz .LBB6_2779
; %bb.2766:                             ;   in Loop: Header=BB6_2729 Depth=4
	v_and_b32_e32 v10, 0x7fffffff, v13
	v_mov_b32_e32 v11, v51
	v_cmp_gt_u64_e32 vcc, s[54:55], v[10:11]
	s_and_saveexec_b64 s[28:29], vcc
	s_xor_b64 s[34:35], exec, s[28:29]
	s_cbranch_execz .LBB6_2778
; %bb.2767:                             ;   in Loop: Header=BB6_2729 Depth=4
	v_cmp_ne_u32_e32 vcc, 0, v13
	v_mov_b32_e32 v7, 0
	s_and_saveexec_b64 s[72:73], vcc
	s_cbranch_execz .LBB6_2777
; %bb.2768:                             ;   in Loop: Header=BB6_2729 Depth=4
	v_bfe_u32 v6, v13, 23, 8
	v_cmp_eq_u32_e32 vcc, 0, v6
	v_add_u32_e32 v7, 0xffffff81, v6
	v_cmp_gt_u32_e64 s[28:29], s38, v6
	v_sub_u32_e32 v6, 0x71, v6
	v_mov_b32_e32 v11, 0xffffff82
	v_cndmask_b32_e64 v6, 0, v6, s[28:29]
	v_cndmask_b32_e32 v12, v7, v11, vcc
	v_mov_b32_e32 v7, 0x70
	v_cndmask_b32_e32 v13, v6, v7, vcc
	v_add_u32_e32 v6, 21, v13
	v_or_b32_e32 v10, 0x800000, v50
	v_lshlrev_b64 v[6:7], v6, -1
	v_cndmask_b32_e32 v50, v10, v50, vcc
	v_not_b32_e32 v7, v7
	v_not_b32_e32 v6, v6
	v_add_u32_e32 v10, 20, v13
	v_and_b32_e32 v7, 0, v7
	v_and_b32_e32 v6, v50, v6
	v_lshlrev_b64 v[10:11], v10, 1
	v_cmp_eq_u64_e32 vcc, v[6:7], v[10:11]
	v_lshrrev_b64 v[6:7], v13, v[50:51]
	v_lshrrev_b32_e32 v10, 23, v6
	v_add3_u32 v12, v13, v12, v10
	v_bfe_u32 v10, v6, 21, 1
	v_add_u32_e32 v10, -1, v10
	v_cndmask_b32_e32 v10, 0, v10, vcc
	v_add_u32_e32 v10, v10, v6
	v_and_b32_e32 v10, 0x1fffff, v10
	v_add_co_u32_e32 v6, vcc, v10, v6
	v_add_u32_e32 v11, 14, v12
	v_addc_co_u32_e32 v7, vcc, 0, v7, vcc
	v_cmp_ne_u32_e32 vcc, 0, v11
                                        ; implicit-def: $vgpr10
	s_and_saveexec_b64 s[28:29], vcc
	s_xor_b64 s[28:29], exec, s[28:29]
; %bb.2769:                             ;   in Loop: Header=BB6_2729 Depth=4
	v_add_u32_e32 v10, 15, v12
	v_cmp_lt_u64_e32 vcc, s[56:57], v[6:7]
	v_cndmask_b32_e32 v10, v11, v10, vcc
	v_cndmask_b32_e64 v11, 0, 1, vcc
	v_lshrrev_b64 v[6:7], v11, v[6:7]
; %bb.2770:                             ;   in Loop: Header=BB6_2729 Depth=4
	s_andn2_saveexec_b64 s[28:29], s[28:29]
; %bb.2771:                             ;   in Loop: Header=BB6_2729 Depth=4
	v_bfe_u32 v10, v6, 23, 1
; %bb.2772:                             ;   in Loop: Header=BB6_2729 Depth=4
	s_or_b64 exec, exec, s[28:29]
	v_lshrrev_b64 v[6:7], 21, v[6:7]
	v_cmp_gt_i32_e32 vcc, 32, v10
	v_cndmask_b32_e32 v7, 0, v7, vcc
	v_cndmask_b32_e32 v6, 3, v6, vcc
	v_cmp_ne_u32_e32 vcc, 0, v10
	v_cmp_ne_u64_e64 s[28:29], 0, v[6:7]
	s_or_b64 s[28:29], vcc, s[28:29]
                                        ; implicit-def: $vgpr7
	s_and_saveexec_b64 vcc, s[28:29]
	s_xor_b64 s[28:29], exec, vcc
; %bb.2773:                             ;   in Loop: Header=BB6_2729 Depth=4
	v_min_i32_e32 v7, 31, v10
	v_lshl_or_b32 v7, v7, 2, v9
	v_and_or_b32 v7, v6, 3, v7
                                        ; implicit-def: $vgpr9
; %bb.2774:                             ;   in Loop: Header=BB6_2729 Depth=4
	s_andn2_saveexec_b64 s[28:29], s[28:29]
; %bb.2775:                             ;   in Loop: Header=BB6_2729 Depth=4
	v_mov_b32_e32 v7, v9
; %bb.2776:                             ;   in Loop: Header=BB6_2729 Depth=4
	s_or_b64 exec, exec, s[28:29]
.LBB6_2777:                             ;   in Loop: Header=BB6_2729 Depth=4
	s_or_b64 exec, exec, s[72:73]
.LBB6_2778:                             ;   in Loop: Header=BB6_2729 Depth=4
	s_andn2_saveexec_b64 s[28:29], s[34:35]
	s_or_b64 exec, exec, s[28:29]
                                        ; implicit-def: $vgpr13
.LBB6_2779:                             ;   in Loop: Header=BB6_2729 Depth=4
	s_andn2_saveexec_b64 s[28:29], s[30:31]
	s_cbranch_execz .LBB6_2728
; %bb.2780:                             ;   in Loop: Header=BB6_2729 Depth=4
	v_or_b32_sdwa v6, v13, s39 dst_sel:DWORD dst_unused:UNUSED_PAD src0_sel:BYTE_3 src1_sel:DWORD
	v_cmp_eq_u64_e32 vcc, 0, v[50:51]
	v_cndmask_b32_e32 v7, v6, v7, vcc
	s_branch .LBB6_2728
.LBB6_2781:                             ;   in Loop: Header=BB6_274 Depth=3
	s_or_b64 exec, exec, s[66:67]
	v_accvgpr_read_b32 v47, a61
	s_or_b64 exec, exec, s[64:65]
	s_and_saveexec_b64 s[28:29], s[10:11]
	s_cbranch_execz .LBB6_1181
	s_branch .LBB6_3561
.LBB6_2782:                             ;   in Loop: Header=BB6_274 Depth=3
	s_or_b64 exec, exec, s[64:65]
	v_accvgpr_mov_b32 a13, a3
	v_accvgpr_read_b32 v59, a5
	v_accvgpr_read_b32 v45, a55
	v_accvgpr_mov_b32 a12, a2
	v_accvgpr_read_b32 v58, a4
	v_accvgpr_read_b32 v40, a30
.LBB6_2783:                             ;   in Loop: Header=BB6_274 Depth=3
	s_or_b64 exec, exec, s[34:35]
	v_lshlrev_b32_e32 v20, 11, v25
	v_cmp_ne_u32_e32 vcc, v47, v20
	s_mov_b64 s[28:29], 0
	v_mov_b32_e32 v9, 0
                                        ; implicit-def: $vgpr3
                                        ; implicit-def: $vgpr2
                                        ; implicit-def: $vgpr0
	s_and_saveexec_b64 s[34:35], vcc
	s_cbranch_execz .LBB6_3559
; %bb.2784:                             ;   in Loop: Header=BB6_274 Depth=3
	v_lshlrev_b32_e32 v0, 6, v24
	v_accvgpr_read_b32 v2, a46
	v_sub_u32_e32 v0, v2, v0
	v_ashrrev_i32_e32 v2, 31, v0
	v_lshrrev_b32_e32 v2, 26, v2
	v_add_u32_e32 v2, v0, v2
	v_sub_u32_e32 v1, v47, v20
	v_ashrrev_i32_e32 v3, 6, v2
	v_and_b32_e32 v2, 0xffffffc0, v2
	v_sub_u32_e32 v21, v0, v2
	v_ashrrev_i32_e32 v2, 31, v1
	v_lshrrev_b32_e32 v2, 22, v2
	v_add_u32_e32 v2, v1, v2
	v_and_b32_e32 v22, 0xfffffc00, v2
	v_lshlrev_b32_e32 v0, 4, v21
	v_sub_u32_e32 v24, v1, v22
	v_lshl_add_u32 v0, v3, 10, v0
	v_ashrrev_i32_e32 v4, 10, v2
	v_cmp_lt_i32_e64 s[28:29], 15, v24
	v_sub_u32_e32 v25, v1, v0
	v_addc_co_u32_e64 v1, vcc, 0, v4, s[28:29]
	v_sub_u32_e32 v23, v1, v3
	v_cmp_lt_i32_e32 vcc, 15, v25
	s_and_saveexec_b64 s[64:65], vcc
	s_cbranch_execz .LBB6_3556
; %bb.2785:                             ;   in Loop: Header=BB6_274 Depth=3
	v_add_u32_e32 v6, v0, v20
	s_trap 2
	ds_read_b128 v[0:3], v0
	v_ashrrev_i32_e32 v7, 31, v6
	s_bitcmp1_b32 s76, 0
	s_mov_b64 s[66:67], 0
	s_cselect_b64 s[68:69], -1, 0
	s_waitcnt lgkmcnt(0)
	v_add_co_u32_e32 v4, vcc, v0, v6
	v_addc_co_u32_e32 v5, vcc, v1, v7, vcc
	ds_read_b64 v[0:1], v0
	v_add_co_u32_e32 v16, vcc, v2, v6
	v_addc_co_u32_e32 v17, vcc, v3, v7, vcc
	s_waitcnt lgkmcnt(0)
	v_add_co_u32_e32 v18, vcc, v0, v6
	v_addc_co_u32_e32 v19, vcc, v1, v7, vcc
	s_branch .LBB6_2787
.LBB6_2786:                             ;   in Loop: Header=BB6_2787 Depth=4
	s_or_b64 exec, exec, s[30:31]
	v_lshlrev_b32_e32 v1, 16, v14
	v_lshlrev_b32_e32 v2, 8, v13
	v_perm_b32 v1, v12, v1, s82
	v_perm_b32 v2, v2, v30, s9
	v_or_b32_e32 v11, v1, v2
	v_and_b32_e32 v1, 0xff, v28
	v_lshlrev_b32_e32 v3, 8, v27
	v_lshlrev_b32_e32 v2, 24, v29
	;; [unrolled: 1-line block ×3, first 2 shown]
	v_perm_b32 v3, v3, v26, s9
	v_or3_b32 v10, v2, v1, v3
	v_and_b32_e32 v1, 0xff, v32
	v_lshlrev_b32_e32 v3, 8, v31
	v_lshlrev_b32_e32 v2, 24, v33
	;; [unrolled: 1-line block ×3, first 2 shown]
	v_perm_b32 v3, v3, v15, s9
	v_or3_b32 v12, v2, v1, v3
	v_lshlrev_b32_e32 v1, 8, v7
	v_lshlrev_b32_e32 v2, 16, v8
	v_perm_b32 v1, v1, v34, s9
	v_perm_b32 v0, v0, v2, s82
	v_or_b32_e32 v13, v0, v1
	v_accvgpr_read_b32 v0, a47
	v_add_co_u32_e32 v4, vcc, v4, v0
	v_accvgpr_read_b32 v1, a48
	v_addc_co_u32_e32 v5, vcc, v5, v1, vcc
	v_add_co_u32_e32 v16, vcc, v16, v0
	v_addc_co_u32_e32 v17, vcc, v17, v1, vcc
	global_store_dwordx4 v[18:19], v[10:13], off glc slc
	v_add_co_u32_e32 v18, vcc, v18, v0
	v_addc_co_u32_e32 v19, vcc, v19, v1, vcc
	v_sub_u32_e32 v25, v25, v6
	v_cmp_gt_i32_e32 vcc, 16, v25
	s_or_b64 s[66:67], vcc, s[66:67]
	v_sub_u32_e32 v23, v23, v40
	s_andn2_b64 exec, exec, s[66:67]
	s_cbranch_execz .LBB6_3555
.LBB6_2787:                             ;   Parent Loop BB6_47 Depth=1
                                        ;     Parent Loop BB6_271 Depth=2
                                        ;       Parent Loop BB6_274 Depth=3
                                        ; =>      This Inner Loop Header: Depth=4
	global_load_dwordx4 v[0:3], v[4:5], off glc slc
	global_load_dwordx4 v[8:11], v[16:17], off glc slc
	s_and_b64 vcc, exec, s[68:69]
	s_waitcnt vmcnt(0)
	v_cmp_ne_u16_sdwa s[30:31], v0, v51 src0_sel:BYTE_0 src1_sel:DWORD
	s_cbranch_vccz .LBB6_2805
; %bb.2788:                             ;   in Loop: Header=BB6_2787 Depth=4
	v_mov_b32_e32 v7, 0
	v_mov_b32_e32 v6, 0
	s_and_saveexec_b64 s[70:71], s[30:31]
	s_cbranch_execz .LBB6_2796
; %bb.2789:                             ;   in Loop: Header=BB6_2787 Depth=4
	v_cmp_ne_u16_sdwa vcc, sext(v0), s94 src0_sel:BYTE_0 src1_sel:DWORD
	v_bfrev_b32_e32 v6, 1
	s_and_saveexec_b64 s[72:73], vcc
	s_cbranch_execz .LBB6_2795
; %bb.2790:                             ;   in Loop: Header=BB6_2787 Depth=4
	v_and_b32_e32 v6, 0x7c, v0
	v_and_b32_e32 v12, 3, v0
	v_cmp_ne_u32_e32 vcc, s95, v6
                                        ; implicit-def: $vgpr6
	s_and_saveexec_b64 s[74:75], vcc
	s_xor_b64 s[74:75], exec, s[74:75]
	s_cbranch_execz .LBB6_2792
; %bb.2791:                             ;   in Loop: Header=BB6_2787 Depth=4
	v_ffbh_u32_e32 v13, v12
	v_min_u32_e32 v13, 32, v13
	v_subrev_u32_e32 v14, 29, v13
	v_bfe_u32 v6, v0, 2, 5
	v_lshlrev_b64 v[14:15], v14, v[0:1]
	v_sub_u32_e32 v13, 30, v13
	v_and_b32_e32 v14, 3, v14
	v_cmp_eq_u32_e32 vcc, 0, v6
	v_cndmask_b32_e32 v6, v6, v13, vcc
	v_cndmask_b32_e32 v12, v12, v14, vcc
	v_bfrev_b32_e32 v14, 28
	v_lshlrev_b32_e32 v13, 24, v0
	v_lshl_add_u32 v6, v6, 23, v14
	v_and_or_b32 v6, v13, s96, v6
	v_lshl_or_b32 v6, v12, 21, v6
                                        ; implicit-def: $vgpr12
.LBB6_2792:                             ;   in Loop: Header=BB6_2787 Depth=4
	s_andn2_saveexec_b64 s[74:75], s[74:75]
; %bb.2793:                             ;   in Loop: Header=BB6_2787 Depth=4
	v_mov_b32_e32 v6, -1
	v_cmp_gt_i16_sdwa vcc, sext(v0), v6 src0_sel:BYTE_0 src1_sel:DWORD
	v_mov_b32_e32 v6, 0xc7600000
	v_mov_b32_e32 v13, 0x47600000
	v_cndmask_b32_e32 v6, v6, v13, vcc
	v_cmp_eq_u32_e32 vcc, 0, v12
	v_mov_b32_e32 v12, 0x7f800001
	v_cndmask_b32_e32 v6, v12, v6, vcc
; %bb.2794:                             ;   in Loop: Header=BB6_2787 Depth=4
	s_or_b64 exec, exec, s[74:75]
.LBB6_2795:                             ;   in Loop: Header=BB6_2787 Depth=4
	s_or_b64 exec, exec, s[72:73]
.LBB6_2796:                             ;   in Loop: Header=BB6_2787 Depth=4
	s_or_b64 exec, exec, s[70:71]
	v_cmp_ne_u16_sdwa vcc, sext(v8), v51 src0_sel:BYTE_0 src1_sel:DWORD
	s_and_saveexec_b64 s[70:71], vcc
	s_cbranch_execz .LBB6_2804
; %bb.2797:                             ;   in Loop: Header=BB6_2787 Depth=4
	v_cmp_ne_u16_sdwa vcc, sext(v8), s94 src0_sel:BYTE_0 src1_sel:DWORD
	v_bfrev_b32_e32 v7, 1
	s_and_saveexec_b64 s[72:73], vcc
	s_cbranch_execz .LBB6_2803
; %bb.2798:                             ;   in Loop: Header=BB6_2787 Depth=4
	v_and_b32_e32 v7, 0x7c, v8
	v_and_b32_e32 v12, 3, v8
	v_cmp_ne_u32_e32 vcc, s95, v7
                                        ; implicit-def: $vgpr7
	s_and_saveexec_b64 s[74:75], vcc
	s_xor_b64 s[74:75], exec, s[74:75]
	s_cbranch_execz .LBB6_2800
; %bb.2799:                             ;   in Loop: Header=BB6_2787 Depth=4
	v_ffbh_u32_e32 v13, v12
	v_min_u32_e32 v13, 32, v13
	v_subrev_u32_e32 v14, 29, v13
	v_bfe_u32 v7, v8, 2, 5
	v_lshlrev_b64 v[14:15], v14, v[8:9]
	v_sub_u32_e32 v13, 30, v13
	v_and_b32_e32 v14, 3, v14
	v_cmp_eq_u32_e32 vcc, 0, v7
	v_cndmask_b32_e32 v7, v7, v13, vcc
	v_cndmask_b32_e32 v12, v12, v14, vcc
	v_bfrev_b32_e32 v14, 28
	v_lshlrev_b32_e32 v13, 24, v8
	v_lshl_add_u32 v7, v7, 23, v14
	v_and_or_b32 v7, v13, s96, v7
	v_lshl_or_b32 v7, v12, 21, v7
                                        ; implicit-def: $vgpr12
.LBB6_2800:                             ;   in Loop: Header=BB6_2787 Depth=4
	s_andn2_saveexec_b64 s[74:75], s[74:75]
; %bb.2801:                             ;   in Loop: Header=BB6_2787 Depth=4
	v_mov_b32_e32 v7, -1
	v_cmp_gt_i16_sdwa vcc, sext(v8), v7 src0_sel:BYTE_0 src1_sel:DWORD
	v_mov_b32_e32 v7, 0xc7600000
	v_mov_b32_e32 v13, 0x47600000
	v_cndmask_b32_e32 v7, v7, v13, vcc
	v_cmp_eq_u32_e32 vcc, 0, v12
	v_mov_b32_e32 v12, 0x7f800001
	v_cndmask_b32_e32 v7, v12, v7, vcc
; %bb.2802:                             ;   in Loop: Header=BB6_2787 Depth=4
	s_or_b64 exec, exec, s[74:75]
.LBB6_2803:                             ;   in Loop: Header=BB6_2787 Depth=4
	s_or_b64 exec, exec, s[72:73]
.LBB6_2804:                             ;   in Loop: Header=BB6_2787 Depth=4
	s_or_b64 exec, exec, s[70:71]
	v_max_f32_e32 v7, v7, v7
	v_max_f32_e32 v6, v6, v6
	;; [unrolled: 1-line block ×3, first 2 shown]
	s_branch .LBB6_2823
.LBB6_2805:                             ;   in Loop: Header=BB6_2787 Depth=4
                                        ; implicit-def: $vgpr6
	s_cbranch_execz .LBB6_2823
; %bb.2806:                             ;   in Loop: Header=BB6_2787 Depth=4
	v_mov_b32_e32 v7, 0
	v_mov_b32_e32 v6, 0
	s_and_saveexec_b64 s[70:71], s[30:31]
	s_cbranch_execz .LBB6_2814
; %bb.2807:                             ;   in Loop: Header=BB6_2787 Depth=4
	v_cmp_ne_u16_sdwa vcc, sext(v0), s94 src0_sel:BYTE_0 src1_sel:DWORD
	v_bfrev_b32_e32 v6, 1
	s_and_saveexec_b64 s[30:31], vcc
	s_cbranch_execz .LBB6_2813
; %bb.2808:                             ;   in Loop: Header=BB6_2787 Depth=4
	v_and_b32_e32 v6, 0x7c, v0
	v_and_b32_e32 v12, 3, v0
	v_cmp_ne_u32_e32 vcc, s95, v6
                                        ; implicit-def: $vgpr6
	s_and_saveexec_b64 s[72:73], vcc
	s_xor_b64 s[72:73], exec, s[72:73]
	s_cbranch_execz .LBB6_2810
; %bb.2809:                             ;   in Loop: Header=BB6_2787 Depth=4
	v_ffbh_u32_e32 v13, v12
	v_min_u32_e32 v13, 32, v13
	v_subrev_u32_e32 v14, 29, v13
	v_bfe_u32 v6, v0, 2, 5
	v_lshlrev_b64 v[14:15], v14, v[0:1]
	v_sub_u32_e32 v13, 30, v13
	v_and_b32_e32 v14, 3, v14
	v_cmp_eq_u32_e32 vcc, 0, v6
	v_cndmask_b32_e32 v6, v6, v13, vcc
	v_cndmask_b32_e32 v12, v12, v14, vcc
	v_bfrev_b32_e32 v14, 28
	v_lshlrev_b32_e32 v13, 24, v0
	v_lshl_add_u32 v6, v6, 23, v14
	v_and_or_b32 v6, v13, s96, v6
	v_lshl_or_b32 v6, v12, 21, v6
                                        ; implicit-def: $vgpr12
.LBB6_2810:                             ;   in Loop: Header=BB6_2787 Depth=4
	s_andn2_saveexec_b64 s[72:73], s[72:73]
; %bb.2811:                             ;   in Loop: Header=BB6_2787 Depth=4
	v_mov_b32_e32 v6, -1
	v_cmp_gt_i16_sdwa vcc, sext(v0), v6 src0_sel:BYTE_0 src1_sel:DWORD
	v_mov_b32_e32 v6, 0xc7600000
	v_mov_b32_e32 v13, 0x47600000
	v_cndmask_b32_e32 v6, v6, v13, vcc
	v_cmp_eq_u32_e32 vcc, 0, v12
	v_mov_b32_e32 v12, 0x7f800001
	v_cndmask_b32_e32 v6, v12, v6, vcc
; %bb.2812:                             ;   in Loop: Header=BB6_2787 Depth=4
	s_or_b64 exec, exec, s[72:73]
.LBB6_2813:                             ;   in Loop: Header=BB6_2787 Depth=4
	s_or_b64 exec, exec, s[30:31]
.LBB6_2814:                             ;   in Loop: Header=BB6_2787 Depth=4
	s_or_b64 exec, exec, s[70:71]
	v_cmp_ne_u16_sdwa vcc, sext(v8), v51 src0_sel:BYTE_0 src1_sel:DWORD
	s_and_saveexec_b64 s[30:31], vcc
	s_cbranch_execz .LBB6_2822
; %bb.2815:                             ;   in Loop: Header=BB6_2787 Depth=4
	v_cmp_ne_u16_sdwa vcc, sext(v8), s94 src0_sel:BYTE_0 src1_sel:DWORD
	v_bfrev_b32_e32 v7, 1
	s_and_saveexec_b64 s[70:71], vcc
	s_cbranch_execz .LBB6_2821
; %bb.2816:                             ;   in Loop: Header=BB6_2787 Depth=4
	v_and_b32_e32 v7, 0x7c, v8
	v_and_b32_e32 v12, 3, v8
	v_cmp_ne_u32_e32 vcc, s95, v7
                                        ; implicit-def: $vgpr7
	s_and_saveexec_b64 s[72:73], vcc
	s_xor_b64 s[72:73], exec, s[72:73]
	s_cbranch_execz .LBB6_2818
; %bb.2817:                             ;   in Loop: Header=BB6_2787 Depth=4
	v_ffbh_u32_e32 v13, v12
	v_min_u32_e32 v13, 32, v13
	v_subrev_u32_e32 v14, 29, v13
	v_bfe_u32 v7, v8, 2, 5
	v_lshlrev_b64 v[14:15], v14, v[8:9]
	v_sub_u32_e32 v13, 30, v13
	v_and_b32_e32 v14, 3, v14
	v_cmp_eq_u32_e32 vcc, 0, v7
	v_cndmask_b32_e32 v7, v7, v13, vcc
	v_cndmask_b32_e32 v12, v12, v14, vcc
	v_bfrev_b32_e32 v14, 28
	v_lshlrev_b32_e32 v13, 24, v8
	v_lshl_add_u32 v7, v7, 23, v14
	v_and_or_b32 v7, v13, s96, v7
	v_lshl_or_b32 v7, v12, 21, v7
                                        ; implicit-def: $vgpr12
.LBB6_2818:                             ;   in Loop: Header=BB6_2787 Depth=4
	s_andn2_saveexec_b64 s[72:73], s[72:73]
; %bb.2819:                             ;   in Loop: Header=BB6_2787 Depth=4
	v_mov_b32_e32 v7, -1
	v_cmp_gt_i16_sdwa vcc, sext(v8), v7 src0_sel:BYTE_0 src1_sel:DWORD
	v_mov_b32_e32 v7, 0xc7600000
	v_mov_b32_e32 v13, 0x47600000
	v_cndmask_b32_e32 v7, v7, v13, vcc
	v_cmp_eq_u32_e32 vcc, 0, v12
	v_mov_b32_e32 v12, 0x7f800001
	v_cndmask_b32_e32 v7, v12, v7, vcc
; %bb.2820:                             ;   in Loop: Header=BB6_2787 Depth=4
	s_or_b64 exec, exec, s[72:73]
.LBB6_2821:                             ;   in Loop: Header=BB6_2787 Depth=4
	s_or_b64 exec, exec, s[70:71]
.LBB6_2822:                             ;   in Loop: Header=BB6_2787 Depth=4
	s_or_b64 exec, exec, s[30:31]
	v_max_f32_e32 v7, v7, v7
	v_max_f32_e32 v6, v6, v6
	v_min_f32_e32 v6, v6, v7
.LBB6_2823:                             ;   in Loop: Header=BB6_2787 Depth=4
	v_and_b32_sdwa v12, v6, s97 dst_sel:DWORD dst_unused:UNUSED_PAD src0_sel:BYTE_3 src1_sel:DWORD
	v_and_b32_e32 v14, 0x7f800000, v6
	v_mov_b32_e32 v15, v51
	v_and_b32_e32 v50, 0x7fffff, v6
	v_or_b32_e32 v26, 0x7b, v12
	v_cmp_ne_u64_e32 vcc, s[52:53], v[14:15]
	s_and_saveexec_b64 s[30:31], vcc
	s_xor_b64 s[70:71], exec, s[30:31]
	s_cbranch_execz .LBB6_2833
; %bb.2824:                             ;   in Loop: Header=BB6_2787 Depth=4
	v_and_b32_e32 v14, 0x7fffffff, v6
	v_mov_b32_e32 v15, v51
	v_cmp_gt_u64_e32 vcc, s[54:55], v[14:15]
	s_and_saveexec_b64 s[72:73], vcc
	s_cbranch_execz .LBB6_2832
; %bb.2825:                             ;   in Loop: Header=BB6_2787 Depth=4
	v_cmp_ne_u32_e32 vcc, 0, v6
	v_mov_b32_e32 v26, 0
	s_and_saveexec_b64 s[74:75], vcc
	s_cbranch_execz .LBB6_2831
; %bb.2826:                             ;   in Loop: Header=BB6_2787 Depth=4
	v_bfe_u32 v6, v6, 23, 8
	v_cmp_eq_u32_e32 vcc, 0, v6
	v_add_u32_e32 v7, 0xffffff81, v6
	v_cmp_gt_u32_e64 s[30:31], s38, v6
	v_sub_u32_e32 v6, 0x71, v6
	v_mov_b32_e32 v14, 0xffffff82
	v_cndmask_b32_e64 v6, 0, v6, s[30:31]
	v_cndmask_b32_e32 v26, v7, v14, vcc
	v_mov_b32_e32 v7, 0x70
	v_cndmask_b32_e32 v27, v6, v7, vcc
	v_add_u32_e32 v6, 21, v27
	v_or_b32_e32 v13, 0x800000, v50
	v_lshlrev_b64 v[6:7], v6, -1
	v_cndmask_b32_e32 v50, v13, v50, vcc
	v_not_b32_e32 v7, v7
	v_not_b32_e32 v6, v6
	v_add_u32_e32 v13, 20, v27
	v_and_b32_e32 v7, 0, v7
	v_and_b32_e32 v6, v50, v6
	v_lshlrev_b64 v[14:15], v13, 1
	v_cmp_eq_u64_e32 vcc, v[6:7], v[14:15]
	v_lshrrev_b64 v[6:7], v27, v[50:51]
	v_lshrrev_b32_e32 v13, 23, v6
	v_add3_u32 v15, v27, v26, v13
	v_bfe_u32 v13, v6, 21, 1
	v_add_u32_e32 v13, -1, v13
	v_cndmask_b32_e32 v13, 0, v13, vcc
	v_add_u32_e32 v13, v13, v6
	v_and_b32_e32 v13, 0x1fffff, v13
	v_add_co_u32_e32 v6, vcc, v13, v6
	v_add_u32_e32 v14, 14, v15
	v_addc_co_u32_e32 v7, vcc, 0, v7, vcc
	v_cmp_ne_u32_e32 vcc, 0, v14
                                        ; implicit-def: $vgpr13
	s_and_saveexec_b64 s[30:31], vcc
	s_xor_b64 s[30:31], exec, s[30:31]
; %bb.2827:                             ;   in Loop: Header=BB6_2787 Depth=4
	v_add_u32_e32 v13, 15, v15
	v_cmp_lt_u64_e32 vcc, s[56:57], v[6:7]
	v_cndmask_b32_e32 v13, v14, v13, vcc
	v_cndmask_b32_e64 v14, 0, 1, vcc
	v_lshrrev_b64 v[6:7], v14, v[6:7]
; %bb.2828:                             ;   in Loop: Header=BB6_2787 Depth=4
	s_andn2_saveexec_b64 vcc, s[30:31]
; %bb.2829:                             ;   in Loop: Header=BB6_2787 Depth=4
	v_bfe_u32 v13, v6, 23, 1
; %bb.2830:                             ;   in Loop: Header=BB6_2787 Depth=4
	s_or_b64 exec, exec, vcc
	v_lshrrev_b64 v[6:7], 21, v[6:7]
	v_cmp_gt_i32_e32 vcc, 32, v13
	v_cndmask_b32_e32 v7, 0, v7, vcc
	v_cndmask_b32_e32 v6, 3, v6, vcc
	v_cmp_eq_u64_e64 s[30:31], 0, v[6:7]
	v_min_i32_e32 v7, 31, v13
	v_cmp_eq_u32_e32 vcc, 0, v13
	v_lshlrev_b32_e32 v7, 2, v7
	v_and_or_b32 v6, v6, 3, v7
	s_and_b64 vcc, vcc, s[30:31]
	v_cndmask_b32_e64 v6, v6, 0, vcc
	v_or_b32_e32 v26, v6, v12
.LBB6_2831:                             ;   in Loop: Header=BB6_2787 Depth=4
	s_or_b64 exec, exec, s[74:75]
.LBB6_2832:                             ;   in Loop: Header=BB6_2787 Depth=4
	s_or_b64 exec, exec, s[72:73]
                                        ; implicit-def: $vgpr6
.LBB6_2833:                             ;   in Loop: Header=BB6_2787 Depth=4
	s_andn2_saveexec_b64 s[30:31], s[70:71]
; %bb.2834:                             ;   in Loop: Header=BB6_2787 Depth=4
	v_or_b32_sdwa v6, v6, s39 dst_sel:DWORD dst_unused:UNUSED_PAD src0_sel:BYTE_3 src1_sel:DWORD
	v_cmp_eq_u64_e32 vcc, 0, v[50:51]
	v_cndmask_b32_e32 v26, v6, v26, vcc
; %bb.2835:                             ;   in Loop: Header=BB6_2787 Depth=4
	s_or_b64 exec, exec, s[30:31]
	v_lshrrev_b16_e32 v50, 8, v0
	v_lshrrev_b16_e32 v6, 8, v8
	v_cmp_ne_u16_e64 s[30:31], 0, v50
	s_and_b64 vcc, exec, s[68:69]
	s_cbranch_vccz .LBB6_2853
; %bb.2836:                             ;   in Loop: Header=BB6_2787 Depth=4
	v_mov_b32_e32 v7, 0
	v_mov_b32_e32 v12, 0
	s_and_saveexec_b64 s[70:71], s[30:31]
	s_cbranch_execz .LBB6_2844
; %bb.2837:                             ;   in Loop: Header=BB6_2787 Depth=4
	v_cmp_ne_u16_e32 vcc, s97, v50
	v_bfrev_b32_e32 v12, 1
	s_and_saveexec_b64 s[72:73], vcc
	s_cbranch_execz .LBB6_2843
; %bb.2838:                             ;   in Loop: Header=BB6_2787 Depth=4
	v_and_b32_e32 v12, 0x7c, v50
	v_and_b32_e32 v13, 3, v50
	v_cmp_ne_u32_e32 vcc, s95, v12
                                        ; implicit-def: $vgpr12
	s_and_saveexec_b64 s[74:75], vcc
	s_xor_b64 s[74:75], exec, s[74:75]
	s_cbranch_execz .LBB6_2840
; %bb.2839:                             ;   in Loop: Header=BB6_2787 Depth=4
	v_ffbh_u32_e32 v14, v13
	v_min_u32_e32 v27, 32, v14
	v_subrev_u32_e32 v14, 29, v27
	v_bfe_u32 v12, v50, 2, 5
	v_lshlrev_b64 v[14:15], v14, v[50:51]
	v_sub_u32_e32 v15, 30, v27
	v_cmp_eq_u32_e32 vcc, 0, v12
	v_and_b32_e32 v14, 3, v14
	v_cndmask_b32_e32 v12, v12, v15, vcc
	v_bfrev_b32_e32 v15, 28
	v_cndmask_b32_e32 v13, v13, v14, vcc
	v_lshlrev_b32_e32 v14, 16, v0
	v_lshl_add_u32 v12, v12, 23, v15
	v_and_or_b32 v12, v14, s96, v12
	v_lshl_or_b32 v12, v13, 21, v12
                                        ; implicit-def: $vgpr13
.LBB6_2840:                             ;   in Loop: Header=BB6_2787 Depth=4
	s_andn2_saveexec_b64 s[74:75], s[74:75]
; %bb.2841:                             ;   in Loop: Header=BB6_2787 Depth=4
	v_cmp_lt_i16_e32 vcc, -1, v0
	v_mov_b32_e32 v12, 0xc7600000
	v_mov_b32_e32 v14, 0x47600000
	v_cndmask_b32_e32 v12, v12, v14, vcc
	v_cmp_eq_u32_e32 vcc, 0, v13
	v_mov_b32_e32 v13, 0x7f800001
	v_cndmask_b32_e32 v12, v13, v12, vcc
; %bb.2842:                             ;   in Loop: Header=BB6_2787 Depth=4
	s_or_b64 exec, exec, s[74:75]
.LBB6_2843:                             ;   in Loop: Header=BB6_2787 Depth=4
	s_or_b64 exec, exec, s[72:73]
.LBB6_2844:                             ;   in Loop: Header=BB6_2787 Depth=4
	s_or_b64 exec, exec, s[70:71]
	v_cmp_ne_u16_e32 vcc, 0, v6
	s_and_saveexec_b64 s[70:71], vcc
	s_cbranch_execz .LBB6_2852
; %bb.2845:                             ;   in Loop: Header=BB6_2787 Depth=4
	v_cmp_ne_u16_e32 vcc, s97, v6
	v_bfrev_b32_e32 v7, 1
	s_and_saveexec_b64 s[72:73], vcc
	s_cbranch_execz .LBB6_2851
; %bb.2846:                             ;   in Loop: Header=BB6_2787 Depth=4
	v_and_b32_e32 v7, 0x7c, v6
	v_and_b32_e32 v13, 3, v6
	v_cmp_ne_u32_e32 vcc, s95, v7
                                        ; implicit-def: $vgpr7
	s_and_saveexec_b64 s[74:75], vcc
	s_xor_b64 s[74:75], exec, s[74:75]
	s_cbranch_execz .LBB6_2848
; %bb.2847:                             ;   in Loop: Header=BB6_2787 Depth=4
	v_ffbh_u32_e32 v14, v13
	v_min_u32_e32 v28, 32, v14
	v_mov_b32_e32 v7, v51
	v_bfe_u32 v27, v6, 2, 5
	v_subrev_u32_e32 v14, 29, v28
	v_lshlrev_b64 v[14:15], v14, v[6:7]
	v_sub_u32_e32 v7, 30, v28
	v_cmp_eq_u32_e32 vcc, 0, v27
	v_and_b32_e32 v14, 3, v14
	v_cndmask_b32_e32 v7, v27, v7, vcc
	v_bfrev_b32_e32 v15, 28
	v_cndmask_b32_e32 v13, v13, v14, vcc
	v_lshlrev_b32_e32 v14, 16, v8
	v_lshl_add_u32 v7, v7, 23, v15
	v_and_or_b32 v7, v14, s96, v7
	v_lshl_or_b32 v7, v13, 21, v7
                                        ; implicit-def: $vgpr13
.LBB6_2848:                             ;   in Loop: Header=BB6_2787 Depth=4
	s_andn2_saveexec_b64 s[74:75], s[74:75]
; %bb.2849:                             ;   in Loop: Header=BB6_2787 Depth=4
	v_cmp_lt_i16_e32 vcc, -1, v8
	v_mov_b32_e32 v7, 0xc7600000
	v_mov_b32_e32 v14, 0x47600000
	v_cndmask_b32_e32 v7, v7, v14, vcc
	v_cmp_eq_u32_e32 vcc, 0, v13
	v_mov_b32_e32 v13, 0x7f800001
	v_cndmask_b32_e32 v7, v13, v7, vcc
; %bb.2850:                             ;   in Loop: Header=BB6_2787 Depth=4
	s_or_b64 exec, exec, s[74:75]
.LBB6_2851:                             ;   in Loop: Header=BB6_2787 Depth=4
	s_or_b64 exec, exec, s[72:73]
.LBB6_2852:                             ;   in Loop: Header=BB6_2787 Depth=4
	s_or_b64 exec, exec, s[70:71]
	v_max_f32_e32 v7, v7, v7
	v_max_f32_e32 v12, v12, v12
	;; [unrolled: 1-line block ×3, first 2 shown]
	s_branch .LBB6_2871
.LBB6_2853:                             ;   in Loop: Header=BB6_2787 Depth=4
                                        ; implicit-def: $vgpr7
	s_cbranch_execz .LBB6_2871
; %bb.2854:                             ;   in Loop: Header=BB6_2787 Depth=4
	v_mov_b32_e32 v7, 0
	v_mov_b32_e32 v12, 0
	s_and_saveexec_b64 s[70:71], s[30:31]
	s_cbranch_execz .LBB6_2862
; %bb.2855:                             ;   in Loop: Header=BB6_2787 Depth=4
	v_cmp_ne_u16_e32 vcc, s97, v50
	v_bfrev_b32_e32 v12, 1
	s_and_saveexec_b64 s[30:31], vcc
	s_cbranch_execz .LBB6_2861
; %bb.2856:                             ;   in Loop: Header=BB6_2787 Depth=4
	v_and_b32_e32 v12, 0x7c, v50
	v_and_b32_e32 v13, 3, v50
	v_cmp_ne_u32_e32 vcc, s95, v12
                                        ; implicit-def: $vgpr12
	s_and_saveexec_b64 s[72:73], vcc
	s_xor_b64 s[72:73], exec, s[72:73]
	s_cbranch_execz .LBB6_2858
; %bb.2857:                             ;   in Loop: Header=BB6_2787 Depth=4
	v_ffbh_u32_e32 v14, v13
	v_min_u32_e32 v27, 32, v14
	v_subrev_u32_e32 v14, 29, v27
	v_bfe_u32 v12, v50, 2, 5
	v_lshlrev_b64 v[14:15], v14, v[50:51]
	v_sub_u32_e32 v15, 30, v27
	v_cmp_eq_u32_e32 vcc, 0, v12
	v_and_b32_e32 v14, 3, v14
	v_cndmask_b32_e32 v12, v12, v15, vcc
	v_bfrev_b32_e32 v15, 28
	v_cndmask_b32_e32 v13, v13, v14, vcc
	v_lshlrev_b32_e32 v14, 16, v0
	v_lshl_add_u32 v12, v12, 23, v15
	v_and_or_b32 v12, v14, s96, v12
	v_lshl_or_b32 v12, v13, 21, v12
                                        ; implicit-def: $vgpr13
.LBB6_2858:                             ;   in Loop: Header=BB6_2787 Depth=4
	s_andn2_saveexec_b64 s[72:73], s[72:73]
; %bb.2859:                             ;   in Loop: Header=BB6_2787 Depth=4
	v_cmp_lt_i16_e32 vcc, -1, v0
	v_mov_b32_e32 v12, 0xc7600000
	v_mov_b32_e32 v14, 0x47600000
	v_cndmask_b32_e32 v12, v12, v14, vcc
	v_cmp_eq_u32_e32 vcc, 0, v13
	v_mov_b32_e32 v13, 0x7f800001
	v_cndmask_b32_e32 v12, v13, v12, vcc
; %bb.2860:                             ;   in Loop: Header=BB6_2787 Depth=4
	s_or_b64 exec, exec, s[72:73]
.LBB6_2861:                             ;   in Loop: Header=BB6_2787 Depth=4
	s_or_b64 exec, exec, s[30:31]
.LBB6_2862:                             ;   in Loop: Header=BB6_2787 Depth=4
	s_or_b64 exec, exec, s[70:71]
	v_cmp_ne_u16_e32 vcc, 0, v6
	s_and_saveexec_b64 s[30:31], vcc
	s_cbranch_execz .LBB6_2870
; %bb.2863:                             ;   in Loop: Header=BB6_2787 Depth=4
	v_cmp_ne_u16_e32 vcc, s97, v6
	v_bfrev_b32_e32 v7, 1
	s_and_saveexec_b64 s[70:71], vcc
	s_cbranch_execz .LBB6_2869
; %bb.2864:                             ;   in Loop: Header=BB6_2787 Depth=4
	v_and_b32_e32 v7, 0x7c, v6
	v_and_b32_e32 v13, 3, v6
	v_cmp_ne_u32_e32 vcc, s95, v7
                                        ; implicit-def: $vgpr7
	s_and_saveexec_b64 s[72:73], vcc
	s_xor_b64 s[72:73], exec, s[72:73]
	s_cbranch_execz .LBB6_2866
; %bb.2865:                             ;   in Loop: Header=BB6_2787 Depth=4
	v_ffbh_u32_e32 v15, v13
	v_min_u32_e32 v15, 32, v15
	v_mov_b32_e32 v7, v51
	v_subrev_u32_e32 v27, 29, v15
	v_bfe_u32 v14, v6, 2, 5
	v_lshlrev_b64 v[6:7], v27, v[6:7]
	v_sub_u32_e32 v7, 30, v15
	v_cmp_eq_u32_e32 vcc, 0, v14
	v_and_b32_e32 v6, 3, v6
	v_cndmask_b32_e32 v7, v14, v7, vcc
	v_bfrev_b32_e32 v14, 28
	v_cndmask_b32_e32 v6, v13, v6, vcc
	v_lshlrev_b32_e32 v13, 16, v8
	v_lshl_add_u32 v7, v7, 23, v14
	v_and_or_b32 v7, v13, s96, v7
	v_lshl_or_b32 v7, v6, 21, v7
                                        ; implicit-def: $vgpr13
.LBB6_2866:                             ;   in Loop: Header=BB6_2787 Depth=4
	s_andn2_saveexec_b64 s[72:73], s[72:73]
; %bb.2867:                             ;   in Loop: Header=BB6_2787 Depth=4
	v_cmp_lt_i16_e32 vcc, -1, v8
	v_mov_b32_e32 v6, 0xc7600000
	v_mov_b32_e32 v7, 0x47600000
	v_cndmask_b32_e32 v6, v6, v7, vcc
	v_cmp_eq_u32_e32 vcc, 0, v13
	v_mov_b32_e32 v7, 0x7f800001
	v_cndmask_b32_e32 v7, v7, v6, vcc
; %bb.2868:                             ;   in Loop: Header=BB6_2787 Depth=4
	s_or_b64 exec, exec, s[72:73]
.LBB6_2869:                             ;   in Loop: Header=BB6_2787 Depth=4
	s_or_b64 exec, exec, s[70:71]
.LBB6_2870:                             ;   in Loop: Header=BB6_2787 Depth=4
	s_or_b64 exec, exec, s[30:31]
	v_max_f32_e32 v6, v7, v7
	v_max_f32_e32 v7, v12, v12
	v_min_f32_e32 v7, v7, v6
.LBB6_2871:                             ;   in Loop: Header=BB6_2787 Depth=4
	v_and_b32_sdwa v12, v7, s97 dst_sel:DWORD dst_unused:UNUSED_PAD src0_sel:BYTE_3 src1_sel:DWORD
	v_and_b32_e32 v14, 0x7f800000, v7
	v_mov_b32_e32 v15, v51
	v_and_b32_e32 v50, 0x7fffff, v7
	v_or_b32_e32 v27, 0x7b, v12
	v_cmp_ne_u64_e32 vcc, s[52:53], v[14:15]
	s_and_saveexec_b64 s[30:31], vcc
	s_xor_b64 s[70:71], exec, s[30:31]
	s_cbranch_execz .LBB6_2881
; %bb.2872:                             ;   in Loop: Header=BB6_2787 Depth=4
	v_and_b32_e32 v14, 0x7fffffff, v7
	v_mov_b32_e32 v15, v51
	v_cmp_gt_u64_e32 vcc, s[54:55], v[14:15]
	s_and_saveexec_b64 s[72:73], vcc
	s_cbranch_execz .LBB6_2880
; %bb.2873:                             ;   in Loop: Header=BB6_2787 Depth=4
	v_cmp_ne_u32_e32 vcc, 0, v7
	v_mov_b32_e32 v27, 0
	s_and_saveexec_b64 s[74:75], vcc
	s_cbranch_execz .LBB6_2879
; %bb.2874:                             ;   in Loop: Header=BB6_2787 Depth=4
	v_bfe_u32 v6, v7, 23, 8
	v_cmp_eq_u32_e32 vcc, 0, v6
	v_add_u32_e32 v7, 0xffffff81, v6
	v_cmp_gt_u32_e64 s[30:31], s38, v6
	v_sub_u32_e32 v6, 0x71, v6
	v_mov_b32_e32 v14, 0xffffff82
	v_cndmask_b32_e64 v6, 0, v6, s[30:31]
	v_cndmask_b32_e32 v27, v7, v14, vcc
	v_mov_b32_e32 v7, 0x70
	v_cndmask_b32_e32 v28, v6, v7, vcc
	v_add_u32_e32 v6, 21, v28
	v_or_b32_e32 v13, 0x800000, v50
	v_lshlrev_b64 v[6:7], v6, -1
	v_cndmask_b32_e32 v50, v13, v50, vcc
	v_not_b32_e32 v7, v7
	v_not_b32_e32 v6, v6
	v_add_u32_e32 v13, 20, v28
	v_and_b32_e32 v7, 0, v7
	v_and_b32_e32 v6, v50, v6
	v_lshlrev_b64 v[14:15], v13, 1
	v_cmp_eq_u64_e32 vcc, v[6:7], v[14:15]
	v_lshrrev_b64 v[6:7], v28, v[50:51]
	v_lshrrev_b32_e32 v13, 23, v6
	v_add3_u32 v15, v28, v27, v13
	v_bfe_u32 v13, v6, 21, 1
	v_add_u32_e32 v13, -1, v13
	v_cndmask_b32_e32 v13, 0, v13, vcc
	v_add_u32_e32 v13, v13, v6
	v_and_b32_e32 v13, 0x1fffff, v13
	v_add_co_u32_e32 v6, vcc, v13, v6
	v_add_u32_e32 v14, 14, v15
	v_addc_co_u32_e32 v7, vcc, 0, v7, vcc
	v_cmp_ne_u32_e32 vcc, 0, v14
                                        ; implicit-def: $vgpr13
	s_and_saveexec_b64 s[30:31], vcc
	s_xor_b64 s[30:31], exec, s[30:31]
; %bb.2875:                             ;   in Loop: Header=BB6_2787 Depth=4
	v_add_u32_e32 v13, 15, v15
	v_cmp_lt_u64_e32 vcc, s[56:57], v[6:7]
	v_cndmask_b32_e32 v13, v14, v13, vcc
	v_cndmask_b32_e64 v14, 0, 1, vcc
	v_lshrrev_b64 v[6:7], v14, v[6:7]
; %bb.2876:                             ;   in Loop: Header=BB6_2787 Depth=4
	s_andn2_saveexec_b64 vcc, s[30:31]
; %bb.2877:                             ;   in Loop: Header=BB6_2787 Depth=4
	v_bfe_u32 v13, v6, 23, 1
; %bb.2878:                             ;   in Loop: Header=BB6_2787 Depth=4
	s_or_b64 exec, exec, vcc
	v_lshrrev_b64 v[6:7], 21, v[6:7]
	v_cmp_gt_i32_e32 vcc, 32, v13
	v_cndmask_b32_e32 v7, 0, v7, vcc
	v_cndmask_b32_e32 v6, 3, v6, vcc
	v_cmp_eq_u64_e64 s[30:31], 0, v[6:7]
	v_min_i32_e32 v7, 31, v13
	v_cmp_eq_u32_e32 vcc, 0, v13
	v_lshlrev_b32_e32 v7, 2, v7
	v_and_or_b32 v6, v6, 3, v7
	s_and_b64 vcc, vcc, s[30:31]
	v_cndmask_b32_e64 v6, v6, 0, vcc
	v_or_b32_e32 v27, v6, v12
.LBB6_2879:                             ;   in Loop: Header=BB6_2787 Depth=4
	s_or_b64 exec, exec, s[74:75]
.LBB6_2880:                             ;   in Loop: Header=BB6_2787 Depth=4
	s_or_b64 exec, exec, s[72:73]
                                        ; implicit-def: $vgpr7
.LBB6_2881:                             ;   in Loop: Header=BB6_2787 Depth=4
	s_andn2_saveexec_b64 s[30:31], s[70:71]
; %bb.2882:                             ;   in Loop: Header=BB6_2787 Depth=4
	v_or_b32_sdwa v6, v7, s39 dst_sel:DWORD dst_unused:UNUSED_PAD src0_sel:BYTE_3 src1_sel:DWORD
	v_cmp_eq_u64_e32 vcc, 0, v[50:51]
	v_cndmask_b32_e32 v27, v6, v27, vcc
; %bb.2883:                             ;   in Loop: Header=BB6_2787 Depth=4
	s_or_b64 exec, exec, s[30:31]
	v_lshrrev_b32_e32 v12, 16, v0
	v_lshrrev_b32_e32 v6, 16, v8
	v_cmp_ne_u16_sdwa s[30:31], v12, v51 src0_sel:BYTE_0 src1_sel:DWORD
	s_and_b64 vcc, exec, s[68:69]
	s_cbranch_vccz .LBB6_2901
; %bb.2884:                             ;   in Loop: Header=BB6_2787 Depth=4
	v_mov_b32_e32 v13, 0
	v_mov_b32_e32 v7, 0
	s_and_saveexec_b64 s[70:71], s[30:31]
	s_cbranch_execz .LBB6_2892
; %bb.2885:                             ;   in Loop: Header=BB6_2787 Depth=4
	v_cmp_ne_u16_sdwa vcc, v12, s97 src0_sel:BYTE_0 src1_sel:DWORD
	v_bfrev_b32_e32 v7, 1
	s_and_saveexec_b64 s[72:73], vcc
	s_cbranch_execz .LBB6_2891
; %bb.2886:                             ;   in Loop: Header=BB6_2787 Depth=4
	v_and_b32_e32 v7, 0x7c0000, v0
	v_bfe_u32 v14, v0, 16, 2
	v_cmp_ne_u32_e32 vcc, s36, v7
                                        ; implicit-def: $vgpr7
	s_and_saveexec_b64 s[74:75], vcc
	s_xor_b64 s[74:75], exec, s[74:75]
	s_cbranch_execz .LBB6_2888
; %bb.2887:                             ;   in Loop: Header=BB6_2787 Depth=4
	v_ffbh_u32_e32 v15, v14
	v_min_u32_e32 v15, 32, v15
	v_subrev_u32_e32 v28, 29, v15
	v_bfe_u32 v7, v0, 18, 5
	v_lshlrev_b64 v[28:29], v28, v[12:13]
	v_sub_u32_e32 v15, 30, v15
	v_and_b32_e32 v28, 3, v28
	v_cmp_eq_u32_e32 vcc, 0, v7
	v_cndmask_b32_e32 v7, v7, v15, vcc
	v_cndmask_b32_e32 v14, v14, v28, vcc
	v_bfrev_b32_e32 v28, 28
	v_lshlrev_b32_e32 v15, 24, v12
	v_lshl_add_u32 v7, v7, 23, v28
	v_and_or_b32 v7, v15, s96, v7
	v_lshl_or_b32 v7, v14, 21, v7
                                        ; implicit-def: $vgpr14
.LBB6_2888:                             ;   in Loop: Header=BB6_2787 Depth=4
	s_andn2_saveexec_b64 s[74:75], s[74:75]
; %bb.2889:                             ;   in Loop: Header=BB6_2787 Depth=4
	v_mov_b32_e32 v7, -1
	v_cmp_gt_i16_sdwa vcc, sext(v12), v7 src0_sel:BYTE_0 src1_sel:DWORD
	v_mov_b32_e32 v7, 0xc7600000
	v_mov_b32_e32 v15, 0x47600000
	v_cndmask_b32_e32 v7, v7, v15, vcc
	v_cmp_eq_u32_e32 vcc, 0, v14
	v_mov_b32_e32 v14, 0x7f800001
	v_cndmask_b32_e32 v7, v14, v7, vcc
; %bb.2890:                             ;   in Loop: Header=BB6_2787 Depth=4
	s_or_b64 exec, exec, s[74:75]
.LBB6_2891:                             ;   in Loop: Header=BB6_2787 Depth=4
	s_or_b64 exec, exec, s[72:73]
.LBB6_2892:                             ;   in Loop: Header=BB6_2787 Depth=4
	s_or_b64 exec, exec, s[70:71]
	v_cmp_ne_u16_sdwa vcc, v6, v51 src0_sel:BYTE_0 src1_sel:DWORD
	s_and_saveexec_b64 s[70:71], vcc
	s_cbranch_execz .LBB6_2900
; %bb.2893:                             ;   in Loop: Header=BB6_2787 Depth=4
	v_cmp_ne_u16_sdwa vcc, v6, s97 src0_sel:BYTE_0 src1_sel:DWORD
	v_bfrev_b32_e32 v13, 1
	s_and_saveexec_b64 s[72:73], vcc
	s_cbranch_execz .LBB6_2899
; %bb.2894:                             ;   in Loop: Header=BB6_2787 Depth=4
	v_and_b32_e32 v13, 0x7c0000, v8
	v_bfe_u32 v14, v8, 16, 2
	v_cmp_ne_u32_e32 vcc, s36, v13
                                        ; implicit-def: $vgpr13
	s_and_saveexec_b64 s[74:75], vcc
	s_xor_b64 s[74:75], exec, s[74:75]
	s_cbranch_execz .LBB6_2896
; %bb.2895:                             ;   in Loop: Header=BB6_2787 Depth=4
	v_ffbh_u32_e32 v15, v14
	v_min_u32_e32 v15, 32, v15
	v_subrev_u32_e32 v28, 29, v15
	v_bfe_u32 v13, v8, 18, 5
	v_lshlrev_b64 v[28:29], v28, v[6:7]
	v_sub_u32_e32 v15, 30, v15
	v_and_b32_e32 v28, 3, v28
	v_cmp_eq_u32_e32 vcc, 0, v13
	v_cndmask_b32_e32 v13, v13, v15, vcc
	v_cndmask_b32_e32 v14, v14, v28, vcc
	v_bfrev_b32_e32 v28, 28
	v_lshlrev_b32_e32 v15, 24, v6
	v_lshl_add_u32 v13, v13, 23, v28
	v_and_or_b32 v13, v15, s96, v13
	v_lshl_or_b32 v13, v14, 21, v13
                                        ; implicit-def: $vgpr14
.LBB6_2896:                             ;   in Loop: Header=BB6_2787 Depth=4
	s_andn2_saveexec_b64 s[74:75], s[74:75]
; %bb.2897:                             ;   in Loop: Header=BB6_2787 Depth=4
	v_mov_b32_e32 v13, -1
	v_cmp_gt_i16_sdwa vcc, sext(v6), v13 src0_sel:BYTE_0 src1_sel:DWORD
	v_mov_b32_e32 v13, 0xc7600000
	v_mov_b32_e32 v15, 0x47600000
	v_cndmask_b32_e32 v13, v13, v15, vcc
	v_cmp_eq_u32_e32 vcc, 0, v14
	v_mov_b32_e32 v14, 0x7f800001
	v_cndmask_b32_e32 v13, v14, v13, vcc
; %bb.2898:                             ;   in Loop: Header=BB6_2787 Depth=4
	s_or_b64 exec, exec, s[74:75]
.LBB6_2899:                             ;   in Loop: Header=BB6_2787 Depth=4
	s_or_b64 exec, exec, s[72:73]
.LBB6_2900:                             ;   in Loop: Header=BB6_2787 Depth=4
	s_or_b64 exec, exec, s[70:71]
	v_max_f32_e32 v13, v13, v13
	v_max_f32_e32 v7, v7, v7
	;; [unrolled: 1-line block ×3, first 2 shown]
	s_branch .LBB6_2919
.LBB6_2901:                             ;   in Loop: Header=BB6_2787 Depth=4
                                        ; implicit-def: $vgpr7
	s_cbranch_execz .LBB6_2919
; %bb.2902:                             ;   in Loop: Header=BB6_2787 Depth=4
	v_mov_b32_e32 v13, 0
	v_mov_b32_e32 v7, 0
	s_and_saveexec_b64 s[70:71], s[30:31]
	s_cbranch_execz .LBB6_2910
; %bb.2903:                             ;   in Loop: Header=BB6_2787 Depth=4
	v_cmp_ne_u16_sdwa vcc, v12, s97 src0_sel:BYTE_0 src1_sel:DWORD
	v_bfrev_b32_e32 v7, 1
	s_and_saveexec_b64 s[30:31], vcc
	s_cbranch_execz .LBB6_2909
; %bb.2904:                             ;   in Loop: Header=BB6_2787 Depth=4
	v_and_b32_e32 v7, 0x7c0000, v0
	v_bfe_u32 v14, v0, 16, 2
	v_cmp_ne_u32_e32 vcc, s36, v7
                                        ; implicit-def: $vgpr7
	s_and_saveexec_b64 s[72:73], vcc
	s_xor_b64 s[72:73], exec, s[72:73]
	s_cbranch_execz .LBB6_2906
; %bb.2905:                             ;   in Loop: Header=BB6_2787 Depth=4
	v_ffbh_u32_e32 v15, v14
	v_bfe_u32 v7, v0, 18, 5
	v_min_u32_e32 v15, 32, v15
	v_subrev_u32_e32 v28, 29, v15
	v_sub_u32_e32 v15, 30, v15
	v_cmp_eq_u32_e32 vcc, 0, v7
	v_lshlrev_b64 v[28:29], v28, v[12:13]
	v_cndmask_b32_e32 v7, v7, v15, vcc
	v_bfrev_b32_e32 v15, 28
	v_and_b32_e32 v28, 3, v28
	v_lshlrev_b32_e32 v12, 24, v12
	v_lshl_add_u32 v7, v7, 23, v15
	v_cndmask_b32_e32 v14, v14, v28, vcc
	v_and_or_b32 v7, v12, s96, v7
	v_lshl_or_b32 v7, v14, 21, v7
                                        ; implicit-def: $vgpr14
                                        ; implicit-def: $vgpr12
.LBB6_2906:                             ;   in Loop: Header=BB6_2787 Depth=4
	s_andn2_saveexec_b64 s[72:73], s[72:73]
; %bb.2907:                             ;   in Loop: Header=BB6_2787 Depth=4
	v_mov_b32_e32 v7, -1
	v_cmp_gt_i16_sdwa vcc, sext(v12), v7 src0_sel:BYTE_0 src1_sel:DWORD
	v_mov_b32_e32 v7, 0xc7600000
	v_mov_b32_e32 v12, 0x47600000
	v_cndmask_b32_e32 v7, v7, v12, vcc
	v_cmp_eq_u32_e32 vcc, 0, v14
	v_mov_b32_e32 v12, 0x7f800001
	v_cndmask_b32_e32 v7, v12, v7, vcc
; %bb.2908:                             ;   in Loop: Header=BB6_2787 Depth=4
	s_or_b64 exec, exec, s[72:73]
.LBB6_2909:                             ;   in Loop: Header=BB6_2787 Depth=4
	s_or_b64 exec, exec, s[30:31]
.LBB6_2910:                             ;   in Loop: Header=BB6_2787 Depth=4
	s_or_b64 exec, exec, s[70:71]
	v_cmp_ne_u16_sdwa vcc, v6, v51 src0_sel:BYTE_0 src1_sel:DWORD
	s_and_saveexec_b64 s[30:31], vcc
	s_cbranch_execz .LBB6_2918
; %bb.2911:                             ;   in Loop: Header=BB6_2787 Depth=4
	v_cmp_ne_u16_sdwa vcc, v6, s97 src0_sel:BYTE_0 src1_sel:DWORD
	v_bfrev_b32_e32 v13, 1
	s_and_saveexec_b64 s[70:71], vcc
	s_cbranch_execz .LBB6_2917
; %bb.2912:                             ;   in Loop: Header=BB6_2787 Depth=4
	v_and_b32_e32 v13, 0x7c0000, v8
	v_bfe_u32 v12, v8, 16, 2
	v_cmp_ne_u32_e32 vcc, s36, v13
                                        ; implicit-def: $vgpr13
	s_and_saveexec_b64 s[72:73], vcc
	s_xor_b64 s[72:73], exec, s[72:73]
	s_cbranch_execz .LBB6_2914
; %bb.2913:                             ;   in Loop: Header=BB6_2787 Depth=4
	v_ffbh_u32_e32 v14, v12
	v_min_u32_e32 v28, 32, v14
	v_subrev_u32_e32 v14, 29, v28
	v_bfe_u32 v13, v8, 18, 5
	v_lshlrev_b64 v[14:15], v14, v[6:7]
	v_sub_u32_e32 v15, 30, v28
	v_and_b32_e32 v14, 3, v14
	v_cmp_eq_u32_e32 vcc, 0, v13
	v_cndmask_b32_e32 v13, v13, v15, vcc
	v_cndmask_b32_e32 v12, v12, v14, vcc
	v_bfrev_b32_e32 v14, 28
	v_lshlrev_b32_e32 v6, 24, v6
	v_lshl_add_u32 v13, v13, 23, v14
	v_and_or_b32 v6, v6, s96, v13
	v_lshl_or_b32 v13, v12, 21, v6
                                        ; implicit-def: $vgpr12
                                        ; implicit-def: $vgpr6
.LBB6_2914:                             ;   in Loop: Header=BB6_2787 Depth=4
	s_andn2_saveexec_b64 s[72:73], s[72:73]
; %bb.2915:                             ;   in Loop: Header=BB6_2787 Depth=4
	v_mov_b32_e32 v13, -1
	v_cmp_gt_i16_sdwa vcc, sext(v6), v13 src0_sel:BYTE_0 src1_sel:DWORD
	v_mov_b32_e32 v6, 0xc7600000
	v_mov_b32_e32 v13, 0x47600000
	v_cndmask_b32_e32 v6, v6, v13, vcc
	v_cmp_eq_u32_e32 vcc, 0, v12
	v_mov_b32_e32 v12, 0x7f800001
	v_cndmask_b32_e32 v13, v12, v6, vcc
; %bb.2916:                             ;   in Loop: Header=BB6_2787 Depth=4
	s_or_b64 exec, exec, s[72:73]
.LBB6_2917:                             ;   in Loop: Header=BB6_2787 Depth=4
	s_or_b64 exec, exec, s[70:71]
.LBB6_2918:                             ;   in Loop: Header=BB6_2787 Depth=4
	s_or_b64 exec, exec, s[30:31]
	v_max_f32_e32 v6, v13, v13
	v_max_f32_e32 v7, v7, v7
	v_min_f32_e32 v7, v7, v6
.LBB6_2919:                             ;   in Loop: Header=BB6_2787 Depth=4
	v_and_b32_sdwa v12, v7, s97 dst_sel:DWORD dst_unused:UNUSED_PAD src0_sel:BYTE_3 src1_sel:DWORD
	v_and_b32_e32 v14, 0x7f800000, v7
	v_mov_b32_e32 v15, v51
	v_and_b32_e32 v50, 0x7fffff, v7
	v_or_b32_e32 v28, 0x7b, v12
	v_cmp_ne_u64_e32 vcc, s[52:53], v[14:15]
	s_and_saveexec_b64 s[30:31], vcc
	s_xor_b64 s[70:71], exec, s[30:31]
	s_cbranch_execz .LBB6_2929
; %bb.2920:                             ;   in Loop: Header=BB6_2787 Depth=4
	v_and_b32_e32 v14, 0x7fffffff, v7
	v_mov_b32_e32 v15, v51
	v_cmp_gt_u64_e32 vcc, s[54:55], v[14:15]
	s_and_saveexec_b64 s[72:73], vcc
	s_cbranch_execz .LBB6_2928
; %bb.2921:                             ;   in Loop: Header=BB6_2787 Depth=4
	v_cmp_ne_u32_e32 vcc, 0, v7
	v_mov_b32_e32 v28, 0
	s_and_saveexec_b64 s[74:75], vcc
	s_cbranch_execz .LBB6_2927
; %bb.2922:                             ;   in Loop: Header=BB6_2787 Depth=4
	v_bfe_u32 v6, v7, 23, 8
	v_cmp_eq_u32_e32 vcc, 0, v6
	v_add_u32_e32 v7, 0xffffff81, v6
	v_cmp_gt_u32_e64 s[30:31], s38, v6
	v_sub_u32_e32 v6, 0x71, v6
	v_mov_b32_e32 v14, 0xffffff82
	v_cndmask_b32_e64 v6, 0, v6, s[30:31]
	v_cndmask_b32_e32 v28, v7, v14, vcc
	v_mov_b32_e32 v7, 0x70
	v_cndmask_b32_e32 v29, v6, v7, vcc
	v_add_u32_e32 v6, 21, v29
	v_or_b32_e32 v13, 0x800000, v50
	v_lshlrev_b64 v[6:7], v6, -1
	v_cndmask_b32_e32 v50, v13, v50, vcc
	v_not_b32_e32 v7, v7
	v_not_b32_e32 v6, v6
	v_add_u32_e32 v13, 20, v29
	v_and_b32_e32 v7, 0, v7
	v_and_b32_e32 v6, v50, v6
	v_lshlrev_b64 v[14:15], v13, 1
	v_cmp_eq_u64_e32 vcc, v[6:7], v[14:15]
	v_lshrrev_b64 v[6:7], v29, v[50:51]
	v_lshrrev_b32_e32 v13, 23, v6
	v_add3_u32 v15, v29, v28, v13
	v_bfe_u32 v13, v6, 21, 1
	v_add_u32_e32 v13, -1, v13
	v_cndmask_b32_e32 v13, 0, v13, vcc
	v_add_u32_e32 v13, v13, v6
	v_and_b32_e32 v13, 0x1fffff, v13
	v_add_co_u32_e32 v6, vcc, v13, v6
	v_add_u32_e32 v14, 14, v15
	v_addc_co_u32_e32 v7, vcc, 0, v7, vcc
	v_cmp_ne_u32_e32 vcc, 0, v14
                                        ; implicit-def: $vgpr13
	s_and_saveexec_b64 s[30:31], vcc
	s_xor_b64 s[30:31], exec, s[30:31]
; %bb.2923:                             ;   in Loop: Header=BB6_2787 Depth=4
	v_add_u32_e32 v13, 15, v15
	v_cmp_lt_u64_e32 vcc, s[56:57], v[6:7]
	v_cndmask_b32_e32 v13, v14, v13, vcc
	v_cndmask_b32_e64 v14, 0, 1, vcc
	v_lshrrev_b64 v[6:7], v14, v[6:7]
; %bb.2924:                             ;   in Loop: Header=BB6_2787 Depth=4
	s_andn2_saveexec_b64 vcc, s[30:31]
; %bb.2925:                             ;   in Loop: Header=BB6_2787 Depth=4
	v_bfe_u32 v13, v6, 23, 1
; %bb.2926:                             ;   in Loop: Header=BB6_2787 Depth=4
	s_or_b64 exec, exec, vcc
	v_lshrrev_b64 v[6:7], 21, v[6:7]
	v_cmp_gt_i32_e32 vcc, 32, v13
	v_cndmask_b32_e32 v7, 0, v7, vcc
	v_cndmask_b32_e32 v6, 3, v6, vcc
	v_cmp_eq_u64_e64 s[30:31], 0, v[6:7]
	v_min_i32_e32 v7, 31, v13
	v_cmp_eq_u32_e32 vcc, 0, v13
	v_lshlrev_b32_e32 v7, 2, v7
	v_and_or_b32 v6, v6, 3, v7
	s_and_b64 vcc, vcc, s[30:31]
	v_cndmask_b32_e64 v6, v6, 0, vcc
	v_or_b32_e32 v28, v6, v12
.LBB6_2927:                             ;   in Loop: Header=BB6_2787 Depth=4
	s_or_b64 exec, exec, s[74:75]
.LBB6_2928:                             ;   in Loop: Header=BB6_2787 Depth=4
	s_or_b64 exec, exec, s[72:73]
                                        ; implicit-def: $vgpr7
.LBB6_2929:                             ;   in Loop: Header=BB6_2787 Depth=4
	s_andn2_saveexec_b64 s[30:31], s[70:71]
; %bb.2930:                             ;   in Loop: Header=BB6_2787 Depth=4
	v_or_b32_sdwa v6, v7, s39 dst_sel:DWORD dst_unused:UNUSED_PAD src0_sel:BYTE_3 src1_sel:DWORD
	v_cmp_eq_u64_e32 vcc, 0, v[50:51]
	v_cndmask_b32_e32 v28, v6, v28, vcc
; %bb.2931:                             ;   in Loop: Header=BB6_2787 Depth=4
	s_or_b64 exec, exec, s[30:31]
	v_lshrrev_b32_e32 v12, 24, v0
	v_lshrrev_b32_e32 v6, 24, v8
	v_cmp_lt_u32_e64 s[30:31], s43, v0
	s_and_b64 vcc, exec, s[68:69]
	s_cbranch_vccz .LBB6_2949
; %bb.2932:                             ;   in Loop: Header=BB6_2787 Depth=4
	v_mov_b32_e32 v13, 0
	v_mov_b32_e32 v7, 0
	s_and_saveexec_b64 s[70:71], s[30:31]
	s_cbranch_execz .LBB6_2940
; %bb.2933:                             ;   in Loop: Header=BB6_2787 Depth=4
	v_cmp_ne_u32_e32 vcc, s97, v12
	v_bfrev_b32_e32 v7, 1
	s_and_saveexec_b64 s[72:73], vcc
	s_cbranch_execz .LBB6_2939
; %bb.2934:                             ;   in Loop: Header=BB6_2787 Depth=4
	v_and_b32_e32 v7, 0x7c000000, v0
	v_bfe_u32 v14, v0, 24, 2
	v_cmp_ne_u32_e32 vcc, s37, v7
                                        ; implicit-def: $vgpr7
	s_and_saveexec_b64 s[74:75], vcc
	s_xor_b64 s[74:75], exec, s[74:75]
	s_cbranch_execz .LBB6_2936
; %bb.2935:                             ;   in Loop: Header=BB6_2787 Depth=4
	v_ffbh_u32_e32 v15, v14
	v_bfe_u32 v7, v0, 26, 5
	v_min_u32_e32 v15, 32, v15
	v_subrev_u32_e32 v29, 29, v15
	v_sub_u32_e32 v15, 30, v15
	v_cmp_eq_u32_e32 vcc, 0, v7
	v_lshlrev_b64 v[30:31], v29, v[12:13]
	v_cndmask_b32_e32 v7, v7, v15, vcc
	v_bfrev_b32_e32 v15, 28
	v_and_b32_e32 v29, 3, v30
	v_lshl_add_u32 v7, v7, 23, v15
	v_cndmask_b32_e32 v14, v14, v29, vcc
	v_and_or_b32 v7, v0, s96, v7
	v_lshl_or_b32 v7, v14, 21, v7
                                        ; implicit-def: $vgpr14
.LBB6_2936:                             ;   in Loop: Header=BB6_2787 Depth=4
	s_andn2_saveexec_b64 s[74:75], s[74:75]
; %bb.2937:                             ;   in Loop: Header=BB6_2787 Depth=4
	v_cmp_lt_i32_e32 vcc, -1, v0
	v_mov_b32_e32 v7, 0xc7600000
	v_mov_b32_e32 v15, 0x47600000
	v_cndmask_b32_e32 v7, v7, v15, vcc
	v_cmp_eq_u32_e32 vcc, 0, v14
	v_mov_b32_e32 v14, 0x7f800001
	v_cndmask_b32_e32 v7, v14, v7, vcc
; %bb.2938:                             ;   in Loop: Header=BB6_2787 Depth=4
	s_or_b64 exec, exec, s[74:75]
.LBB6_2939:                             ;   in Loop: Header=BB6_2787 Depth=4
	s_or_b64 exec, exec, s[72:73]
.LBB6_2940:                             ;   in Loop: Header=BB6_2787 Depth=4
	s_or_b64 exec, exec, s[70:71]
	v_cmp_lt_u32_e32 vcc, s43, v8
	s_and_saveexec_b64 s[70:71], vcc
	s_cbranch_execz .LBB6_2948
; %bb.2941:                             ;   in Loop: Header=BB6_2787 Depth=4
	v_cmp_ne_u32_e32 vcc, s97, v6
	v_bfrev_b32_e32 v13, 1
	s_and_saveexec_b64 s[72:73], vcc
	s_cbranch_execz .LBB6_2947
; %bb.2942:                             ;   in Loop: Header=BB6_2787 Depth=4
	v_and_b32_e32 v13, 0x7c000000, v8
	v_bfe_u32 v14, v8, 24, 2
	v_cmp_ne_u32_e32 vcc, s37, v13
                                        ; implicit-def: $vgpr13
	s_and_saveexec_b64 s[74:75], vcc
	s_xor_b64 s[74:75], exec, s[74:75]
	s_cbranch_execz .LBB6_2944
; %bb.2943:                             ;   in Loop: Header=BB6_2787 Depth=4
	v_ffbh_u32_e32 v15, v14
	v_bfe_u32 v13, v8, 26, 5
	v_min_u32_e32 v15, 32, v15
	v_subrev_u32_e32 v29, 29, v15
	v_sub_u32_e32 v15, 30, v15
	v_cmp_eq_u32_e32 vcc, 0, v13
	v_lshlrev_b64 v[30:31], v29, v[6:7]
	v_cndmask_b32_e32 v13, v13, v15, vcc
	v_bfrev_b32_e32 v15, 28
	v_and_b32_e32 v29, 3, v30
	v_lshl_add_u32 v13, v13, 23, v15
	v_cndmask_b32_e32 v14, v14, v29, vcc
	v_and_or_b32 v13, v8, s96, v13
	v_lshl_or_b32 v13, v14, 21, v13
                                        ; implicit-def: $vgpr14
.LBB6_2944:                             ;   in Loop: Header=BB6_2787 Depth=4
	s_andn2_saveexec_b64 s[74:75], s[74:75]
; %bb.2945:                             ;   in Loop: Header=BB6_2787 Depth=4
	v_cmp_lt_i32_e32 vcc, -1, v8
	v_mov_b32_e32 v13, 0xc7600000
	v_mov_b32_e32 v15, 0x47600000
	v_cndmask_b32_e32 v13, v13, v15, vcc
	v_cmp_eq_u32_e32 vcc, 0, v14
	v_mov_b32_e32 v14, 0x7f800001
	v_cndmask_b32_e32 v13, v14, v13, vcc
; %bb.2946:                             ;   in Loop: Header=BB6_2787 Depth=4
	s_or_b64 exec, exec, s[74:75]
.LBB6_2947:                             ;   in Loop: Header=BB6_2787 Depth=4
	s_or_b64 exec, exec, s[72:73]
.LBB6_2948:                             ;   in Loop: Header=BB6_2787 Depth=4
	s_or_b64 exec, exec, s[70:71]
	v_max_f32_e32 v13, v13, v13
	v_max_f32_e32 v7, v7, v7
	;; [unrolled: 1-line block ×3, first 2 shown]
	s_branch .LBB6_2967
.LBB6_2949:                             ;   in Loop: Header=BB6_2787 Depth=4
                                        ; implicit-def: $vgpr7
	s_cbranch_execz .LBB6_2967
; %bb.2950:                             ;   in Loop: Header=BB6_2787 Depth=4
	v_mov_b32_e32 v13, 0
	v_mov_b32_e32 v7, 0
	s_and_saveexec_b64 s[70:71], s[30:31]
	s_cbranch_execz .LBB6_2958
; %bb.2951:                             ;   in Loop: Header=BB6_2787 Depth=4
	v_cmp_ne_u32_e32 vcc, s97, v12
	v_bfrev_b32_e32 v7, 1
	s_and_saveexec_b64 s[30:31], vcc
	s_cbranch_execz .LBB6_2957
; %bb.2952:                             ;   in Loop: Header=BB6_2787 Depth=4
	v_and_b32_e32 v7, 0x7c000000, v0
	v_bfe_u32 v14, v0, 24, 2
	v_cmp_ne_u32_e32 vcc, s37, v7
                                        ; implicit-def: $vgpr7
	s_and_saveexec_b64 s[72:73], vcc
	s_xor_b64 s[72:73], exec, s[72:73]
	s_cbranch_execz .LBB6_2954
; %bb.2953:                             ;   in Loop: Header=BB6_2787 Depth=4
	v_ffbh_u32_e32 v15, v14
	v_min_u32_e32 v15, 32, v15
	v_subrev_u32_e32 v29, 29, v15
	v_bfe_u32 v7, v0, 26, 5
	v_lshlrev_b64 v[30:31], v29, v[12:13]
	v_sub_u32_e32 v12, 30, v15
	v_and_b32_e32 v15, 3, v30
	v_cmp_eq_u32_e32 vcc, 0, v7
	v_cndmask_b32_e32 v7, v7, v12, vcc
	v_cndmask_b32_e32 v12, v14, v15, vcc
	v_bfrev_b32_e32 v14, 28
	v_lshl_add_u32 v7, v7, 23, v14
	v_and_or_b32 v7, v0, s96, v7
	v_lshl_or_b32 v7, v12, 21, v7
                                        ; implicit-def: $vgpr14
.LBB6_2954:                             ;   in Loop: Header=BB6_2787 Depth=4
	s_andn2_saveexec_b64 s[72:73], s[72:73]
; %bb.2955:                             ;   in Loop: Header=BB6_2787 Depth=4
	v_cmp_lt_i32_e32 vcc, -1, v0
	v_mov_b32_e32 v7, 0xc7600000
	v_mov_b32_e32 v12, 0x47600000
	v_cndmask_b32_e32 v7, v7, v12, vcc
	v_cmp_eq_u32_e32 vcc, 0, v14
	v_mov_b32_e32 v12, 0x7f800001
	v_cndmask_b32_e32 v7, v12, v7, vcc
; %bb.2956:                             ;   in Loop: Header=BB6_2787 Depth=4
	s_or_b64 exec, exec, s[72:73]
.LBB6_2957:                             ;   in Loop: Header=BB6_2787 Depth=4
	s_or_b64 exec, exec, s[30:31]
.LBB6_2958:                             ;   in Loop: Header=BB6_2787 Depth=4
	s_or_b64 exec, exec, s[70:71]
	v_cmp_lt_u32_e32 vcc, s43, v8
	s_and_saveexec_b64 s[30:31], vcc
	s_cbranch_execz .LBB6_2966
; %bb.2959:                             ;   in Loop: Header=BB6_2787 Depth=4
	v_cmp_ne_u32_e32 vcc, s97, v6
	v_bfrev_b32_e32 v13, 1
	s_and_saveexec_b64 s[70:71], vcc
	s_cbranch_execz .LBB6_2965
; %bb.2960:                             ;   in Loop: Header=BB6_2787 Depth=4
	v_and_b32_e32 v13, 0x7c000000, v8
	v_bfe_u32 v12, v8, 24, 2
	v_cmp_ne_u32_e32 vcc, s37, v13
                                        ; implicit-def: $vgpr13
	s_and_saveexec_b64 s[72:73], vcc
	s_xor_b64 s[72:73], exec, s[72:73]
	s_cbranch_execz .LBB6_2962
; %bb.2961:                             ;   in Loop: Header=BB6_2787 Depth=4
	v_ffbh_u32_e32 v14, v12
	v_min_u32_e32 v29, 32, v14
	v_bfe_u32 v13, v8, 26, 5
	v_subrev_u32_e32 v14, 29, v29
	v_lshlrev_b64 v[14:15], v14, v[6:7]
	v_sub_u32_e32 v6, 30, v29
	v_cmp_eq_u32_e32 vcc, 0, v13
	v_cndmask_b32_e32 v6, v13, v6, vcc
	v_bfrev_b32_e32 v13, 28
	v_and_b32_e32 v14, 3, v14
	v_lshl_add_u32 v6, v6, 23, v13
	v_cndmask_b32_e32 v12, v12, v14, vcc
	v_and_or_b32 v6, v8, s96, v6
	v_lshl_or_b32 v13, v12, 21, v6
                                        ; implicit-def: $vgpr12
.LBB6_2962:                             ;   in Loop: Header=BB6_2787 Depth=4
	s_andn2_saveexec_b64 s[72:73], s[72:73]
; %bb.2963:                             ;   in Loop: Header=BB6_2787 Depth=4
	v_cmp_lt_i32_e32 vcc, -1, v8
	v_mov_b32_e32 v6, 0xc7600000
	v_mov_b32_e32 v13, 0x47600000
	v_cndmask_b32_e32 v6, v6, v13, vcc
	v_cmp_eq_u32_e32 vcc, 0, v12
	v_mov_b32_e32 v12, 0x7f800001
	v_cndmask_b32_e32 v13, v12, v6, vcc
; %bb.2964:                             ;   in Loop: Header=BB6_2787 Depth=4
	s_or_b64 exec, exec, s[72:73]
.LBB6_2965:                             ;   in Loop: Header=BB6_2787 Depth=4
	s_or_b64 exec, exec, s[70:71]
.LBB6_2966:                             ;   in Loop: Header=BB6_2787 Depth=4
	s_or_b64 exec, exec, s[30:31]
	v_max_f32_e32 v6, v13, v13
	v_max_f32_e32 v7, v7, v7
	v_min_f32_e32 v7, v7, v6
.LBB6_2967:                             ;   in Loop: Header=BB6_2787 Depth=4
	v_and_b32_sdwa v12, v7, s97 dst_sel:DWORD dst_unused:UNUSED_PAD src0_sel:BYTE_3 src1_sel:DWORD
	v_and_b32_e32 v14, 0x7f800000, v7
	v_mov_b32_e32 v15, v51
	v_and_b32_e32 v50, 0x7fffff, v7
	v_or_b32_e32 v29, 0x7b, v12
	v_cmp_ne_u64_e32 vcc, s[52:53], v[14:15]
	s_and_saveexec_b64 s[30:31], vcc
	s_xor_b64 s[70:71], exec, s[30:31]
	s_cbranch_execz .LBB6_2977
; %bb.2968:                             ;   in Loop: Header=BB6_2787 Depth=4
	v_and_b32_e32 v14, 0x7fffffff, v7
	v_mov_b32_e32 v15, v51
	v_cmp_gt_u64_e32 vcc, s[54:55], v[14:15]
	s_and_saveexec_b64 s[72:73], vcc
	s_cbranch_execz .LBB6_2976
; %bb.2969:                             ;   in Loop: Header=BB6_2787 Depth=4
	v_cmp_ne_u32_e32 vcc, 0, v7
	v_mov_b32_e32 v29, 0
	s_and_saveexec_b64 s[74:75], vcc
	s_cbranch_execz .LBB6_2975
; %bb.2970:                             ;   in Loop: Header=BB6_2787 Depth=4
	v_bfe_u32 v6, v7, 23, 8
	v_cmp_eq_u32_e32 vcc, 0, v6
	v_add_u32_e32 v7, 0xffffff81, v6
	v_cmp_gt_u32_e64 s[30:31], s38, v6
	v_sub_u32_e32 v6, 0x71, v6
	v_mov_b32_e32 v14, 0xffffff82
	v_cndmask_b32_e64 v6, 0, v6, s[30:31]
	v_cndmask_b32_e32 v29, v7, v14, vcc
	v_mov_b32_e32 v7, 0x70
	v_cndmask_b32_e32 v30, v6, v7, vcc
	v_add_u32_e32 v6, 21, v30
	v_or_b32_e32 v13, 0x800000, v50
	v_lshlrev_b64 v[6:7], v6, -1
	v_cndmask_b32_e32 v50, v13, v50, vcc
	v_not_b32_e32 v7, v7
	v_not_b32_e32 v6, v6
	v_add_u32_e32 v13, 20, v30
	v_and_b32_e32 v7, 0, v7
	v_and_b32_e32 v6, v50, v6
	v_lshlrev_b64 v[14:15], v13, 1
	v_cmp_eq_u64_e32 vcc, v[6:7], v[14:15]
	v_lshrrev_b64 v[6:7], v30, v[50:51]
	v_lshrrev_b32_e32 v13, 23, v6
	v_add3_u32 v15, v30, v29, v13
	v_bfe_u32 v13, v6, 21, 1
	v_add_u32_e32 v13, -1, v13
	v_cndmask_b32_e32 v13, 0, v13, vcc
	v_add_u32_e32 v13, v13, v6
	v_and_b32_e32 v13, 0x1fffff, v13
	v_add_co_u32_e32 v6, vcc, v13, v6
	v_add_u32_e32 v14, 14, v15
	v_addc_co_u32_e32 v7, vcc, 0, v7, vcc
	v_cmp_ne_u32_e32 vcc, 0, v14
                                        ; implicit-def: $vgpr13
	s_and_saveexec_b64 s[30:31], vcc
	s_xor_b64 s[30:31], exec, s[30:31]
; %bb.2971:                             ;   in Loop: Header=BB6_2787 Depth=4
	v_add_u32_e32 v13, 15, v15
	v_cmp_lt_u64_e32 vcc, s[56:57], v[6:7]
	v_cndmask_b32_e32 v13, v14, v13, vcc
	v_cndmask_b32_e64 v14, 0, 1, vcc
	v_lshrrev_b64 v[6:7], v14, v[6:7]
; %bb.2972:                             ;   in Loop: Header=BB6_2787 Depth=4
	s_andn2_saveexec_b64 vcc, s[30:31]
; %bb.2973:                             ;   in Loop: Header=BB6_2787 Depth=4
	v_bfe_u32 v13, v6, 23, 1
; %bb.2974:                             ;   in Loop: Header=BB6_2787 Depth=4
	s_or_b64 exec, exec, vcc
	v_lshrrev_b64 v[6:7], 21, v[6:7]
	v_cmp_gt_i32_e32 vcc, 32, v13
	v_cndmask_b32_e32 v7, 0, v7, vcc
	v_cndmask_b32_e32 v6, 3, v6, vcc
	v_cmp_eq_u64_e64 s[30:31], 0, v[6:7]
	v_min_i32_e32 v7, 31, v13
	v_cmp_eq_u32_e32 vcc, 0, v13
	v_lshlrev_b32_e32 v7, 2, v7
	v_and_or_b32 v6, v6, 3, v7
	s_and_b64 vcc, vcc, s[30:31]
	v_cndmask_b32_e64 v6, v6, 0, vcc
	v_or_b32_e32 v29, v6, v12
.LBB6_2975:                             ;   in Loop: Header=BB6_2787 Depth=4
	s_or_b64 exec, exec, s[74:75]
.LBB6_2976:                             ;   in Loop: Header=BB6_2787 Depth=4
	s_or_b64 exec, exec, s[72:73]
                                        ; implicit-def: $vgpr7
.LBB6_2977:                             ;   in Loop: Header=BB6_2787 Depth=4
	s_andn2_saveexec_b64 s[30:31], s[70:71]
; %bb.2978:                             ;   in Loop: Header=BB6_2787 Depth=4
	v_or_b32_sdwa v6, v7, s39 dst_sel:DWORD dst_unused:UNUSED_PAD src0_sel:BYTE_3 src1_sel:DWORD
	v_cmp_eq_u64_e32 vcc, 0, v[50:51]
	v_cndmask_b32_e32 v29, v6, v29, vcc
; %bb.2979:                             ;   in Loop: Header=BB6_2787 Depth=4
	s_or_b64 exec, exec, s[30:31]
	v_mov_b32_e32 v50, v1
	v_mov_b32_e32 v6, v9
	;; [unrolled: 1-line block ×3, first 2 shown]
	v_cmp_ne_u16_sdwa s[30:31], v1, v51 src0_sel:BYTE_0 src1_sel:DWORD
	s_and_b64 vcc, exec, s[68:69]
	s_cbranch_vccz .LBB6_2997
; %bb.2980:                             ;   in Loop: Header=BB6_2787 Depth=4
	v_mov_b32_e32 v13, 0
	v_mov_b32_e32 v12, 0
	s_and_saveexec_b64 s[70:71], s[30:31]
	s_cbranch_execz .LBB6_2988
; %bb.2981:                             ;   in Loop: Header=BB6_2787 Depth=4
	v_cmp_ne_u16_sdwa vcc, v1, s97 src0_sel:BYTE_0 src1_sel:DWORD
	v_bfrev_b32_e32 v12, 1
	s_and_saveexec_b64 s[72:73], vcc
	s_cbranch_execz .LBB6_2987
; %bb.2982:                             ;   in Loop: Header=BB6_2787 Depth=4
	v_and_b32_e32 v12, 0x7c, v1
	v_and_b32_e32 v14, 3, v1
	v_cmp_ne_u32_e32 vcc, s95, v12
                                        ; implicit-def: $vgpr12
	s_and_saveexec_b64 s[74:75], vcc
	s_xor_b64 s[74:75], exec, s[74:75]
	s_cbranch_execz .LBB6_2984
; %bb.2983:                             ;   in Loop: Header=BB6_2787 Depth=4
	v_ffbh_u32_e32 v15, v14
	v_min_u32_e32 v15, 32, v15
	v_subrev_u32_e32 v30, 29, v15
	v_bfe_u32 v12, v1, 2, 5
	v_lshlrev_b64 v[30:31], v30, v[50:51]
	v_sub_u32_e32 v15, 30, v15
	v_and_b32_e32 v30, 3, v30
	v_cmp_eq_u32_e32 vcc, 0, v12
	v_cndmask_b32_e32 v12, v12, v15, vcc
	v_cndmask_b32_e32 v14, v14, v30, vcc
	v_bfrev_b32_e32 v30, 28
	v_lshlrev_b32_e32 v15, 24, v1
	v_lshl_add_u32 v12, v12, 23, v30
	v_and_or_b32 v12, v15, s96, v12
	v_lshl_or_b32 v12, v14, 21, v12
                                        ; implicit-def: $vgpr14
.LBB6_2984:                             ;   in Loop: Header=BB6_2787 Depth=4
	s_andn2_saveexec_b64 s[74:75], s[74:75]
; %bb.2985:                             ;   in Loop: Header=BB6_2787 Depth=4
	v_mov_b32_e32 v12, -1
	v_cmp_gt_i16_sdwa vcc, sext(v1), v12 src0_sel:BYTE_0 src1_sel:DWORD
	v_mov_b32_e32 v12, 0xc7600000
	v_mov_b32_e32 v15, 0x47600000
	v_cndmask_b32_e32 v12, v12, v15, vcc
	v_cmp_eq_u32_e32 vcc, 0, v14
	v_mov_b32_e32 v14, 0x7f800001
	v_cndmask_b32_e32 v12, v14, v12, vcc
; %bb.2986:                             ;   in Loop: Header=BB6_2787 Depth=4
	s_or_b64 exec, exec, s[74:75]
.LBB6_2987:                             ;   in Loop: Header=BB6_2787 Depth=4
	s_or_b64 exec, exec, s[72:73]
.LBB6_2988:                             ;   in Loop: Header=BB6_2787 Depth=4
	s_or_b64 exec, exec, s[70:71]
	v_cmp_ne_u16_sdwa vcc, v9, v51 src0_sel:BYTE_0 src1_sel:DWORD
	s_and_saveexec_b64 s[70:71], vcc
	s_cbranch_execz .LBB6_2996
; %bb.2989:                             ;   in Loop: Header=BB6_2787 Depth=4
	v_cmp_ne_u16_sdwa vcc, v9, s97 src0_sel:BYTE_0 src1_sel:DWORD
	v_bfrev_b32_e32 v13, 1
	s_and_saveexec_b64 s[72:73], vcc
	s_cbranch_execz .LBB6_2995
; %bb.2990:                             ;   in Loop: Header=BB6_2787 Depth=4
	v_and_b32_e32 v13, 0x7c, v9
	v_and_b32_e32 v14, 3, v9
	v_cmp_ne_u32_e32 vcc, s95, v13
                                        ; implicit-def: $vgpr13
	s_and_saveexec_b64 s[74:75], vcc
	s_xor_b64 s[74:75], exec, s[74:75]
	s_cbranch_execz .LBB6_2992
; %bb.2991:                             ;   in Loop: Header=BB6_2787 Depth=4
	v_ffbh_u32_e32 v15, v14
	v_min_u32_e32 v15, 32, v15
	v_subrev_u32_e32 v30, 29, v15
	v_bfe_u32 v13, v9, 2, 5
	v_lshlrev_b64 v[30:31], v30, v[6:7]
	v_sub_u32_e32 v15, 30, v15
	v_and_b32_e32 v30, 3, v30
	v_cmp_eq_u32_e32 vcc, 0, v13
	v_cndmask_b32_e32 v13, v13, v15, vcc
	v_cndmask_b32_e32 v14, v14, v30, vcc
	v_bfrev_b32_e32 v30, 28
	v_lshlrev_b32_e32 v15, 24, v9
	v_lshl_add_u32 v13, v13, 23, v30
	v_and_or_b32 v13, v15, s96, v13
	v_lshl_or_b32 v13, v14, 21, v13
                                        ; implicit-def: $vgpr14
.LBB6_2992:                             ;   in Loop: Header=BB6_2787 Depth=4
	s_andn2_saveexec_b64 s[74:75], s[74:75]
; %bb.2993:                             ;   in Loop: Header=BB6_2787 Depth=4
	v_mov_b32_e32 v13, -1
	v_cmp_gt_i16_sdwa vcc, sext(v9), v13 src0_sel:BYTE_0 src1_sel:DWORD
	v_mov_b32_e32 v13, 0xc7600000
	v_mov_b32_e32 v15, 0x47600000
	v_cndmask_b32_e32 v13, v13, v15, vcc
	v_cmp_eq_u32_e32 vcc, 0, v14
	v_mov_b32_e32 v14, 0x7f800001
	v_cndmask_b32_e32 v13, v14, v13, vcc
; %bb.2994:                             ;   in Loop: Header=BB6_2787 Depth=4
	s_or_b64 exec, exec, s[74:75]
.LBB6_2995:                             ;   in Loop: Header=BB6_2787 Depth=4
	s_or_b64 exec, exec, s[72:73]
.LBB6_2996:                             ;   in Loop: Header=BB6_2787 Depth=4
	s_or_b64 exec, exec, s[70:71]
	v_max_f32_e32 v13, v13, v13
	v_max_f32_e32 v12, v12, v12
	;; [unrolled: 1-line block ×3, first 2 shown]
	s_branch .LBB6_3015
.LBB6_2997:                             ;   in Loop: Header=BB6_2787 Depth=4
                                        ; implicit-def: $vgpr14
	s_cbranch_execz .LBB6_3015
; %bb.2998:                             ;   in Loop: Header=BB6_2787 Depth=4
	v_mov_b32_e32 v13, 0
	v_mov_b32_e32 v12, 0
	s_and_saveexec_b64 s[70:71], s[30:31]
	s_cbranch_execz .LBB6_3006
; %bb.2999:                             ;   in Loop: Header=BB6_2787 Depth=4
	v_cmp_ne_u16_sdwa vcc, v1, s97 src0_sel:BYTE_0 src1_sel:DWORD
	v_bfrev_b32_e32 v12, 1
	s_and_saveexec_b64 s[30:31], vcc
	s_cbranch_execz .LBB6_3005
; %bb.3000:                             ;   in Loop: Header=BB6_2787 Depth=4
	v_and_b32_e32 v12, 0x7c, v1
	v_and_b32_e32 v14, 3, v1
	v_cmp_ne_u32_e32 vcc, s95, v12
                                        ; implicit-def: $vgpr12
	s_and_saveexec_b64 s[72:73], vcc
	s_xor_b64 s[72:73], exec, s[72:73]
	s_cbranch_execz .LBB6_3002
; %bb.3001:                             ;   in Loop: Header=BB6_2787 Depth=4
	v_ffbh_u32_e32 v15, v14
	v_min_u32_e32 v15, 32, v15
	v_subrev_u32_e32 v30, 29, v15
	v_bfe_u32 v12, v1, 2, 5
	v_lshlrev_b64 v[30:31], v30, v[50:51]
	v_sub_u32_e32 v15, 30, v15
	v_and_b32_e32 v30, 3, v30
	v_cmp_eq_u32_e32 vcc, 0, v12
	v_cndmask_b32_e32 v12, v12, v15, vcc
	v_cndmask_b32_e32 v14, v14, v30, vcc
	v_bfrev_b32_e32 v30, 28
	v_lshlrev_b32_e32 v15, 24, v1
	v_lshl_add_u32 v12, v12, 23, v30
	v_and_or_b32 v12, v15, s96, v12
	v_lshl_or_b32 v12, v14, 21, v12
                                        ; implicit-def: $vgpr14
.LBB6_3002:                             ;   in Loop: Header=BB6_2787 Depth=4
	s_andn2_saveexec_b64 s[72:73], s[72:73]
; %bb.3003:                             ;   in Loop: Header=BB6_2787 Depth=4
	v_mov_b32_e32 v12, -1
	v_cmp_gt_i16_sdwa vcc, sext(v1), v12 src0_sel:BYTE_0 src1_sel:DWORD
	v_mov_b32_e32 v12, 0xc7600000
	v_mov_b32_e32 v15, 0x47600000
	v_cndmask_b32_e32 v12, v12, v15, vcc
	v_cmp_eq_u32_e32 vcc, 0, v14
	v_mov_b32_e32 v14, 0x7f800001
	v_cndmask_b32_e32 v12, v14, v12, vcc
; %bb.3004:                             ;   in Loop: Header=BB6_2787 Depth=4
	s_or_b64 exec, exec, s[72:73]
.LBB6_3005:                             ;   in Loop: Header=BB6_2787 Depth=4
	s_or_b64 exec, exec, s[30:31]
.LBB6_3006:                             ;   in Loop: Header=BB6_2787 Depth=4
	s_or_b64 exec, exec, s[70:71]
	v_cmp_ne_u16_sdwa vcc, v9, v51 src0_sel:BYTE_0 src1_sel:DWORD
	s_and_saveexec_b64 s[30:31], vcc
	s_cbranch_execz .LBB6_3014
; %bb.3007:                             ;   in Loop: Header=BB6_2787 Depth=4
	v_cmp_ne_u16_sdwa vcc, v9, s97 src0_sel:BYTE_0 src1_sel:DWORD
	v_bfrev_b32_e32 v13, 1
	s_and_saveexec_b64 s[70:71], vcc
	s_cbranch_execz .LBB6_3013
; %bb.3008:                             ;   in Loop: Header=BB6_2787 Depth=4
	v_and_b32_e32 v13, 0x7c, v9
	v_and_b32_e32 v14, 3, v9
	v_cmp_ne_u32_e32 vcc, s95, v13
                                        ; implicit-def: $vgpr13
	s_and_saveexec_b64 s[72:73], vcc
	s_xor_b64 s[72:73], exec, s[72:73]
	s_cbranch_execz .LBB6_3010
; %bb.3009:                             ;   in Loop: Header=BB6_2787 Depth=4
	v_ffbh_u32_e32 v15, v14
	v_min_u32_e32 v15, 32, v15
	v_subrev_u32_e32 v30, 29, v15
	v_bfe_u32 v13, v9, 2, 5
	v_lshlrev_b64 v[30:31], v30, v[6:7]
	v_sub_u32_e32 v7, 30, v15
	v_and_b32_e32 v15, 3, v30
	v_cmp_eq_u32_e32 vcc, 0, v13
	v_cndmask_b32_e32 v7, v13, v7, vcc
	v_cndmask_b32_e32 v13, v14, v15, vcc
	v_bfrev_b32_e32 v15, 28
	v_lshlrev_b32_e32 v14, 24, v9
	v_lshl_add_u32 v7, v7, 23, v15
	v_and_or_b32 v7, v14, s96, v7
	v_lshl_or_b32 v13, v13, 21, v7
                                        ; implicit-def: $vgpr14
.LBB6_3010:                             ;   in Loop: Header=BB6_2787 Depth=4
	s_andn2_saveexec_b64 s[72:73], s[72:73]
; %bb.3011:                             ;   in Loop: Header=BB6_2787 Depth=4
	v_mov_b32_e32 v7, -1
	v_cmp_gt_i16_sdwa vcc, sext(v9), v7 src0_sel:BYTE_0 src1_sel:DWORD
	v_mov_b32_e32 v7, 0xc7600000
	v_mov_b32_e32 v13, 0x47600000
	v_cndmask_b32_e32 v7, v7, v13, vcc
	v_cmp_eq_u32_e32 vcc, 0, v14
	v_mov_b32_e32 v13, 0x7f800001
	v_cndmask_b32_e32 v13, v13, v7, vcc
; %bb.3012:                             ;   in Loop: Header=BB6_2787 Depth=4
	s_or_b64 exec, exec, s[72:73]
.LBB6_3013:                             ;   in Loop: Header=BB6_2787 Depth=4
	s_or_b64 exec, exec, s[70:71]
.LBB6_3014:                             ;   in Loop: Header=BB6_2787 Depth=4
	s_or_b64 exec, exec, s[30:31]
	v_max_f32_e32 v7, v13, v13
	v_max_f32_e32 v12, v12, v12
	v_min_f32_e32 v14, v12, v7
.LBB6_3015:                             ;   in Loop: Header=BB6_2787 Depth=4
	v_and_b32_sdwa v7, v14, s97 dst_sel:DWORD dst_unused:UNUSED_PAD src0_sel:BYTE_3 src1_sel:DWORD
	v_and_b32_e32 v32, 0x7f800000, v14
	v_mov_b32_e32 v33, v51
	v_and_b32_e32 v12, 0x7fffff, v14
	v_mov_b32_e32 v13, v51
	v_or_b32_e32 v30, 0x7b, v7
	v_cmp_ne_u64_e32 vcc, s[52:53], v[32:33]
	s_and_saveexec_b64 s[30:31], vcc
	s_xor_b64 s[70:71], exec, s[30:31]
	s_cbranch_execz .LBB6_3025
; %bb.3016:                             ;   in Loop: Header=BB6_2787 Depth=4
	v_and_b32_e32 v32, 0x7fffffff, v14
	v_mov_b32_e32 v33, v51
	v_cmp_gt_u64_e32 vcc, s[54:55], v[32:33]
	s_and_saveexec_b64 s[72:73], vcc
	s_cbranch_execz .LBB6_3024
; %bb.3017:                             ;   in Loop: Header=BB6_2787 Depth=4
	v_cmp_ne_u32_e32 vcc, 0, v14
	v_mov_b32_e32 v30, 0
	s_and_saveexec_b64 s[74:75], vcc
	s_cbranch_execz .LBB6_3023
; %bb.3018:                             ;   in Loop: Header=BB6_2787 Depth=4
	v_bfe_u32 v14, v14, 23, 8
	v_cmp_eq_u32_e32 vcc, 0, v14
	v_add_u32_e32 v15, 0xffffff81, v14
	v_cmp_gt_u32_e64 s[30:31], s38, v14
	v_sub_u32_e32 v14, 0x71, v14
	v_mov_b32_e32 v31, 0xffffff82
	v_cndmask_b32_e64 v14, 0, v14, s[30:31]
	v_cndmask_b32_e32 v32, v15, v31, vcc
	v_mov_b32_e32 v15, 0x70
	v_cndmask_b32_e32 v33, v14, v15, vcc
	v_add_u32_e32 v14, 21, v33
	v_or_b32_e32 v30, 0x800000, v12
	v_lshlrev_b64 v[14:15], v14, -1
	v_cndmask_b32_e32 v12, v30, v12, vcc
	v_not_b32_e32 v15, v15
	v_not_b32_e32 v14, v14
	v_add_u32_e32 v30, 20, v33
	v_and_b32_e32 v15, 0, v15
	v_and_b32_e32 v14, v12, v14
	v_lshlrev_b64 v[30:31], v30, 1
	v_lshrrev_b64 v[12:13], v33, v[12:13]
	v_cmp_eq_u64_e32 vcc, v[14:15], v[30:31]
	v_lshrrev_b32_e32 v14, 23, v12
	v_add3_u32 v30, v33, v32, v14
	v_bfe_u32 v14, v12, 21, 1
	v_add_u32_e32 v14, -1, v14
	v_cndmask_b32_e32 v14, 0, v14, vcc
	v_add_u32_e32 v14, v14, v12
	v_and_b32_e32 v14, 0x1fffff, v14
	v_add_co_u32_e32 v12, vcc, v14, v12
	v_add_u32_e32 v15, 14, v30
	v_addc_co_u32_e32 v13, vcc, 0, v13, vcc
	v_cmp_ne_u32_e32 vcc, 0, v15
                                        ; implicit-def: $vgpr14
	s_and_saveexec_b64 s[30:31], vcc
	s_xor_b64 s[30:31], exec, s[30:31]
; %bb.3019:                             ;   in Loop: Header=BB6_2787 Depth=4
	v_add_u32_e32 v14, 15, v30
	v_cmp_lt_u64_e32 vcc, s[56:57], v[12:13]
	v_cndmask_b32_e32 v14, v15, v14, vcc
	v_cndmask_b32_e64 v15, 0, 1, vcc
	v_lshrrev_b64 v[12:13], v15, v[12:13]
; %bb.3020:                             ;   in Loop: Header=BB6_2787 Depth=4
	s_andn2_saveexec_b64 vcc, s[30:31]
; %bb.3021:                             ;   in Loop: Header=BB6_2787 Depth=4
	v_bfe_u32 v14, v12, 23, 1
; %bb.3022:                             ;   in Loop: Header=BB6_2787 Depth=4
	s_or_b64 exec, exec, vcc
	v_lshrrev_b64 v[12:13], 21, v[12:13]
	v_cmp_gt_i32_e32 vcc, 32, v14
	v_cndmask_b32_e32 v13, 0, v13, vcc
	v_cndmask_b32_e32 v12, 3, v12, vcc
	v_cmp_eq_u64_e64 s[30:31], 0, v[12:13]
	v_min_i32_e32 v13, 31, v14
	v_cmp_eq_u32_e32 vcc, 0, v14
	v_lshlrev_b32_e32 v13, 2, v13
	v_and_or_b32 v12, v12, 3, v13
	s_and_b64 vcc, vcc, s[30:31]
	v_cndmask_b32_e64 v12, v12, 0, vcc
	v_or_b32_e32 v30, v12, v7
.LBB6_3023:                             ;   in Loop: Header=BB6_2787 Depth=4
	s_or_b64 exec, exec, s[74:75]
.LBB6_3024:                             ;   in Loop: Header=BB6_2787 Depth=4
	s_or_b64 exec, exec, s[72:73]
                                        ; implicit-def: $vgpr14
                                        ; implicit-def: $vgpr12_vgpr13
.LBB6_3025:                             ;   in Loop: Header=BB6_2787 Depth=4
	s_andn2_saveexec_b64 s[30:31], s[70:71]
; %bb.3026:                             ;   in Loop: Header=BB6_2787 Depth=4
	v_or_b32_sdwa v7, v14, s39 dst_sel:DWORD dst_unused:UNUSED_PAD src0_sel:BYTE_3 src1_sel:DWORD
	v_cmp_eq_u64_e32 vcc, 0, v[12:13]
	v_cndmask_b32_e32 v30, v7, v30, vcc
; %bb.3027:                             ;   in Loop: Header=BB6_2787 Depth=4
	s_or_b64 exec, exec, s[30:31]
	v_lshrrev_b16_e32 v14, 8, v50
	v_lshrrev_b16_e32 v12, 8, v6
	v_cmp_ne_u16_e64 s[30:31], 0, v14
	s_and_b64 vcc, exec, s[68:69]
	s_cbranch_vccz .LBB6_3045
; %bb.3028:                             ;   in Loop: Header=BB6_2787 Depth=4
	v_mov_b32_e32 v13, 0
	v_mov_b32_e32 v7, 0
	s_and_saveexec_b64 s[70:71], s[30:31]
	s_cbranch_execz .LBB6_3036
; %bb.3029:                             ;   in Loop: Header=BB6_2787 Depth=4
	v_cmp_ne_u16_e32 vcc, s97, v14
	v_bfrev_b32_e32 v7, 1
	s_and_saveexec_b64 s[72:73], vcc
	s_cbranch_execz .LBB6_3035
; %bb.3030:                             ;   in Loop: Header=BB6_2787 Depth=4
	v_and_b32_e32 v7, 0x7c, v14
	v_and_b32_e32 v31, 3, v14
	v_cmp_ne_u32_e32 vcc, s95, v7
                                        ; implicit-def: $vgpr7
	s_and_saveexec_b64 s[74:75], vcc
	s_xor_b64 s[74:75], exec, s[74:75]
	s_cbranch_execz .LBB6_3032
; %bb.3031:                             ;   in Loop: Header=BB6_2787 Depth=4
	v_ffbh_u32_e32 v32, v31
	v_min_u32_e32 v34, 32, v32
	v_mov_b32_e32 v15, v51
	v_subrev_u32_e32 v32, 29, v34
	v_bfe_u32 v7, v14, 2, 5
	v_lshlrev_b64 v[32:33], v32, v[14:15]
	v_sub_u32_e32 v15, 30, v34
	v_and_b32_e32 v32, 3, v32
	v_cmp_eq_u32_e32 vcc, 0, v7
	v_cndmask_b32_e32 v7, v7, v15, vcc
	v_cndmask_b32_e32 v15, v31, v32, vcc
	v_bfrev_b32_e32 v32, 28
	v_lshlrev_b32_e32 v31, 16, v50
	v_lshl_add_u32 v7, v7, 23, v32
	v_and_or_b32 v7, v31, s96, v7
	v_lshl_or_b32 v7, v15, 21, v7
                                        ; implicit-def: $vgpr31
.LBB6_3032:                             ;   in Loop: Header=BB6_2787 Depth=4
	s_andn2_saveexec_b64 s[74:75], s[74:75]
; %bb.3033:                             ;   in Loop: Header=BB6_2787 Depth=4
	v_cmp_lt_i16_e32 vcc, -1, v50
	v_mov_b32_e32 v7, 0xc7600000
	v_mov_b32_e32 v15, 0x47600000
	v_cndmask_b32_e32 v7, v7, v15, vcc
	v_cmp_eq_u32_e32 vcc, 0, v31
	v_mov_b32_e32 v15, 0x7f800001
	v_cndmask_b32_e32 v7, v15, v7, vcc
; %bb.3034:                             ;   in Loop: Header=BB6_2787 Depth=4
	s_or_b64 exec, exec, s[74:75]
.LBB6_3035:                             ;   in Loop: Header=BB6_2787 Depth=4
	s_or_b64 exec, exec, s[72:73]
.LBB6_3036:                             ;   in Loop: Header=BB6_2787 Depth=4
	s_or_b64 exec, exec, s[70:71]
	v_cmp_ne_u16_e32 vcc, 0, v12
	s_and_saveexec_b64 s[70:71], vcc
	s_cbranch_execz .LBB6_3044
; %bb.3037:                             ;   in Loop: Header=BB6_2787 Depth=4
	v_cmp_ne_u16_e32 vcc, s97, v12
	v_bfrev_b32_e32 v13, 1
	s_and_saveexec_b64 s[72:73], vcc
	s_cbranch_execz .LBB6_3043
; %bb.3038:                             ;   in Loop: Header=BB6_2787 Depth=4
	v_and_b32_e32 v13, 0x7c, v12
	v_and_b32_e32 v15, 3, v12
	v_cmp_ne_u32_e32 vcc, s95, v13
                                        ; implicit-def: $vgpr13
	s_and_saveexec_b64 s[74:75], vcc
	s_xor_b64 s[74:75], exec, s[74:75]
	s_cbranch_execz .LBB6_3040
; %bb.3039:                             ;   in Loop: Header=BB6_2787 Depth=4
	v_ffbh_u32_e32 v32, v15
	v_min_u32_e32 v34, 32, v32
	v_mov_b32_e32 v13, v51
	v_subrev_u32_e32 v32, 29, v34
	v_bfe_u32 v31, v12, 2, 5
	v_lshlrev_b64 v[32:33], v32, v[12:13]
	v_sub_u32_e32 v13, 30, v34
	v_and_b32_e32 v32, 3, v32
	v_cmp_eq_u32_e32 vcc, 0, v31
	v_cndmask_b32_e32 v13, v31, v13, vcc
	v_cndmask_b32_e32 v15, v15, v32, vcc
	v_bfrev_b32_e32 v32, 28
	v_lshlrev_b32_e32 v31, 16, v6
	v_lshl_add_u32 v13, v13, 23, v32
	v_and_or_b32 v13, v31, s96, v13
	v_lshl_or_b32 v13, v15, 21, v13
                                        ; implicit-def: $vgpr15
.LBB6_3040:                             ;   in Loop: Header=BB6_2787 Depth=4
	s_andn2_saveexec_b64 s[74:75], s[74:75]
; %bb.3041:                             ;   in Loop: Header=BB6_2787 Depth=4
	v_cmp_lt_i16_e32 vcc, -1, v6
	v_mov_b32_e32 v13, 0xc7600000
	v_mov_b32_e32 v31, 0x47600000
	v_cndmask_b32_e32 v13, v13, v31, vcc
	v_cmp_eq_u32_e32 vcc, 0, v15
	v_mov_b32_e32 v15, 0x7f800001
	v_cndmask_b32_e32 v13, v15, v13, vcc
; %bb.3042:                             ;   in Loop: Header=BB6_2787 Depth=4
	s_or_b64 exec, exec, s[74:75]
.LBB6_3043:                             ;   in Loop: Header=BB6_2787 Depth=4
	s_or_b64 exec, exec, s[72:73]
.LBB6_3044:                             ;   in Loop: Header=BB6_2787 Depth=4
	s_or_b64 exec, exec, s[70:71]
	v_max_f32_e32 v13, v13, v13
	v_max_f32_e32 v7, v7, v7
	;; [unrolled: 1-line block ×3, first 2 shown]
	s_branch .LBB6_3063
.LBB6_3045:                             ;   in Loop: Header=BB6_2787 Depth=4
                                        ; implicit-def: $vgpr7
	s_cbranch_execz .LBB6_3063
; %bb.3046:                             ;   in Loop: Header=BB6_2787 Depth=4
	v_mov_b32_e32 v13, 0
	v_mov_b32_e32 v15, 0
	s_and_saveexec_b64 s[70:71], s[30:31]
	s_cbranch_execz .LBB6_3054
; %bb.3047:                             ;   in Loop: Header=BB6_2787 Depth=4
	v_cmp_ne_u16_e32 vcc, s97, v14
	v_bfrev_b32_e32 v15, 1
	s_and_saveexec_b64 s[30:31], vcc
	s_cbranch_execz .LBB6_3053
; %bb.3048:                             ;   in Loop: Header=BB6_2787 Depth=4
	v_and_b32_e32 v15, 0x7c, v14
	v_and_b32_e32 v7, 3, v14
	v_cmp_ne_u32_e32 vcc, s95, v15
                                        ; implicit-def: $vgpr15
	s_and_saveexec_b64 s[72:73], vcc
	s_xor_b64 s[72:73], exec, s[72:73]
	s_cbranch_execz .LBB6_3050
; %bb.3049:                             ;   in Loop: Header=BB6_2787 Depth=4
	v_ffbh_u32_e32 v32, v7
	v_min_u32_e32 v32, 32, v32
	v_mov_b32_e32 v15, v51
	v_subrev_u32_e32 v33, 29, v32
	v_bfe_u32 v31, v14, 2, 5
	v_lshlrev_b64 v[14:15], v33, v[14:15]
	v_sub_u32_e32 v15, 30, v32
	v_cmp_eq_u32_e32 vcc, 0, v31
	v_and_b32_e32 v14, 3, v14
	v_cndmask_b32_e32 v15, v31, v15, vcc
	v_bfrev_b32_e32 v31, 28
	v_cndmask_b32_e32 v7, v7, v14, vcc
	v_lshlrev_b32_e32 v14, 16, v50
	v_lshl_add_u32 v15, v15, 23, v31
	v_and_or_b32 v14, v14, s96, v15
	v_lshl_or_b32 v15, v7, 21, v14
                                        ; implicit-def: $vgpr7
.LBB6_3050:                             ;   in Loop: Header=BB6_2787 Depth=4
	s_andn2_saveexec_b64 s[72:73], s[72:73]
; %bb.3051:                             ;   in Loop: Header=BB6_2787 Depth=4
	v_cmp_lt_i16_e32 vcc, -1, v50
	v_mov_b32_e32 v14, 0xc7600000
	v_mov_b32_e32 v15, 0x47600000
	v_cndmask_b32_e32 v14, v14, v15, vcc
	v_cmp_eq_u32_e32 vcc, 0, v7
	v_mov_b32_e32 v7, 0x7f800001
	v_cndmask_b32_e32 v15, v7, v14, vcc
; %bb.3052:                             ;   in Loop: Header=BB6_2787 Depth=4
	s_or_b64 exec, exec, s[72:73]
.LBB6_3053:                             ;   in Loop: Header=BB6_2787 Depth=4
	s_or_b64 exec, exec, s[30:31]
.LBB6_3054:                             ;   in Loop: Header=BB6_2787 Depth=4
	s_or_b64 exec, exec, s[70:71]
	v_cmp_ne_u16_e32 vcc, 0, v12
	s_and_saveexec_b64 s[30:31], vcc
	s_cbranch_execz .LBB6_3062
; %bb.3055:                             ;   in Loop: Header=BB6_2787 Depth=4
	v_cmp_ne_u16_e32 vcc, s97, v12
	v_bfrev_b32_e32 v13, 1
	s_and_saveexec_b64 s[70:71], vcc
	s_cbranch_execz .LBB6_3061
; %bb.3056:                             ;   in Loop: Header=BB6_2787 Depth=4
	v_and_b32_e32 v7, 0x7c, v12
	v_and_b32_e32 v14, 3, v12
	v_cmp_ne_u32_e32 vcc, s95, v7
                                        ; implicit-def: $vgpr13
	s_and_saveexec_b64 s[72:73], vcc
	s_xor_b64 s[72:73], exec, s[72:73]
	s_cbranch_execz .LBB6_3058
; %bb.3057:                             ;   in Loop: Header=BB6_2787 Depth=4
	v_ffbh_u32_e32 v31, v14
	v_min_u32_e32 v31, 32, v31
	v_mov_b32_e32 v13, v51
	v_subrev_u32_e32 v32, 29, v31
	v_bfe_u32 v7, v12, 2, 5
	v_lshlrev_b64 v[12:13], v32, v[12:13]
	v_sub_u32_e32 v13, 30, v31
	v_cmp_eq_u32_e32 vcc, 0, v7
	v_cndmask_b32_e32 v7, v7, v13, vcc
	v_bfrev_b32_e32 v13, 28
	v_and_b32_e32 v12, 3, v12
	v_lshlrev_b32_e32 v6, 16, v6
	v_lshl_add_u32 v7, v7, 23, v13
	v_cndmask_b32_e32 v12, v14, v12, vcc
	v_and_or_b32 v6, v6, s96, v7
	v_lshl_or_b32 v13, v12, 21, v6
                                        ; implicit-def: $vgpr14
                                        ; implicit-def: $vgpr6_vgpr7
.LBB6_3058:                             ;   in Loop: Header=BB6_2787 Depth=4
	s_andn2_saveexec_b64 s[72:73], s[72:73]
; %bb.3059:                             ;   in Loop: Header=BB6_2787 Depth=4
	v_cmp_lt_i16_e32 vcc, -1, v6
	v_mov_b32_e32 v6, 0xc7600000
	v_mov_b32_e32 v7, 0x47600000
	v_cndmask_b32_e32 v6, v6, v7, vcc
	v_cmp_eq_u32_e32 vcc, 0, v14
	v_mov_b32_e32 v7, 0x7f800001
	v_cndmask_b32_e32 v13, v7, v6, vcc
; %bb.3060:                             ;   in Loop: Header=BB6_2787 Depth=4
	s_or_b64 exec, exec, s[72:73]
.LBB6_3061:                             ;   in Loop: Header=BB6_2787 Depth=4
	s_or_b64 exec, exec, s[70:71]
.LBB6_3062:                             ;   in Loop: Header=BB6_2787 Depth=4
	s_or_b64 exec, exec, s[30:31]
	v_max_f32_e32 v6, v13, v13
	v_max_f32_e32 v7, v15, v15
	v_min_f32_e32 v7, v7, v6
.LBB6_3063:                             ;   in Loop: Header=BB6_2787 Depth=4
	v_and_b32_sdwa v12, v7, s97 dst_sel:DWORD dst_unused:UNUSED_PAD src0_sel:BYTE_3 src1_sel:DWORD
	v_and_b32_e32 v14, 0x7f800000, v7
	v_mov_b32_e32 v15, v51
	v_and_b32_e32 v50, 0x7fffff, v7
	v_or_b32_e32 v13, 0x7b, v12
	v_cmp_ne_u64_e32 vcc, s[52:53], v[14:15]
	s_and_saveexec_b64 s[30:31], vcc
	s_xor_b64 s[70:71], exec, s[30:31]
	s_cbranch_execz .LBB6_3073
; %bb.3064:                             ;   in Loop: Header=BB6_2787 Depth=4
	v_and_b32_e32 v14, 0x7fffffff, v7
	v_mov_b32_e32 v15, v51
	v_cmp_gt_u64_e32 vcc, s[54:55], v[14:15]
	s_and_saveexec_b64 s[72:73], vcc
	s_cbranch_execz .LBB6_3072
; %bb.3065:                             ;   in Loop: Header=BB6_2787 Depth=4
	v_cmp_ne_u32_e32 vcc, 0, v7
	v_mov_b32_e32 v13, 0
	s_and_saveexec_b64 s[74:75], vcc
	s_cbranch_execz .LBB6_3071
; %bb.3066:                             ;   in Loop: Header=BB6_2787 Depth=4
	v_bfe_u32 v6, v7, 23, 8
	v_cmp_eq_u32_e32 vcc, 0, v6
	v_add_u32_e32 v7, 0xffffff81, v6
	v_cmp_gt_u32_e64 s[30:31], s38, v6
	v_sub_u32_e32 v6, 0x71, v6
	v_mov_b32_e32 v14, 0xffffff82
	v_cndmask_b32_e64 v6, 0, v6, s[30:31]
	v_cndmask_b32_e32 v31, v7, v14, vcc
	v_mov_b32_e32 v7, 0x70
	v_cndmask_b32_e32 v32, v6, v7, vcc
	v_add_u32_e32 v6, 21, v32
	v_or_b32_e32 v13, 0x800000, v50
	v_lshlrev_b64 v[6:7], v6, -1
	v_cndmask_b32_e32 v50, v13, v50, vcc
	v_not_b32_e32 v7, v7
	v_not_b32_e32 v6, v6
	v_add_u32_e32 v13, 20, v32
	v_and_b32_e32 v7, 0, v7
	v_and_b32_e32 v6, v50, v6
	v_lshlrev_b64 v[14:15], v13, 1
	v_cmp_eq_u64_e32 vcc, v[6:7], v[14:15]
	v_lshrrev_b64 v[6:7], v32, v[50:51]
	v_lshrrev_b32_e32 v13, 23, v6
	v_add3_u32 v15, v32, v31, v13
	v_bfe_u32 v13, v6, 21, 1
	v_add_u32_e32 v13, -1, v13
	v_cndmask_b32_e32 v13, 0, v13, vcc
	v_add_u32_e32 v13, v13, v6
	v_and_b32_e32 v13, 0x1fffff, v13
	v_add_co_u32_e32 v6, vcc, v13, v6
	v_add_u32_e32 v14, 14, v15
	v_addc_co_u32_e32 v7, vcc, 0, v7, vcc
	v_cmp_ne_u32_e32 vcc, 0, v14
                                        ; implicit-def: $vgpr13
	s_and_saveexec_b64 s[30:31], vcc
	s_xor_b64 s[30:31], exec, s[30:31]
; %bb.3067:                             ;   in Loop: Header=BB6_2787 Depth=4
	v_add_u32_e32 v13, 15, v15
	v_cmp_lt_u64_e32 vcc, s[56:57], v[6:7]
	v_cndmask_b32_e32 v13, v14, v13, vcc
	v_cndmask_b32_e64 v14, 0, 1, vcc
	v_lshrrev_b64 v[6:7], v14, v[6:7]
; %bb.3068:                             ;   in Loop: Header=BB6_2787 Depth=4
	s_andn2_saveexec_b64 vcc, s[30:31]
; %bb.3069:                             ;   in Loop: Header=BB6_2787 Depth=4
	v_bfe_u32 v13, v6, 23, 1
; %bb.3070:                             ;   in Loop: Header=BB6_2787 Depth=4
	s_or_b64 exec, exec, vcc
	v_lshrrev_b64 v[6:7], 21, v[6:7]
	v_cmp_gt_i32_e32 vcc, 32, v13
	v_cndmask_b32_e32 v7, 0, v7, vcc
	v_cndmask_b32_e32 v6, 3, v6, vcc
	v_cmp_eq_u64_e64 s[30:31], 0, v[6:7]
	v_min_i32_e32 v7, 31, v13
	v_cmp_eq_u32_e32 vcc, 0, v13
	v_lshlrev_b32_e32 v7, 2, v7
	v_and_or_b32 v6, v6, 3, v7
	s_and_b64 vcc, vcc, s[30:31]
	v_cndmask_b32_e64 v6, v6, 0, vcc
	v_or_b32_e32 v13, v6, v12
.LBB6_3071:                             ;   in Loop: Header=BB6_2787 Depth=4
	s_or_b64 exec, exec, s[74:75]
.LBB6_3072:                             ;   in Loop: Header=BB6_2787 Depth=4
	s_or_b64 exec, exec, s[72:73]
                                        ; implicit-def: $vgpr7
.LBB6_3073:                             ;   in Loop: Header=BB6_2787 Depth=4
	s_andn2_saveexec_b64 s[30:31], s[70:71]
; %bb.3074:                             ;   in Loop: Header=BB6_2787 Depth=4
	v_or_b32_sdwa v6, v7, s39 dst_sel:DWORD dst_unused:UNUSED_PAD src0_sel:BYTE_3 src1_sel:DWORD
	v_cmp_eq_u64_e32 vcc, 0, v[50:51]
	v_cndmask_b32_e32 v13, v6, v13, vcc
; %bb.3075:                             ;   in Loop: Header=BB6_2787 Depth=4
	s_or_b64 exec, exec, s[30:31]
	v_lshrrev_b32_e32 v12, 16, v1
	v_lshrrev_b32_e32 v6, 16, v9
	v_cmp_ne_u16_sdwa s[30:31], v12, v51 src0_sel:BYTE_0 src1_sel:DWORD
	s_and_b64 vcc, exec, s[68:69]
	s_cbranch_vccz .LBB6_3093
; %bb.3076:                             ;   in Loop: Header=BB6_2787 Depth=4
	v_mov_b32_e32 v14, 0
	v_mov_b32_e32 v7, 0
	s_and_saveexec_b64 s[70:71], s[30:31]
	s_cbranch_execz .LBB6_3084
; %bb.3077:                             ;   in Loop: Header=BB6_2787 Depth=4
	v_cmp_ne_u16_sdwa vcc, v12, s97 src0_sel:BYTE_0 src1_sel:DWORD
	v_bfrev_b32_e32 v7, 1
	s_and_saveexec_b64 s[72:73], vcc
	s_cbranch_execz .LBB6_3083
; %bb.3078:                             ;   in Loop: Header=BB6_2787 Depth=4
	v_and_b32_e32 v7, 0x7c0000, v1
	v_bfe_u32 v15, v1, 16, 2
	v_cmp_ne_u32_e32 vcc, s36, v7
                                        ; implicit-def: $vgpr7
	s_and_saveexec_b64 s[74:75], vcc
	s_xor_b64 s[74:75], exec, s[74:75]
	s_cbranch_execz .LBB6_3080
; %bb.3079:                             ;   in Loop: Header=BB6_2787 Depth=4
	v_ffbh_u32_e32 v31, v15
	v_min_u32_e32 v31, 32, v31
	v_subrev_u32_e32 v32, 29, v31
	v_bfe_u32 v7, v1, 18, 5
	v_lshlrev_b64 v[32:33], v32, v[12:13]
	v_sub_u32_e32 v31, 30, v31
	v_and_b32_e32 v32, 3, v32
	v_cmp_eq_u32_e32 vcc, 0, v7
	v_cndmask_b32_e32 v7, v7, v31, vcc
	v_cndmask_b32_e32 v15, v15, v32, vcc
	v_bfrev_b32_e32 v32, 28
	v_lshlrev_b32_e32 v31, 24, v12
	v_lshl_add_u32 v7, v7, 23, v32
	v_and_or_b32 v7, v31, s96, v7
	v_lshl_or_b32 v7, v15, 21, v7
                                        ; implicit-def: $vgpr15
.LBB6_3080:                             ;   in Loop: Header=BB6_2787 Depth=4
	s_andn2_saveexec_b64 s[74:75], s[74:75]
; %bb.3081:                             ;   in Loop: Header=BB6_2787 Depth=4
	v_mov_b32_e32 v7, -1
	v_cmp_gt_i16_sdwa vcc, sext(v12), v7 src0_sel:BYTE_0 src1_sel:DWORD
	v_mov_b32_e32 v7, 0xc7600000
	v_mov_b32_e32 v31, 0x47600000
	v_cndmask_b32_e32 v7, v7, v31, vcc
	v_cmp_eq_u32_e32 vcc, 0, v15
	v_mov_b32_e32 v15, 0x7f800001
	v_cndmask_b32_e32 v7, v15, v7, vcc
; %bb.3082:                             ;   in Loop: Header=BB6_2787 Depth=4
	s_or_b64 exec, exec, s[74:75]
.LBB6_3083:                             ;   in Loop: Header=BB6_2787 Depth=4
	s_or_b64 exec, exec, s[72:73]
.LBB6_3084:                             ;   in Loop: Header=BB6_2787 Depth=4
	s_or_b64 exec, exec, s[70:71]
	v_cmp_ne_u16_sdwa vcc, v6, v51 src0_sel:BYTE_0 src1_sel:DWORD
	s_and_saveexec_b64 s[70:71], vcc
	s_cbranch_execz .LBB6_3092
; %bb.3085:                             ;   in Loop: Header=BB6_2787 Depth=4
	v_cmp_ne_u16_sdwa vcc, v6, s97 src0_sel:BYTE_0 src1_sel:DWORD
	v_bfrev_b32_e32 v14, 1
	s_and_saveexec_b64 s[72:73], vcc
	s_cbranch_execz .LBB6_3091
; %bb.3086:                             ;   in Loop: Header=BB6_2787 Depth=4
	v_and_b32_e32 v14, 0x7c0000, v9
	v_bfe_u32 v15, v9, 16, 2
	v_cmp_ne_u32_e32 vcc, s36, v14
                                        ; implicit-def: $vgpr14
	s_and_saveexec_b64 s[74:75], vcc
	s_xor_b64 s[74:75], exec, s[74:75]
	s_cbranch_execz .LBB6_3088
; %bb.3087:                             ;   in Loop: Header=BB6_2787 Depth=4
	v_ffbh_u32_e32 v31, v15
	v_min_u32_e32 v31, 32, v31
	v_subrev_u32_e32 v32, 29, v31
	v_bfe_u32 v14, v9, 18, 5
	v_lshlrev_b64 v[32:33], v32, v[6:7]
	v_sub_u32_e32 v31, 30, v31
	v_and_b32_e32 v32, 3, v32
	v_cmp_eq_u32_e32 vcc, 0, v14
	v_cndmask_b32_e32 v14, v14, v31, vcc
	v_cndmask_b32_e32 v15, v15, v32, vcc
	v_bfrev_b32_e32 v32, 28
	v_lshlrev_b32_e32 v31, 24, v6
	v_lshl_add_u32 v14, v14, 23, v32
	v_and_or_b32 v14, v31, s96, v14
	v_lshl_or_b32 v14, v15, 21, v14
                                        ; implicit-def: $vgpr15
.LBB6_3088:                             ;   in Loop: Header=BB6_2787 Depth=4
	s_andn2_saveexec_b64 s[74:75], s[74:75]
; %bb.3089:                             ;   in Loop: Header=BB6_2787 Depth=4
	v_mov_b32_e32 v14, -1
	v_cmp_gt_i16_sdwa vcc, sext(v6), v14 src0_sel:BYTE_0 src1_sel:DWORD
	v_mov_b32_e32 v14, 0xc7600000
	v_mov_b32_e32 v31, 0x47600000
	v_cndmask_b32_e32 v14, v14, v31, vcc
	v_cmp_eq_u32_e32 vcc, 0, v15
	v_mov_b32_e32 v15, 0x7f800001
	v_cndmask_b32_e32 v14, v15, v14, vcc
; %bb.3090:                             ;   in Loop: Header=BB6_2787 Depth=4
	s_or_b64 exec, exec, s[74:75]
.LBB6_3091:                             ;   in Loop: Header=BB6_2787 Depth=4
	s_or_b64 exec, exec, s[72:73]
.LBB6_3092:                             ;   in Loop: Header=BB6_2787 Depth=4
	s_or_b64 exec, exec, s[70:71]
	v_max_f32_e32 v14, v14, v14
	v_max_f32_e32 v7, v7, v7
	v_max_f32_e32 v7, v7, v14
	s_branch .LBB6_3111
.LBB6_3093:                             ;   in Loop: Header=BB6_2787 Depth=4
                                        ; implicit-def: $vgpr7
	s_cbranch_execz .LBB6_3111
; %bb.3094:                             ;   in Loop: Header=BB6_2787 Depth=4
	v_mov_b32_e32 v14, 0
	v_mov_b32_e32 v7, 0
	s_and_saveexec_b64 s[70:71], s[30:31]
	s_cbranch_execz .LBB6_3102
; %bb.3095:                             ;   in Loop: Header=BB6_2787 Depth=4
	v_cmp_ne_u16_sdwa vcc, v12, s97 src0_sel:BYTE_0 src1_sel:DWORD
	v_bfrev_b32_e32 v7, 1
	s_and_saveexec_b64 s[30:31], vcc
	s_cbranch_execz .LBB6_3101
; %bb.3096:                             ;   in Loop: Header=BB6_2787 Depth=4
	v_and_b32_e32 v7, 0x7c0000, v1
	v_bfe_u32 v15, v1, 16, 2
	v_cmp_ne_u32_e32 vcc, s36, v7
                                        ; implicit-def: $vgpr7
	s_and_saveexec_b64 s[72:73], vcc
	s_xor_b64 s[72:73], exec, s[72:73]
	s_cbranch_execz .LBB6_3098
; %bb.3097:                             ;   in Loop: Header=BB6_2787 Depth=4
	v_ffbh_u32_e32 v31, v15
	v_bfe_u32 v7, v1, 18, 5
	v_min_u32_e32 v31, 32, v31
	v_subrev_u32_e32 v32, 29, v31
	v_sub_u32_e32 v31, 30, v31
	v_cmp_eq_u32_e32 vcc, 0, v7
	v_lshlrev_b64 v[32:33], v32, v[12:13]
	v_cndmask_b32_e32 v7, v7, v31, vcc
	v_bfrev_b32_e32 v31, 28
	v_and_b32_e32 v32, 3, v32
	v_lshlrev_b32_e32 v12, 24, v12
	v_lshl_add_u32 v7, v7, 23, v31
	v_cndmask_b32_e32 v15, v15, v32, vcc
	v_and_or_b32 v7, v12, s96, v7
	v_lshl_or_b32 v7, v15, 21, v7
                                        ; implicit-def: $vgpr15
                                        ; implicit-def: $vgpr12
.LBB6_3098:                             ;   in Loop: Header=BB6_2787 Depth=4
	s_andn2_saveexec_b64 s[72:73], s[72:73]
; %bb.3099:                             ;   in Loop: Header=BB6_2787 Depth=4
	v_mov_b32_e32 v7, -1
	v_cmp_gt_i16_sdwa vcc, sext(v12), v7 src0_sel:BYTE_0 src1_sel:DWORD
	v_mov_b32_e32 v7, 0xc7600000
	v_mov_b32_e32 v12, 0x47600000
	v_cndmask_b32_e32 v7, v7, v12, vcc
	v_cmp_eq_u32_e32 vcc, 0, v15
	v_mov_b32_e32 v12, 0x7f800001
	v_cndmask_b32_e32 v7, v12, v7, vcc
; %bb.3100:                             ;   in Loop: Header=BB6_2787 Depth=4
	s_or_b64 exec, exec, s[72:73]
.LBB6_3101:                             ;   in Loop: Header=BB6_2787 Depth=4
	s_or_b64 exec, exec, s[30:31]
.LBB6_3102:                             ;   in Loop: Header=BB6_2787 Depth=4
	s_or_b64 exec, exec, s[70:71]
	v_cmp_ne_u16_sdwa vcc, v6, v51 src0_sel:BYTE_0 src1_sel:DWORD
	s_and_saveexec_b64 s[30:31], vcc
	s_cbranch_execz .LBB6_3110
; %bb.3103:                             ;   in Loop: Header=BB6_2787 Depth=4
	v_cmp_ne_u16_sdwa vcc, v6, s97 src0_sel:BYTE_0 src1_sel:DWORD
	v_bfrev_b32_e32 v14, 1
	s_and_saveexec_b64 s[70:71], vcc
	s_cbranch_execz .LBB6_3109
; %bb.3104:                             ;   in Loop: Header=BB6_2787 Depth=4
	v_and_b32_e32 v14, 0x7c0000, v9
	v_bfe_u32 v12, v9, 16, 2
	v_cmp_ne_u32_e32 vcc, s36, v14
                                        ; implicit-def: $vgpr14
	s_and_saveexec_b64 s[72:73], vcc
	s_xor_b64 s[72:73], exec, s[72:73]
	s_cbranch_execz .LBB6_3106
; %bb.3105:                             ;   in Loop: Header=BB6_2787 Depth=4
	v_ffbh_u32_e32 v14, v12
	v_min_u32_e32 v32, 32, v14
	v_subrev_u32_e32 v14, 29, v32
	v_bfe_u32 v31, v9, 18, 5
	v_lshlrev_b64 v[14:15], v14, v[6:7]
	v_sub_u32_e32 v15, 30, v32
	v_and_b32_e32 v14, 3, v14
	v_cmp_eq_u32_e32 vcc, 0, v31
	v_cndmask_b32_e32 v15, v31, v15, vcc
	v_cndmask_b32_e32 v12, v12, v14, vcc
	v_bfrev_b32_e32 v14, 28
	v_lshlrev_b32_e32 v6, 24, v6
	v_lshl_add_u32 v14, v15, 23, v14
	v_and_or_b32 v6, v6, s96, v14
	v_lshl_or_b32 v14, v12, 21, v6
                                        ; implicit-def: $vgpr12
                                        ; implicit-def: $vgpr6
.LBB6_3106:                             ;   in Loop: Header=BB6_2787 Depth=4
	s_andn2_saveexec_b64 s[72:73], s[72:73]
; %bb.3107:                             ;   in Loop: Header=BB6_2787 Depth=4
	v_mov_b32_e32 v14, -1
	v_cmp_gt_i16_sdwa vcc, sext(v6), v14 src0_sel:BYTE_0 src1_sel:DWORD
	v_mov_b32_e32 v6, 0xc7600000
	v_mov_b32_e32 v14, 0x47600000
	v_cndmask_b32_e32 v6, v6, v14, vcc
	v_cmp_eq_u32_e32 vcc, 0, v12
	v_mov_b32_e32 v12, 0x7f800001
	v_cndmask_b32_e32 v14, v12, v6, vcc
; %bb.3108:                             ;   in Loop: Header=BB6_2787 Depth=4
	s_or_b64 exec, exec, s[72:73]
.LBB6_3109:                             ;   in Loop: Header=BB6_2787 Depth=4
	s_or_b64 exec, exec, s[70:71]
.LBB6_3110:                             ;   in Loop: Header=BB6_2787 Depth=4
	s_or_b64 exec, exec, s[30:31]
	v_max_f32_e32 v6, v14, v14
	v_max_f32_e32 v7, v7, v7
	v_min_f32_e32 v7, v7, v6
.LBB6_3111:                             ;   in Loop: Header=BB6_2787 Depth=4
	v_and_b32_sdwa v12, v7, s97 dst_sel:DWORD dst_unused:UNUSED_PAD src0_sel:BYTE_3 src1_sel:DWORD
	v_and_b32_e32 v32, 0x7f800000, v7
	v_mov_b32_e32 v33, v51
	v_and_b32_e32 v50, 0x7fffff, v7
	v_or_b32_e32 v14, 0x7b, v12
	v_cmp_ne_u64_e32 vcc, s[52:53], v[32:33]
	s_and_saveexec_b64 s[30:31], vcc
	s_xor_b64 s[70:71], exec, s[30:31]
	s_cbranch_execz .LBB6_3121
; %bb.3112:                             ;   in Loop: Header=BB6_2787 Depth=4
	v_and_b32_e32 v32, 0x7fffffff, v7
	v_mov_b32_e32 v33, v51
	v_cmp_gt_u64_e32 vcc, s[54:55], v[32:33]
	s_and_saveexec_b64 s[72:73], vcc
	s_cbranch_execz .LBB6_3120
; %bb.3113:                             ;   in Loop: Header=BB6_2787 Depth=4
	v_cmp_ne_u32_e32 vcc, 0, v7
	v_mov_b32_e32 v14, 0
	s_and_saveexec_b64 s[74:75], vcc
	s_cbranch_execz .LBB6_3119
; %bb.3114:                             ;   in Loop: Header=BB6_2787 Depth=4
	v_bfe_u32 v6, v7, 23, 8
	v_cmp_eq_u32_e32 vcc, 0, v6
	v_add_u32_e32 v7, 0xffffff81, v6
	v_cmp_gt_u32_e64 s[30:31], s38, v6
	v_sub_u32_e32 v6, 0x71, v6
	v_mov_b32_e32 v15, 0xffffff82
	v_cndmask_b32_e64 v6, 0, v6, s[30:31]
	v_cndmask_b32_e32 v31, v7, v15, vcc
	v_mov_b32_e32 v7, 0x70
	v_cndmask_b32_e32 v32, v6, v7, vcc
	v_add_u32_e32 v6, 21, v32
	v_or_b32_e32 v14, 0x800000, v50
	v_lshlrev_b64 v[6:7], v6, -1
	v_cndmask_b32_e32 v50, v14, v50, vcc
	v_not_b32_e32 v7, v7
	v_not_b32_e32 v6, v6
	v_add_u32_e32 v14, 20, v32
	v_and_b32_e32 v7, 0, v7
	v_and_b32_e32 v6, v50, v6
	v_lshlrev_b64 v[14:15], v14, 1
	v_cmp_eq_u64_e32 vcc, v[6:7], v[14:15]
	v_lshrrev_b64 v[6:7], v32, v[50:51]
	v_lshrrev_b32_e32 v14, 23, v6
	v_add3_u32 v31, v32, v31, v14
	v_bfe_u32 v14, v6, 21, 1
	v_add_u32_e32 v14, -1, v14
	v_cndmask_b32_e32 v14, 0, v14, vcc
	v_add_u32_e32 v14, v14, v6
	v_and_b32_e32 v14, 0x1fffff, v14
	v_add_co_u32_e32 v6, vcc, v14, v6
	v_add_u32_e32 v15, 14, v31
	v_addc_co_u32_e32 v7, vcc, 0, v7, vcc
	v_cmp_ne_u32_e32 vcc, 0, v15
                                        ; implicit-def: $vgpr14
	s_and_saveexec_b64 s[30:31], vcc
	s_xor_b64 s[30:31], exec, s[30:31]
; %bb.3115:                             ;   in Loop: Header=BB6_2787 Depth=4
	v_add_u32_e32 v14, 15, v31
	v_cmp_lt_u64_e32 vcc, s[56:57], v[6:7]
	v_cndmask_b32_e32 v14, v15, v14, vcc
	v_cndmask_b32_e64 v15, 0, 1, vcc
	v_lshrrev_b64 v[6:7], v15, v[6:7]
; %bb.3116:                             ;   in Loop: Header=BB6_2787 Depth=4
	s_andn2_saveexec_b64 vcc, s[30:31]
; %bb.3117:                             ;   in Loop: Header=BB6_2787 Depth=4
	v_bfe_u32 v14, v6, 23, 1
; %bb.3118:                             ;   in Loop: Header=BB6_2787 Depth=4
	s_or_b64 exec, exec, vcc
	v_lshrrev_b64 v[6:7], 21, v[6:7]
	v_cmp_gt_i32_e32 vcc, 32, v14
	v_cndmask_b32_e32 v7, 0, v7, vcc
	v_cndmask_b32_e32 v6, 3, v6, vcc
	v_cmp_eq_u64_e64 s[30:31], 0, v[6:7]
	v_min_i32_e32 v7, 31, v14
	v_cmp_eq_u32_e32 vcc, 0, v14
	v_lshlrev_b32_e32 v7, 2, v7
	v_and_or_b32 v6, v6, 3, v7
	s_and_b64 vcc, vcc, s[30:31]
	v_cndmask_b32_e64 v6, v6, 0, vcc
	v_or_b32_e32 v14, v6, v12
.LBB6_3119:                             ;   in Loop: Header=BB6_2787 Depth=4
	s_or_b64 exec, exec, s[74:75]
.LBB6_3120:                             ;   in Loop: Header=BB6_2787 Depth=4
	s_or_b64 exec, exec, s[72:73]
                                        ; implicit-def: $vgpr7
.LBB6_3121:                             ;   in Loop: Header=BB6_2787 Depth=4
	s_andn2_saveexec_b64 s[30:31], s[70:71]
; %bb.3122:                             ;   in Loop: Header=BB6_2787 Depth=4
	v_or_b32_sdwa v6, v7, s39 dst_sel:DWORD dst_unused:UNUSED_PAD src0_sel:BYTE_3 src1_sel:DWORD
	v_cmp_eq_u64_e32 vcc, 0, v[50:51]
	v_cndmask_b32_e32 v14, v6, v14, vcc
; %bb.3123:                             ;   in Loop: Header=BB6_2787 Depth=4
	s_or_b64 exec, exec, s[30:31]
	v_lshrrev_b32_e32 v12, 24, v1
	v_lshrrev_b32_e32 v6, 24, v9
	v_cmp_lt_u64_e64 s[30:31], s[42:43], v[0:1]
	s_and_b64 vcc, exec, s[68:69]
	s_cbranch_vccz .LBB6_3141
; %bb.3124:                             ;   in Loop: Header=BB6_2787 Depth=4
	v_mov_b32_e32 v15, 0
	v_mov_b32_e32 v7, 0
	s_and_saveexec_b64 s[70:71], s[30:31]
	s_cbranch_execz .LBB6_3132
; %bb.3125:                             ;   in Loop: Header=BB6_2787 Depth=4
	v_cmp_ne_u32_e32 vcc, s97, v12
	v_bfrev_b32_e32 v7, 1
	s_and_saveexec_b64 s[72:73], vcc
	s_cbranch_execz .LBB6_3131
; %bb.3126:                             ;   in Loop: Header=BB6_2787 Depth=4
	v_and_b32_e32 v7, 0x7c000000, v1
	v_bfe_u32 v31, v1, 24, 2
	v_cmp_ne_u32_e32 vcc, s37, v7
                                        ; implicit-def: $vgpr7
	s_and_saveexec_b64 s[74:75], vcc
	s_xor_b64 s[74:75], exec, s[74:75]
	s_cbranch_execz .LBB6_3128
; %bb.3127:                             ;   in Loop: Header=BB6_2787 Depth=4
	v_ffbh_u32_e32 v32, v31
	v_min_u32_e32 v34, 32, v32
	v_subrev_u32_e32 v32, 29, v34
	v_bfe_u32 v7, v1, 26, 5
	v_lshlrev_b64 v[32:33], v32, v[12:13]
	v_sub_u32_e32 v33, 30, v34
	v_and_b32_e32 v32, 3, v32
	v_cmp_eq_u32_e32 vcc, 0, v7
	v_cndmask_b32_e32 v7, v7, v33, vcc
	v_cndmask_b32_e32 v31, v31, v32, vcc
	v_bfrev_b32_e32 v32, 28
	v_lshl_add_u32 v7, v7, 23, v32
	v_and_or_b32 v7, v1, s96, v7
	v_lshl_or_b32 v7, v31, 21, v7
                                        ; implicit-def: $vgpr31
.LBB6_3128:                             ;   in Loop: Header=BB6_2787 Depth=4
	s_andn2_saveexec_b64 s[74:75], s[74:75]
; %bb.3129:                             ;   in Loop: Header=BB6_2787 Depth=4
	v_cmp_lt_i64_e32 vcc, -1, v[0:1]
	v_mov_b32_e32 v7, 0xc7600000
	v_mov_b32_e32 v32, 0x47600000
	v_cndmask_b32_e32 v7, v7, v32, vcc
	v_cmp_eq_u32_e32 vcc, 0, v31
	v_mov_b32_e32 v31, 0x7f800001
	v_cndmask_b32_e32 v7, v31, v7, vcc
; %bb.3130:                             ;   in Loop: Header=BB6_2787 Depth=4
	s_or_b64 exec, exec, s[74:75]
.LBB6_3131:                             ;   in Loop: Header=BB6_2787 Depth=4
	s_or_b64 exec, exec, s[72:73]
.LBB6_3132:                             ;   in Loop: Header=BB6_2787 Depth=4
	s_or_b64 exec, exec, s[70:71]
	v_cmp_lt_u64_e32 vcc, s[42:43], v[8:9]
	s_and_saveexec_b64 s[70:71], vcc
	s_cbranch_execz .LBB6_3140
; %bb.3133:                             ;   in Loop: Header=BB6_2787 Depth=4
	v_cmp_ne_u32_e32 vcc, s97, v6
	v_bfrev_b32_e32 v15, 1
	s_and_saveexec_b64 s[72:73], vcc
	s_cbranch_execz .LBB6_3139
; %bb.3134:                             ;   in Loop: Header=BB6_2787 Depth=4
	v_and_b32_e32 v15, 0x7c000000, v9
	v_bfe_u32 v31, v9, 24, 2
	v_cmp_ne_u32_e32 vcc, s37, v15
                                        ; implicit-def: $vgpr15
	s_and_saveexec_b64 s[74:75], vcc
	s_xor_b64 s[74:75], exec, s[74:75]
	s_cbranch_execz .LBB6_3136
; %bb.3135:                             ;   in Loop: Header=BB6_2787 Depth=4
	v_ffbh_u32_e32 v32, v31
	v_min_u32_e32 v34, 32, v32
	v_subrev_u32_e32 v32, 29, v34
	v_bfe_u32 v15, v9, 26, 5
	v_lshlrev_b64 v[32:33], v32, v[6:7]
	v_sub_u32_e32 v33, 30, v34
	v_and_b32_e32 v32, 3, v32
	v_cmp_eq_u32_e32 vcc, 0, v15
	v_cndmask_b32_e32 v15, v15, v33, vcc
	v_cndmask_b32_e32 v31, v31, v32, vcc
	v_bfrev_b32_e32 v32, 28
	v_lshl_add_u32 v15, v15, 23, v32
	v_and_or_b32 v15, v9, s96, v15
	v_lshl_or_b32 v15, v31, 21, v15
                                        ; implicit-def: $vgpr31
.LBB6_3136:                             ;   in Loop: Header=BB6_2787 Depth=4
	s_andn2_saveexec_b64 s[74:75], s[74:75]
; %bb.3137:                             ;   in Loop: Header=BB6_2787 Depth=4
	v_cmp_lt_i64_e32 vcc, -1, v[8:9]
	v_mov_b32_e32 v15, 0xc7600000
	v_mov_b32_e32 v32, 0x47600000
	v_cndmask_b32_e32 v15, v15, v32, vcc
	v_cmp_eq_u32_e32 vcc, 0, v31
	v_mov_b32_e32 v31, 0x7f800001
	v_cndmask_b32_e32 v15, v31, v15, vcc
; %bb.3138:                             ;   in Loop: Header=BB6_2787 Depth=4
	s_or_b64 exec, exec, s[74:75]
.LBB6_3139:                             ;   in Loop: Header=BB6_2787 Depth=4
	s_or_b64 exec, exec, s[72:73]
.LBB6_3140:                             ;   in Loop: Header=BB6_2787 Depth=4
	s_or_b64 exec, exec, s[70:71]
	v_max_f32_e32 v15, v15, v15
	v_max_f32_e32 v7, v7, v7
	;; [unrolled: 1-line block ×3, first 2 shown]
	s_branch .LBB6_3159
.LBB6_3141:                             ;   in Loop: Header=BB6_2787 Depth=4
                                        ; implicit-def: $vgpr7
	s_cbranch_execz .LBB6_3159
; %bb.3142:                             ;   in Loop: Header=BB6_2787 Depth=4
	v_mov_b32_e32 v15, 0
	v_mov_b32_e32 v7, 0
	s_and_saveexec_b64 s[70:71], s[30:31]
	s_cbranch_execz .LBB6_3150
; %bb.3143:                             ;   in Loop: Header=BB6_2787 Depth=4
	v_cmp_ne_u32_e32 vcc, s97, v12
	v_bfrev_b32_e32 v7, 1
	s_and_saveexec_b64 s[30:31], vcc
	s_cbranch_execz .LBB6_3149
; %bb.3144:                             ;   in Loop: Header=BB6_2787 Depth=4
	v_and_b32_e32 v7, 0x7c000000, v1
	v_bfe_u32 v31, v1, 24, 2
	v_cmp_ne_u32_e32 vcc, s37, v7
                                        ; implicit-def: $vgpr7
	s_and_saveexec_b64 s[72:73], vcc
	s_xor_b64 s[72:73], exec, s[72:73]
	s_cbranch_execz .LBB6_3146
; %bb.3145:                             ;   in Loop: Header=BB6_2787 Depth=4
	v_ffbh_u32_e32 v7, v31
	v_min_u32_e32 v7, 32, v7
	v_subrev_u32_e32 v32, 29, v7
	v_bfe_u32 v0, v1, 26, 5
	v_lshlrev_b64 v[32:33], v32, v[12:13]
	v_sub_u32_e32 v7, 30, v7
	v_and_b32_e32 v12, 3, v32
	v_cmp_eq_u32_e32 vcc, 0, v0
	v_cndmask_b32_e32 v0, v0, v7, vcc
	v_cndmask_b32_e32 v7, v31, v12, vcc
	v_bfrev_b32_e32 v12, 28
	v_lshl_add_u32 v0, v0, 23, v12
	v_and_or_b32 v0, v1, s96, v0
	v_lshl_or_b32 v7, v7, 21, v0
                                        ; implicit-def: $vgpr31
.LBB6_3146:                             ;   in Loop: Header=BB6_2787 Depth=4
	s_andn2_saveexec_b64 s[72:73], s[72:73]
; %bb.3147:                             ;   in Loop: Header=BB6_2787 Depth=4
	v_cmp_lt_i64_e32 vcc, -1, v[0:1]
	v_mov_b32_e32 v0, 0xc7600000
	v_mov_b32_e32 v1, 0x47600000
	v_cndmask_b32_e32 v0, v0, v1, vcc
	v_cmp_eq_u32_e32 vcc, 0, v31
	v_mov_b32_e32 v1, 0x7f800001
	v_cndmask_b32_e32 v7, v1, v0, vcc
; %bb.3148:                             ;   in Loop: Header=BB6_2787 Depth=4
	s_or_b64 exec, exec, s[72:73]
.LBB6_3149:                             ;   in Loop: Header=BB6_2787 Depth=4
	s_or_b64 exec, exec, s[30:31]
.LBB6_3150:                             ;   in Loop: Header=BB6_2787 Depth=4
	s_or_b64 exec, exec, s[70:71]
	v_cmp_lt_u64_e32 vcc, s[42:43], v[8:9]
	s_and_saveexec_b64 s[30:31], vcc
	s_cbranch_execz .LBB6_3158
; %bb.3151:                             ;   in Loop: Header=BB6_2787 Depth=4
	v_cmp_ne_u32_e32 vcc, s97, v6
	v_bfrev_b32_e32 v15, 1
	s_and_saveexec_b64 s[70:71], vcc
	s_cbranch_execz .LBB6_3157
; %bb.3152:                             ;   in Loop: Header=BB6_2787 Depth=4
	v_and_b32_e32 v1, 0x7c000000, v9
	v_bfe_u32 v0, v9, 24, 2
	v_cmp_ne_u32_e32 vcc, s37, v1
                                        ; implicit-def: $vgpr15
	s_and_saveexec_b64 s[72:73], vcc
	s_xor_b64 s[72:73], exec, s[72:73]
	s_cbranch_execz .LBB6_3154
; %bb.3153:                             ;   in Loop: Header=BB6_2787 Depth=4
	v_ffbh_u32_e32 v8, v0
	v_min_u32_e32 v8, 32, v8
	v_bfe_u32 v1, v9, 26, 5
	v_subrev_u32_e32 v12, 29, v8
	v_lshlrev_b64 v[32:33], v12, v[6:7]
	v_sub_u32_e32 v6, 30, v8
	v_cmp_eq_u32_e32 vcc, 0, v1
	v_cndmask_b32_e32 v1, v1, v6, vcc
	v_bfrev_b32_e32 v6, 28
	v_and_b32_e32 v8, 3, v32
	v_lshl_add_u32 v1, v1, 23, v6
	v_cndmask_b32_e32 v0, v0, v8, vcc
	v_and_or_b32 v1, v9, s96, v1
	v_lshl_or_b32 v15, v0, 21, v1
                                        ; implicit-def: $vgpr0
.LBB6_3154:                             ;   in Loop: Header=BB6_2787 Depth=4
	s_andn2_saveexec_b64 s[72:73], s[72:73]
; %bb.3155:                             ;   in Loop: Header=BB6_2787 Depth=4
	v_cmp_lt_i64_e32 vcc, -1, v[8:9]
	v_mov_b32_e32 v1, 0xc7600000
	v_mov_b32_e32 v6, 0x47600000
	v_cndmask_b32_e32 v1, v1, v6, vcc
	v_cmp_eq_u32_e32 vcc, 0, v0
	v_mov_b32_e32 v0, 0x7f800001
	v_cndmask_b32_e32 v15, v0, v1, vcc
; %bb.3156:                             ;   in Loop: Header=BB6_2787 Depth=4
	s_or_b64 exec, exec, s[72:73]
.LBB6_3157:                             ;   in Loop: Header=BB6_2787 Depth=4
	s_or_b64 exec, exec, s[70:71]
.LBB6_3158:                             ;   in Loop: Header=BB6_2787 Depth=4
	s_or_b64 exec, exec, s[30:31]
	v_max_f32_e32 v0, v15, v15
	v_max_f32_e32 v1, v7, v7
	v_min_f32_e32 v7, v1, v0
.LBB6_3159:                             ;   in Loop: Header=BB6_2787 Depth=4
	v_and_b32_sdwa v6, v7, s97 dst_sel:DWORD dst_unused:UNUSED_PAD src0_sel:BYTE_3 src1_sel:DWORD
	v_and_b32_e32 v0, 0x7f800000, v7
	v_mov_b32_e32 v1, v51
	v_and_b32_e32 v50, 0x7fffff, v7
	v_or_b32_e32 v12, 0x7b, v6
	v_cmp_ne_u64_e32 vcc, s[52:53], v[0:1]
	s_and_saveexec_b64 s[30:31], vcc
	s_xor_b64 s[70:71], exec, s[30:31]
	s_cbranch_execz .LBB6_3187
; %bb.3160:                             ;   in Loop: Header=BB6_2787 Depth=4
	v_and_b32_e32 v0, 0x7fffffff, v7
	v_mov_b32_e32 v1, v51
	v_cmp_gt_u64_e32 vcc, s[54:55], v[0:1]
	s_and_saveexec_b64 s[72:73], vcc
	s_cbranch_execz .LBB6_3168
; %bb.3161:                             ;   in Loop: Header=BB6_2787 Depth=4
	v_cmp_ne_u32_e32 vcc, 0, v7
	v_mov_b32_e32 v12, 0
	s_and_saveexec_b64 s[74:75], vcc
	s_cbranch_execz .LBB6_3167
; %bb.3162:                             ;   in Loop: Header=BB6_2787 Depth=4
	v_bfe_u32 v0, v7, 23, 8
	v_cmp_eq_u32_e32 vcc, 0, v0
	v_add_u32_e32 v1, 0xffffff81, v0
	v_cmp_gt_u32_e64 s[30:31], s38, v0
	v_sub_u32_e32 v0, 0x71, v0
	v_mov_b32_e32 v8, 0xffffff82
	v_cndmask_b32_e64 v0, 0, v0, s[30:31]
	v_cndmask_b32_e32 v12, v1, v8, vcc
	v_mov_b32_e32 v1, 0x70
	v_cndmask_b32_e32 v15, v0, v1, vcc
	v_add_u32_e32 v0, 21, v15
	v_or_b32_e32 v7, 0x800000, v50
	v_lshlrev_b64 v[0:1], v0, -1
	v_cndmask_b32_e32 v50, v7, v50, vcc
	v_not_b32_e32 v1, v1
	v_not_b32_e32 v0, v0
	v_add_u32_e32 v7, 20, v15
	v_and_b32_e32 v1, 0, v1
	v_and_b32_e32 v0, v50, v0
	v_lshlrev_b64 v[8:9], v7, 1
	v_cmp_eq_u64_e32 vcc, v[0:1], v[8:9]
	v_lshrrev_b64 v[0:1], v15, v[50:51]
	v_lshrrev_b32_e32 v7, 23, v0
	v_add3_u32 v9, v15, v12, v7
	v_bfe_u32 v7, v0, 21, 1
	v_add_u32_e32 v7, -1, v7
	v_cndmask_b32_e32 v7, 0, v7, vcc
	v_add_u32_e32 v7, v7, v0
	v_and_b32_e32 v7, 0x1fffff, v7
	v_add_co_u32_e32 v0, vcc, v7, v0
	v_add_u32_e32 v8, 14, v9
	v_addc_co_u32_e32 v1, vcc, 0, v1, vcc
	v_cmp_ne_u32_e32 vcc, 0, v8
                                        ; implicit-def: $vgpr7
	s_and_saveexec_b64 s[30:31], vcc
	s_xor_b64 s[30:31], exec, s[30:31]
; %bb.3163:                             ;   in Loop: Header=BB6_2787 Depth=4
	v_add_u32_e32 v7, 15, v9
	v_cmp_lt_u64_e32 vcc, s[56:57], v[0:1]
	v_cndmask_b32_e32 v7, v8, v7, vcc
	v_cndmask_b32_e64 v8, 0, 1, vcc
	v_lshrrev_b64 v[0:1], v8, v[0:1]
; %bb.3164:                             ;   in Loop: Header=BB6_2787 Depth=4
	s_andn2_saveexec_b64 vcc, s[30:31]
; %bb.3165:                             ;   in Loop: Header=BB6_2787 Depth=4
	v_bfe_u32 v7, v0, 23, 1
; %bb.3166:                             ;   in Loop: Header=BB6_2787 Depth=4
	s_or_b64 exec, exec, vcc
	v_lshrrev_b64 v[0:1], 21, v[0:1]
	v_cmp_gt_i32_e32 vcc, 32, v7
	v_cndmask_b32_e32 v1, 0, v1, vcc
	v_cndmask_b32_e32 v0, 3, v0, vcc
	v_cmp_eq_u64_e64 s[30:31], 0, v[0:1]
	v_min_i32_e32 v1, 31, v7
	v_lshlrev_b32_e32 v1, 2, v1
	v_cmp_eq_u32_e32 vcc, 0, v7
	v_and_b32_e32 v1, 0xfc, v1
	v_and_or_b32 v0, v0, 3, v1
	s_and_b64 vcc, vcc, s[30:31]
	v_cndmask_b32_e64 v0, v0, 0, vcc
	v_or_b32_e32 v12, v0, v6
.LBB6_3167:                             ;   in Loop: Header=BB6_2787 Depth=4
	s_or_b64 exec, exec, s[74:75]
.LBB6_3168:                             ;   in Loop: Header=BB6_2787 Depth=4
	s_or_b64 exec, exec, s[72:73]
                                        ; implicit-def: $vgpr7
	s_andn2_saveexec_b64 s[30:31], s[70:71]
	s_cbranch_execnz .LBB6_3188
.LBB6_3169:                             ;   in Loop: Header=BB6_2787 Depth=4
	s_or_b64 exec, exec, s[30:31]
	v_cmp_ne_u16_sdwa s[30:31], v2, v51 src0_sel:BYTE_0 src1_sel:DWORD
	s_and_b64 vcc, exec, s[68:69]
	s_cbranch_vccz .LBB6_3189
.LBB6_3170:                             ;   in Loop: Header=BB6_2787 Depth=4
	v_mov_b32_e32 v1, 0
	v_mov_b32_e32 v0, 0
	s_and_saveexec_b64 s[70:71], s[30:31]
	s_cbranch_execz .LBB6_3178
; %bb.3171:                             ;   in Loop: Header=BB6_2787 Depth=4
	v_cmp_ne_u16_sdwa vcc, sext(v2), s94 src0_sel:BYTE_0 src1_sel:DWORD
	v_bfrev_b32_e32 v0, 1
	s_and_saveexec_b64 s[72:73], vcc
	s_cbranch_execz .LBB6_3177
; %bb.3172:                             ;   in Loop: Header=BB6_2787 Depth=4
	v_and_b32_e32 v0, 0x7c, v2
	v_and_b32_e32 v6, 3, v2
	v_cmp_ne_u32_e32 vcc, s95, v0
                                        ; implicit-def: $vgpr0
	s_and_saveexec_b64 s[74:75], vcc
	s_xor_b64 s[74:75], exec, s[74:75]
	s_cbranch_execz .LBB6_3174
; %bb.3173:                             ;   in Loop: Header=BB6_2787 Depth=4
	v_ffbh_u32_e32 v7, v6
	v_min_u32_e32 v7, 32, v7
	v_subrev_u32_e32 v8, 29, v7
	v_bfe_u32 v0, v2, 2, 5
	v_lshlrev_b64 v[8:9], v8, v[2:3]
	v_sub_u32_e32 v7, 30, v7
	v_and_b32_e32 v8, 3, v8
	v_cmp_eq_u32_e32 vcc, 0, v0
	v_cndmask_b32_e32 v0, v0, v7, vcc
	v_cndmask_b32_e32 v6, v6, v8, vcc
	v_bfrev_b32_e32 v8, 28
	v_lshlrev_b32_e32 v7, 24, v2
	v_lshl_add_u32 v0, v0, 23, v8
	v_and_or_b32 v0, v7, s96, v0
	v_lshl_or_b32 v0, v6, 21, v0
                                        ; implicit-def: $vgpr6
.LBB6_3174:                             ;   in Loop: Header=BB6_2787 Depth=4
	s_andn2_saveexec_b64 s[74:75], s[74:75]
; %bb.3175:                             ;   in Loop: Header=BB6_2787 Depth=4
	v_mov_b32_e32 v0, -1
	v_cmp_gt_i16_sdwa vcc, sext(v2), v0 src0_sel:BYTE_0 src1_sel:DWORD
	v_mov_b32_e32 v0, 0xc7600000
	v_mov_b32_e32 v7, 0x47600000
	v_cndmask_b32_e32 v0, v0, v7, vcc
	v_cmp_eq_u32_e32 vcc, 0, v6
	v_mov_b32_e32 v6, 0x7f800001
	v_cndmask_b32_e32 v0, v6, v0, vcc
; %bb.3176:                             ;   in Loop: Header=BB6_2787 Depth=4
	s_or_b64 exec, exec, s[74:75]
.LBB6_3177:                             ;   in Loop: Header=BB6_2787 Depth=4
	s_or_b64 exec, exec, s[72:73]
.LBB6_3178:                             ;   in Loop: Header=BB6_2787 Depth=4
	s_or_b64 exec, exec, s[70:71]
	v_cmp_ne_u16_sdwa vcc, sext(v10), v51 src0_sel:BYTE_0 src1_sel:DWORD
	s_and_saveexec_b64 s[70:71], vcc
	s_cbranch_execz .LBB6_3186
; %bb.3179:                             ;   in Loop: Header=BB6_2787 Depth=4
	v_cmp_ne_u16_sdwa vcc, sext(v10), s94 src0_sel:BYTE_0 src1_sel:DWORD
	v_bfrev_b32_e32 v1, 1
	s_and_saveexec_b64 s[72:73], vcc
	s_cbranch_execz .LBB6_3185
; %bb.3180:                             ;   in Loop: Header=BB6_2787 Depth=4
	v_and_b32_e32 v1, 0x7c, v10
	v_and_b32_e32 v6, 3, v10
	v_cmp_ne_u32_e32 vcc, s95, v1
                                        ; implicit-def: $vgpr1
	s_and_saveexec_b64 s[74:75], vcc
	s_xor_b64 s[74:75], exec, s[74:75]
	s_cbranch_execz .LBB6_3182
; %bb.3181:                             ;   in Loop: Header=BB6_2787 Depth=4
	v_ffbh_u32_e32 v7, v6
	v_min_u32_e32 v7, 32, v7
	v_subrev_u32_e32 v8, 29, v7
	v_bfe_u32 v1, v10, 2, 5
	v_lshlrev_b64 v[8:9], v8, v[10:11]
	v_sub_u32_e32 v7, 30, v7
	v_and_b32_e32 v8, 3, v8
	v_cmp_eq_u32_e32 vcc, 0, v1
	v_cndmask_b32_e32 v1, v1, v7, vcc
	v_cndmask_b32_e32 v6, v6, v8, vcc
	v_bfrev_b32_e32 v8, 28
	v_lshlrev_b32_e32 v7, 24, v10
	v_lshl_add_u32 v1, v1, 23, v8
	v_and_or_b32 v1, v7, s96, v1
	v_lshl_or_b32 v1, v6, 21, v1
                                        ; implicit-def: $vgpr6
.LBB6_3182:                             ;   in Loop: Header=BB6_2787 Depth=4
	s_andn2_saveexec_b64 s[74:75], s[74:75]
; %bb.3183:                             ;   in Loop: Header=BB6_2787 Depth=4
	v_mov_b32_e32 v1, -1
	v_cmp_gt_i16_sdwa vcc, sext(v10), v1 src0_sel:BYTE_0 src1_sel:DWORD
	v_mov_b32_e32 v1, 0xc7600000
	v_mov_b32_e32 v7, 0x47600000
	v_cndmask_b32_e32 v1, v1, v7, vcc
	v_cmp_eq_u32_e32 vcc, 0, v6
	v_mov_b32_e32 v6, 0x7f800001
	v_cndmask_b32_e32 v1, v6, v1, vcc
; %bb.3184:                             ;   in Loop: Header=BB6_2787 Depth=4
	s_or_b64 exec, exec, s[74:75]
.LBB6_3185:                             ;   in Loop: Header=BB6_2787 Depth=4
	s_or_b64 exec, exec, s[72:73]
.LBB6_3186:                             ;   in Loop: Header=BB6_2787 Depth=4
	s_or_b64 exec, exec, s[70:71]
	v_max_f32_e32 v1, v1, v1
	v_max_f32_e32 v0, v0, v0
	;; [unrolled: 1-line block ×3, first 2 shown]
	s_branch .LBB6_3207
.LBB6_3187:                             ;   in Loop: Header=BB6_2787 Depth=4
	s_andn2_saveexec_b64 s[30:31], s[70:71]
	s_cbranch_execz .LBB6_3169
.LBB6_3188:                             ;   in Loop: Header=BB6_2787 Depth=4
	v_or_b32_sdwa v0, v7, s39 dst_sel:DWORD dst_unused:UNUSED_PAD src0_sel:BYTE_3 src1_sel:DWORD
	v_cmp_eq_u64_e32 vcc, 0, v[50:51]
	v_cndmask_b32_e32 v12, v0, v12, vcc
	s_or_b64 exec, exec, s[30:31]
	v_cmp_ne_u16_sdwa s[30:31], v2, v51 src0_sel:BYTE_0 src1_sel:DWORD
	s_and_b64 vcc, exec, s[68:69]
	s_cbranch_vccnz .LBB6_3170
.LBB6_3189:                             ;   in Loop: Header=BB6_2787 Depth=4
                                        ; implicit-def: $vgpr0
	s_cbranch_execz .LBB6_3207
; %bb.3190:                             ;   in Loop: Header=BB6_2787 Depth=4
	v_mov_b32_e32 v1, 0
	v_mov_b32_e32 v0, 0
	s_and_saveexec_b64 s[70:71], s[30:31]
	s_cbranch_execz .LBB6_3198
; %bb.3191:                             ;   in Loop: Header=BB6_2787 Depth=4
	v_cmp_ne_u16_sdwa vcc, sext(v2), s94 src0_sel:BYTE_0 src1_sel:DWORD
	v_bfrev_b32_e32 v0, 1
	s_and_saveexec_b64 s[30:31], vcc
	s_cbranch_execz .LBB6_3197
; %bb.3192:                             ;   in Loop: Header=BB6_2787 Depth=4
	v_and_b32_e32 v0, 0x7c, v2
	v_and_b32_e32 v6, 3, v2
	v_cmp_ne_u32_e32 vcc, s95, v0
                                        ; implicit-def: $vgpr0
	s_and_saveexec_b64 s[72:73], vcc
	s_xor_b64 s[72:73], exec, s[72:73]
	s_cbranch_execz .LBB6_3194
; %bb.3193:                             ;   in Loop: Header=BB6_2787 Depth=4
	v_ffbh_u32_e32 v7, v6
	v_min_u32_e32 v7, 32, v7
	v_subrev_u32_e32 v8, 29, v7
	v_bfe_u32 v0, v2, 2, 5
	v_lshlrev_b64 v[8:9], v8, v[2:3]
	v_sub_u32_e32 v7, 30, v7
	v_and_b32_e32 v8, 3, v8
	v_cmp_eq_u32_e32 vcc, 0, v0
	v_cndmask_b32_e32 v0, v0, v7, vcc
	v_cndmask_b32_e32 v6, v6, v8, vcc
	v_bfrev_b32_e32 v8, 28
	v_lshlrev_b32_e32 v7, 24, v2
	v_lshl_add_u32 v0, v0, 23, v8
	v_and_or_b32 v0, v7, s96, v0
	v_lshl_or_b32 v0, v6, 21, v0
                                        ; implicit-def: $vgpr6
.LBB6_3194:                             ;   in Loop: Header=BB6_2787 Depth=4
	s_andn2_saveexec_b64 s[72:73], s[72:73]
; %bb.3195:                             ;   in Loop: Header=BB6_2787 Depth=4
	v_mov_b32_e32 v0, -1
	v_cmp_gt_i16_sdwa vcc, sext(v2), v0 src0_sel:BYTE_0 src1_sel:DWORD
	v_mov_b32_e32 v0, 0xc7600000
	v_mov_b32_e32 v7, 0x47600000
	v_cndmask_b32_e32 v0, v0, v7, vcc
	v_cmp_eq_u32_e32 vcc, 0, v6
	v_mov_b32_e32 v6, 0x7f800001
	v_cndmask_b32_e32 v0, v6, v0, vcc
; %bb.3196:                             ;   in Loop: Header=BB6_2787 Depth=4
	s_or_b64 exec, exec, s[72:73]
.LBB6_3197:                             ;   in Loop: Header=BB6_2787 Depth=4
	s_or_b64 exec, exec, s[30:31]
.LBB6_3198:                             ;   in Loop: Header=BB6_2787 Depth=4
	s_or_b64 exec, exec, s[70:71]
	v_cmp_ne_u16_sdwa vcc, sext(v10), v51 src0_sel:BYTE_0 src1_sel:DWORD
	s_and_saveexec_b64 s[30:31], vcc
	s_cbranch_execz .LBB6_3206
; %bb.3199:                             ;   in Loop: Header=BB6_2787 Depth=4
	v_cmp_ne_u16_sdwa vcc, sext(v10), s94 src0_sel:BYTE_0 src1_sel:DWORD
	v_bfrev_b32_e32 v1, 1
	s_and_saveexec_b64 s[70:71], vcc
	s_cbranch_execz .LBB6_3205
; %bb.3200:                             ;   in Loop: Header=BB6_2787 Depth=4
	v_and_b32_e32 v1, 0x7c, v10
	v_and_b32_e32 v6, 3, v10
	v_cmp_ne_u32_e32 vcc, s95, v1
                                        ; implicit-def: $vgpr1
	s_and_saveexec_b64 s[72:73], vcc
	s_xor_b64 s[72:73], exec, s[72:73]
	s_cbranch_execz .LBB6_3202
; %bb.3201:                             ;   in Loop: Header=BB6_2787 Depth=4
	v_ffbh_u32_e32 v7, v6
	v_min_u32_e32 v7, 32, v7
	v_subrev_u32_e32 v8, 29, v7
	v_bfe_u32 v1, v10, 2, 5
	v_lshlrev_b64 v[8:9], v8, v[10:11]
	v_sub_u32_e32 v7, 30, v7
	v_and_b32_e32 v8, 3, v8
	v_cmp_eq_u32_e32 vcc, 0, v1
	v_cndmask_b32_e32 v1, v1, v7, vcc
	v_cndmask_b32_e32 v6, v6, v8, vcc
	v_bfrev_b32_e32 v8, 28
	v_lshlrev_b32_e32 v7, 24, v10
	v_lshl_add_u32 v1, v1, 23, v8
	v_and_or_b32 v1, v7, s96, v1
	v_lshl_or_b32 v1, v6, 21, v1
                                        ; implicit-def: $vgpr6
.LBB6_3202:                             ;   in Loop: Header=BB6_2787 Depth=4
	s_andn2_saveexec_b64 s[72:73], s[72:73]
; %bb.3203:                             ;   in Loop: Header=BB6_2787 Depth=4
	v_mov_b32_e32 v1, -1
	v_cmp_gt_i16_sdwa vcc, sext(v10), v1 src0_sel:BYTE_0 src1_sel:DWORD
	v_mov_b32_e32 v1, 0xc7600000
	v_mov_b32_e32 v7, 0x47600000
	v_cndmask_b32_e32 v1, v1, v7, vcc
	v_cmp_eq_u32_e32 vcc, 0, v6
	v_mov_b32_e32 v6, 0x7f800001
	v_cndmask_b32_e32 v1, v6, v1, vcc
; %bb.3204:                             ;   in Loop: Header=BB6_2787 Depth=4
	s_or_b64 exec, exec, s[72:73]
.LBB6_3205:                             ;   in Loop: Header=BB6_2787 Depth=4
	s_or_b64 exec, exec, s[70:71]
.LBB6_3206:                             ;   in Loop: Header=BB6_2787 Depth=4
	s_or_b64 exec, exec, s[30:31]
	v_max_f32_e32 v1, v1, v1
	v_max_f32_e32 v0, v0, v0
	v_min_f32_e32 v0, v0, v1
.LBB6_3207:                             ;   in Loop: Header=BB6_2787 Depth=4
	v_and_b32_sdwa v6, v0, s97 dst_sel:DWORD dst_unused:UNUSED_PAD src0_sel:BYTE_3 src1_sel:DWORD
	v_and_b32_e32 v8, 0x7f800000, v0
	v_mov_b32_e32 v9, v51
	v_and_b32_e32 v50, 0x7fffff, v0
	v_or_b32_e32 v15, 0x7b, v6
	v_cmp_ne_u64_e32 vcc, s[52:53], v[8:9]
	s_and_saveexec_b64 s[30:31], vcc
	s_xor_b64 s[70:71], exec, s[30:31]
	s_cbranch_execz .LBB6_3217
; %bb.3208:                             ;   in Loop: Header=BB6_2787 Depth=4
	v_and_b32_e32 v8, 0x7fffffff, v0
	v_mov_b32_e32 v9, v51
	v_cmp_gt_u64_e32 vcc, s[54:55], v[8:9]
	s_and_saveexec_b64 s[72:73], vcc
	s_cbranch_execz .LBB6_3216
; %bb.3209:                             ;   in Loop: Header=BB6_2787 Depth=4
	v_cmp_ne_u32_e32 vcc, 0, v0
	v_mov_b32_e32 v15, 0
	s_and_saveexec_b64 s[74:75], vcc
	s_cbranch_execz .LBB6_3215
; %bb.3210:                             ;   in Loop: Header=BB6_2787 Depth=4
	v_bfe_u32 v0, v0, 23, 8
	v_cmp_eq_u32_e32 vcc, 0, v0
	v_add_u32_e32 v1, 0xffffff81, v0
	v_cmp_gt_u32_e64 s[30:31], s38, v0
	v_sub_u32_e32 v0, 0x71, v0
	v_mov_b32_e32 v8, 0xffffff82
	v_cndmask_b32_e64 v0, 0, v0, s[30:31]
	v_cndmask_b32_e32 v15, v1, v8, vcc
	v_mov_b32_e32 v1, 0x70
	v_cndmask_b32_e32 v31, v0, v1, vcc
	v_add_u32_e32 v0, 21, v31
	v_or_b32_e32 v7, 0x800000, v50
	v_lshlrev_b64 v[0:1], v0, -1
	v_cndmask_b32_e32 v50, v7, v50, vcc
	v_not_b32_e32 v1, v1
	v_not_b32_e32 v0, v0
	v_add_u32_e32 v7, 20, v31
	v_and_b32_e32 v1, 0, v1
	v_and_b32_e32 v0, v50, v0
	v_lshlrev_b64 v[8:9], v7, 1
	v_cmp_eq_u64_e32 vcc, v[0:1], v[8:9]
	v_lshrrev_b64 v[0:1], v31, v[50:51]
	v_lshrrev_b32_e32 v7, 23, v0
	v_add3_u32 v9, v31, v15, v7
	v_bfe_u32 v7, v0, 21, 1
	v_add_u32_e32 v7, -1, v7
	v_cndmask_b32_e32 v7, 0, v7, vcc
	v_add_u32_e32 v7, v7, v0
	v_and_b32_e32 v7, 0x1fffff, v7
	v_add_co_u32_e32 v0, vcc, v7, v0
	v_add_u32_e32 v8, 14, v9
	v_addc_co_u32_e32 v1, vcc, 0, v1, vcc
	v_cmp_ne_u32_e32 vcc, 0, v8
                                        ; implicit-def: $vgpr7
	s_and_saveexec_b64 s[30:31], vcc
	s_xor_b64 s[30:31], exec, s[30:31]
; %bb.3211:                             ;   in Loop: Header=BB6_2787 Depth=4
	v_add_u32_e32 v7, 15, v9
	v_cmp_lt_u64_e32 vcc, s[56:57], v[0:1]
	v_cndmask_b32_e32 v7, v8, v7, vcc
	v_cndmask_b32_e64 v8, 0, 1, vcc
	v_lshrrev_b64 v[0:1], v8, v[0:1]
; %bb.3212:                             ;   in Loop: Header=BB6_2787 Depth=4
	s_andn2_saveexec_b64 vcc, s[30:31]
; %bb.3213:                             ;   in Loop: Header=BB6_2787 Depth=4
	v_bfe_u32 v7, v0, 23, 1
; %bb.3214:                             ;   in Loop: Header=BB6_2787 Depth=4
	s_or_b64 exec, exec, vcc
	v_lshrrev_b64 v[0:1], 21, v[0:1]
	v_cmp_gt_i32_e32 vcc, 32, v7
	v_cndmask_b32_e32 v1, 0, v1, vcc
	v_cndmask_b32_e32 v0, 3, v0, vcc
	v_cmp_eq_u64_e64 s[30:31], 0, v[0:1]
	v_min_i32_e32 v1, 31, v7
	v_cmp_eq_u32_e32 vcc, 0, v7
	v_lshlrev_b32_e32 v1, 2, v1
	v_and_or_b32 v0, v0, 3, v1
	s_and_b64 vcc, vcc, s[30:31]
	v_cndmask_b32_e64 v0, v0, 0, vcc
	v_or_b32_e32 v15, v0, v6
.LBB6_3215:                             ;   in Loop: Header=BB6_2787 Depth=4
	s_or_b64 exec, exec, s[74:75]
.LBB6_3216:                             ;   in Loop: Header=BB6_2787 Depth=4
	s_or_b64 exec, exec, s[72:73]
                                        ; implicit-def: $vgpr0
.LBB6_3217:                             ;   in Loop: Header=BB6_2787 Depth=4
	s_andn2_saveexec_b64 s[30:31], s[70:71]
; %bb.3218:                             ;   in Loop: Header=BB6_2787 Depth=4
	v_or_b32_sdwa v0, v0, s39 dst_sel:DWORD dst_unused:UNUSED_PAD src0_sel:BYTE_3 src1_sel:DWORD
	v_cmp_eq_u64_e32 vcc, 0, v[50:51]
	v_cndmask_b32_e32 v15, v0, v15, vcc
; %bb.3219:                             ;   in Loop: Header=BB6_2787 Depth=4
	s_or_b64 exec, exec, s[30:31]
	v_lshrrev_b16_e32 v50, 8, v2
	v_lshrrev_b16_e32 v0, 8, v10
	v_cmp_ne_u16_e64 s[30:31], 0, v50
	s_and_b64 vcc, exec, s[68:69]
	s_cbranch_vccz .LBB6_3237
; %bb.3220:                             ;   in Loop: Header=BB6_2787 Depth=4
	v_mov_b32_e32 v1, 0
	v_mov_b32_e32 v6, 0
	s_and_saveexec_b64 s[70:71], s[30:31]
	s_cbranch_execz .LBB6_3228
; %bb.3221:                             ;   in Loop: Header=BB6_2787 Depth=4
	v_cmp_ne_u16_e32 vcc, s97, v50
	v_bfrev_b32_e32 v6, 1
	s_and_saveexec_b64 s[72:73], vcc
	s_cbranch_execz .LBB6_3227
; %bb.3222:                             ;   in Loop: Header=BB6_2787 Depth=4
	v_and_b32_e32 v6, 0x7c, v50
	v_and_b32_e32 v7, 3, v50
	v_cmp_ne_u32_e32 vcc, s95, v6
                                        ; implicit-def: $vgpr6
	s_and_saveexec_b64 s[74:75], vcc
	s_xor_b64 s[74:75], exec, s[74:75]
	s_cbranch_execz .LBB6_3224
; %bb.3223:                             ;   in Loop: Header=BB6_2787 Depth=4
	v_ffbh_u32_e32 v8, v7
	v_min_u32_e32 v31, 32, v8
	v_subrev_u32_e32 v8, 29, v31
	v_bfe_u32 v6, v50, 2, 5
	v_lshlrev_b64 v[8:9], v8, v[50:51]
	v_sub_u32_e32 v9, 30, v31
	v_cmp_eq_u32_e32 vcc, 0, v6
	v_and_b32_e32 v8, 3, v8
	v_cndmask_b32_e32 v6, v6, v9, vcc
	v_bfrev_b32_e32 v9, 28
	v_cndmask_b32_e32 v7, v7, v8, vcc
	v_lshlrev_b32_e32 v8, 16, v2
	v_lshl_add_u32 v6, v6, 23, v9
	v_and_or_b32 v6, v8, s96, v6
	v_lshl_or_b32 v6, v7, 21, v6
                                        ; implicit-def: $vgpr7
.LBB6_3224:                             ;   in Loop: Header=BB6_2787 Depth=4
	s_andn2_saveexec_b64 s[74:75], s[74:75]
; %bb.3225:                             ;   in Loop: Header=BB6_2787 Depth=4
	v_cmp_lt_i16_e32 vcc, -1, v2
	v_mov_b32_e32 v6, 0xc7600000
	v_mov_b32_e32 v8, 0x47600000
	v_cndmask_b32_e32 v6, v6, v8, vcc
	v_cmp_eq_u32_e32 vcc, 0, v7
	v_mov_b32_e32 v7, 0x7f800001
	v_cndmask_b32_e32 v6, v7, v6, vcc
; %bb.3226:                             ;   in Loop: Header=BB6_2787 Depth=4
	s_or_b64 exec, exec, s[74:75]
.LBB6_3227:                             ;   in Loop: Header=BB6_2787 Depth=4
	s_or_b64 exec, exec, s[72:73]
.LBB6_3228:                             ;   in Loop: Header=BB6_2787 Depth=4
	s_or_b64 exec, exec, s[70:71]
	v_cmp_ne_u16_e32 vcc, 0, v0
	s_and_saveexec_b64 s[70:71], vcc
	s_cbranch_execz .LBB6_3236
; %bb.3229:                             ;   in Loop: Header=BB6_2787 Depth=4
	v_cmp_ne_u16_e32 vcc, s97, v0
	v_bfrev_b32_e32 v1, 1
	s_and_saveexec_b64 s[72:73], vcc
	s_cbranch_execz .LBB6_3235
; %bb.3230:                             ;   in Loop: Header=BB6_2787 Depth=4
	v_and_b32_e32 v1, 0x7c, v0
	v_and_b32_e32 v7, 3, v0
	v_cmp_ne_u32_e32 vcc, s95, v1
                                        ; implicit-def: $vgpr1
	s_and_saveexec_b64 s[74:75], vcc
	s_xor_b64 s[74:75], exec, s[74:75]
	s_cbranch_execz .LBB6_3232
; %bb.3231:                             ;   in Loop: Header=BB6_2787 Depth=4
	v_ffbh_u32_e32 v8, v7
	v_min_u32_e32 v32, 32, v8
	v_mov_b32_e32 v1, v51
	v_bfe_u32 v31, v0, 2, 5
	v_subrev_u32_e32 v8, 29, v32
	v_lshlrev_b64 v[8:9], v8, v[0:1]
	v_sub_u32_e32 v1, 30, v32
	v_cmp_eq_u32_e32 vcc, 0, v31
	v_and_b32_e32 v8, 3, v8
	v_cndmask_b32_e32 v1, v31, v1, vcc
	v_bfrev_b32_e32 v9, 28
	v_cndmask_b32_e32 v7, v7, v8, vcc
	v_lshlrev_b32_e32 v8, 16, v10
	v_lshl_add_u32 v1, v1, 23, v9
	v_and_or_b32 v1, v8, s96, v1
	v_lshl_or_b32 v1, v7, 21, v1
                                        ; implicit-def: $vgpr7
.LBB6_3232:                             ;   in Loop: Header=BB6_2787 Depth=4
	s_andn2_saveexec_b64 s[74:75], s[74:75]
; %bb.3233:                             ;   in Loop: Header=BB6_2787 Depth=4
	v_cmp_lt_i16_e32 vcc, -1, v10
	v_mov_b32_e32 v1, 0xc7600000
	v_mov_b32_e32 v8, 0x47600000
	v_cndmask_b32_e32 v1, v1, v8, vcc
	v_cmp_eq_u32_e32 vcc, 0, v7
	v_mov_b32_e32 v7, 0x7f800001
	v_cndmask_b32_e32 v1, v7, v1, vcc
; %bb.3234:                             ;   in Loop: Header=BB6_2787 Depth=4
	s_or_b64 exec, exec, s[74:75]
.LBB6_3235:                             ;   in Loop: Header=BB6_2787 Depth=4
	s_or_b64 exec, exec, s[72:73]
.LBB6_3236:                             ;   in Loop: Header=BB6_2787 Depth=4
	s_or_b64 exec, exec, s[70:71]
	v_max_f32_e32 v1, v1, v1
	v_max_f32_e32 v6, v6, v6
	;; [unrolled: 1-line block ×3, first 2 shown]
	s_branch .LBB6_3255
.LBB6_3237:                             ;   in Loop: Header=BB6_2787 Depth=4
                                        ; implicit-def: $vgpr1
	s_cbranch_execz .LBB6_3255
; %bb.3238:                             ;   in Loop: Header=BB6_2787 Depth=4
	v_mov_b32_e32 v1, 0
	v_mov_b32_e32 v6, 0
	s_and_saveexec_b64 s[70:71], s[30:31]
	s_cbranch_execz .LBB6_3246
; %bb.3239:                             ;   in Loop: Header=BB6_2787 Depth=4
	v_cmp_ne_u16_e32 vcc, s97, v50
	v_bfrev_b32_e32 v6, 1
	s_and_saveexec_b64 s[30:31], vcc
	s_cbranch_execz .LBB6_3245
; %bb.3240:                             ;   in Loop: Header=BB6_2787 Depth=4
	v_and_b32_e32 v6, 0x7c, v50
	v_and_b32_e32 v7, 3, v50
	v_cmp_ne_u32_e32 vcc, s95, v6
                                        ; implicit-def: $vgpr6
	s_and_saveexec_b64 s[72:73], vcc
	s_xor_b64 s[72:73], exec, s[72:73]
	s_cbranch_execz .LBB6_3242
; %bb.3241:                             ;   in Loop: Header=BB6_2787 Depth=4
	v_ffbh_u32_e32 v8, v7
	v_min_u32_e32 v31, 32, v8
	v_subrev_u32_e32 v8, 29, v31
	v_bfe_u32 v6, v50, 2, 5
	v_lshlrev_b64 v[8:9], v8, v[50:51]
	v_sub_u32_e32 v9, 30, v31
	v_cmp_eq_u32_e32 vcc, 0, v6
	v_and_b32_e32 v8, 3, v8
	v_cndmask_b32_e32 v6, v6, v9, vcc
	v_bfrev_b32_e32 v9, 28
	v_cndmask_b32_e32 v7, v7, v8, vcc
	v_lshlrev_b32_e32 v8, 16, v2
	v_lshl_add_u32 v6, v6, 23, v9
	v_and_or_b32 v6, v8, s96, v6
	v_lshl_or_b32 v6, v7, 21, v6
                                        ; implicit-def: $vgpr7
.LBB6_3242:                             ;   in Loop: Header=BB6_2787 Depth=4
	s_andn2_saveexec_b64 s[72:73], s[72:73]
; %bb.3243:                             ;   in Loop: Header=BB6_2787 Depth=4
	v_cmp_lt_i16_e32 vcc, -1, v2
	v_mov_b32_e32 v6, 0xc7600000
	v_mov_b32_e32 v8, 0x47600000
	v_cndmask_b32_e32 v6, v6, v8, vcc
	v_cmp_eq_u32_e32 vcc, 0, v7
	v_mov_b32_e32 v7, 0x7f800001
	v_cndmask_b32_e32 v6, v7, v6, vcc
; %bb.3244:                             ;   in Loop: Header=BB6_2787 Depth=4
	s_or_b64 exec, exec, s[72:73]
.LBB6_3245:                             ;   in Loop: Header=BB6_2787 Depth=4
	s_or_b64 exec, exec, s[30:31]
.LBB6_3246:                             ;   in Loop: Header=BB6_2787 Depth=4
	s_or_b64 exec, exec, s[70:71]
	v_cmp_ne_u16_e32 vcc, 0, v0
	s_and_saveexec_b64 s[30:31], vcc
	s_cbranch_execz .LBB6_3254
; %bb.3247:                             ;   in Loop: Header=BB6_2787 Depth=4
	v_cmp_ne_u16_e32 vcc, s97, v0
	v_bfrev_b32_e32 v1, 1
	s_and_saveexec_b64 s[70:71], vcc
	s_cbranch_execz .LBB6_3253
; %bb.3248:                             ;   in Loop: Header=BB6_2787 Depth=4
	v_and_b32_e32 v1, 0x7c, v0
	v_and_b32_e32 v7, 3, v0
	v_cmp_ne_u32_e32 vcc, s95, v1
                                        ; implicit-def: $vgpr1
	s_and_saveexec_b64 s[72:73], vcc
	s_xor_b64 s[72:73], exec, s[72:73]
	s_cbranch_execz .LBB6_3250
; %bb.3249:                             ;   in Loop: Header=BB6_2787 Depth=4
	v_ffbh_u32_e32 v9, v7
	v_min_u32_e32 v9, 32, v9
	v_mov_b32_e32 v1, v51
	v_subrev_u32_e32 v31, 29, v9
	v_bfe_u32 v8, v0, 2, 5
	v_lshlrev_b64 v[0:1], v31, v[0:1]
	v_sub_u32_e32 v1, 30, v9
	v_cmp_eq_u32_e32 vcc, 0, v8
	v_and_b32_e32 v0, 3, v0
	v_cndmask_b32_e32 v1, v8, v1, vcc
	v_bfrev_b32_e32 v8, 28
	v_cndmask_b32_e32 v0, v7, v0, vcc
	v_lshlrev_b32_e32 v7, 16, v10
	v_lshl_add_u32 v1, v1, 23, v8
	v_and_or_b32 v1, v7, s96, v1
	v_lshl_or_b32 v1, v0, 21, v1
                                        ; implicit-def: $vgpr7
.LBB6_3250:                             ;   in Loop: Header=BB6_2787 Depth=4
	s_andn2_saveexec_b64 s[72:73], s[72:73]
; %bb.3251:                             ;   in Loop: Header=BB6_2787 Depth=4
	v_cmp_lt_i16_e32 vcc, -1, v10
	v_mov_b32_e32 v0, 0xc7600000
	v_mov_b32_e32 v1, 0x47600000
	v_cndmask_b32_e32 v0, v0, v1, vcc
	v_cmp_eq_u32_e32 vcc, 0, v7
	v_mov_b32_e32 v1, 0x7f800001
	v_cndmask_b32_e32 v1, v1, v0, vcc
; %bb.3252:                             ;   in Loop: Header=BB6_2787 Depth=4
	s_or_b64 exec, exec, s[72:73]
.LBB6_3253:                             ;   in Loop: Header=BB6_2787 Depth=4
	s_or_b64 exec, exec, s[70:71]
.LBB6_3254:                             ;   in Loop: Header=BB6_2787 Depth=4
	s_or_b64 exec, exec, s[30:31]
	v_max_f32_e32 v0, v1, v1
	v_max_f32_e32 v1, v6, v6
	v_min_f32_e32 v1, v1, v0
.LBB6_3255:                             ;   in Loop: Header=BB6_2787 Depth=4
	v_and_b32_sdwa v6, v1, s97 dst_sel:DWORD dst_unused:UNUSED_PAD src0_sel:BYTE_3 src1_sel:DWORD
	v_and_b32_e32 v8, 0x7f800000, v1
	v_mov_b32_e32 v9, v51
	v_and_b32_e32 v50, 0x7fffff, v1
	v_or_b32_e32 v31, 0x7b, v6
	v_cmp_ne_u64_e32 vcc, s[52:53], v[8:9]
	s_and_saveexec_b64 s[30:31], vcc
	s_xor_b64 s[70:71], exec, s[30:31]
	s_cbranch_execz .LBB6_3265
; %bb.3256:                             ;   in Loop: Header=BB6_2787 Depth=4
	v_and_b32_e32 v8, 0x7fffffff, v1
	v_mov_b32_e32 v9, v51
	v_cmp_gt_u64_e32 vcc, s[54:55], v[8:9]
	s_and_saveexec_b64 s[72:73], vcc
	s_cbranch_execz .LBB6_3264
; %bb.3257:                             ;   in Loop: Header=BB6_2787 Depth=4
	v_cmp_ne_u32_e32 vcc, 0, v1
	v_mov_b32_e32 v31, 0
	s_and_saveexec_b64 s[74:75], vcc
	s_cbranch_execz .LBB6_3263
; %bb.3258:                             ;   in Loop: Header=BB6_2787 Depth=4
	v_bfe_u32 v0, v1, 23, 8
	v_cmp_eq_u32_e32 vcc, 0, v0
	v_add_u32_e32 v1, 0xffffff81, v0
	v_cmp_gt_u32_e64 s[30:31], s38, v0
	v_sub_u32_e32 v0, 0x71, v0
	v_mov_b32_e32 v8, 0xffffff82
	v_cndmask_b32_e64 v0, 0, v0, s[30:31]
	v_cndmask_b32_e32 v31, v1, v8, vcc
	v_mov_b32_e32 v1, 0x70
	v_cndmask_b32_e32 v32, v0, v1, vcc
	v_add_u32_e32 v0, 21, v32
	v_or_b32_e32 v7, 0x800000, v50
	v_lshlrev_b64 v[0:1], v0, -1
	v_cndmask_b32_e32 v50, v7, v50, vcc
	v_not_b32_e32 v1, v1
	v_not_b32_e32 v0, v0
	v_add_u32_e32 v7, 20, v32
	v_and_b32_e32 v1, 0, v1
	v_and_b32_e32 v0, v50, v0
	v_lshlrev_b64 v[8:9], v7, 1
	v_cmp_eq_u64_e32 vcc, v[0:1], v[8:9]
	v_lshrrev_b64 v[0:1], v32, v[50:51]
	v_lshrrev_b32_e32 v7, 23, v0
	v_add3_u32 v9, v32, v31, v7
	v_bfe_u32 v7, v0, 21, 1
	v_add_u32_e32 v7, -1, v7
	v_cndmask_b32_e32 v7, 0, v7, vcc
	v_add_u32_e32 v7, v7, v0
	v_and_b32_e32 v7, 0x1fffff, v7
	v_add_co_u32_e32 v0, vcc, v7, v0
	v_add_u32_e32 v8, 14, v9
	v_addc_co_u32_e32 v1, vcc, 0, v1, vcc
	v_cmp_ne_u32_e32 vcc, 0, v8
                                        ; implicit-def: $vgpr7
	s_and_saveexec_b64 s[30:31], vcc
	s_xor_b64 s[30:31], exec, s[30:31]
; %bb.3259:                             ;   in Loop: Header=BB6_2787 Depth=4
	v_add_u32_e32 v7, 15, v9
	v_cmp_lt_u64_e32 vcc, s[56:57], v[0:1]
	v_cndmask_b32_e32 v7, v8, v7, vcc
	v_cndmask_b32_e64 v8, 0, 1, vcc
	v_lshrrev_b64 v[0:1], v8, v[0:1]
; %bb.3260:                             ;   in Loop: Header=BB6_2787 Depth=4
	s_andn2_saveexec_b64 vcc, s[30:31]
; %bb.3261:                             ;   in Loop: Header=BB6_2787 Depth=4
	v_bfe_u32 v7, v0, 23, 1
; %bb.3262:                             ;   in Loop: Header=BB6_2787 Depth=4
	s_or_b64 exec, exec, vcc
	v_lshrrev_b64 v[0:1], 21, v[0:1]
	v_cmp_gt_i32_e32 vcc, 32, v7
	v_cndmask_b32_e32 v1, 0, v1, vcc
	v_cndmask_b32_e32 v0, 3, v0, vcc
	v_cmp_eq_u64_e64 s[30:31], 0, v[0:1]
	v_min_i32_e32 v1, 31, v7
	v_cmp_eq_u32_e32 vcc, 0, v7
	v_lshlrev_b32_e32 v1, 2, v1
	v_and_or_b32 v0, v0, 3, v1
	s_and_b64 vcc, vcc, s[30:31]
	v_cndmask_b32_e64 v0, v0, 0, vcc
	v_or_b32_e32 v31, v0, v6
.LBB6_3263:                             ;   in Loop: Header=BB6_2787 Depth=4
	s_or_b64 exec, exec, s[74:75]
.LBB6_3264:                             ;   in Loop: Header=BB6_2787 Depth=4
	s_or_b64 exec, exec, s[72:73]
                                        ; implicit-def: $vgpr1
.LBB6_3265:                             ;   in Loop: Header=BB6_2787 Depth=4
	s_andn2_saveexec_b64 s[30:31], s[70:71]
; %bb.3266:                             ;   in Loop: Header=BB6_2787 Depth=4
	v_or_b32_sdwa v0, v1, s39 dst_sel:DWORD dst_unused:UNUSED_PAD src0_sel:BYTE_3 src1_sel:DWORD
	v_cmp_eq_u64_e32 vcc, 0, v[50:51]
	v_cndmask_b32_e32 v31, v0, v31, vcc
; %bb.3267:                             ;   in Loop: Header=BB6_2787 Depth=4
	s_or_b64 exec, exec, s[30:31]
	v_lshrrev_b32_e32 v6, 16, v2
	v_lshrrev_b32_e32 v0, 16, v10
	v_cmp_ne_u16_sdwa s[30:31], v6, v51 src0_sel:BYTE_0 src1_sel:DWORD
	s_and_b64 vcc, exec, s[68:69]
	s_cbranch_vccz .LBB6_3285
; %bb.3268:                             ;   in Loop: Header=BB6_2787 Depth=4
	v_mov_b32_e32 v7, 0
	v_mov_b32_e32 v1, 0
	s_and_saveexec_b64 s[70:71], s[30:31]
	s_cbranch_execz .LBB6_3276
; %bb.3269:                             ;   in Loop: Header=BB6_2787 Depth=4
	v_cmp_ne_u16_sdwa vcc, v6, s97 src0_sel:BYTE_0 src1_sel:DWORD
	v_bfrev_b32_e32 v1, 1
	s_and_saveexec_b64 s[72:73], vcc
	s_cbranch_execz .LBB6_3275
; %bb.3270:                             ;   in Loop: Header=BB6_2787 Depth=4
	v_and_b32_e32 v1, 0x7c0000, v2
	v_bfe_u32 v8, v2, 16, 2
	v_cmp_ne_u32_e32 vcc, s36, v1
                                        ; implicit-def: $vgpr1
	s_and_saveexec_b64 s[74:75], vcc
	s_xor_b64 s[74:75], exec, s[74:75]
	s_cbranch_execz .LBB6_3272
; %bb.3271:                             ;   in Loop: Header=BB6_2787 Depth=4
	v_ffbh_u32_e32 v9, v8
	v_min_u32_e32 v9, 32, v9
	v_subrev_u32_e32 v32, 29, v9
	v_bfe_u32 v1, v2, 18, 5
	v_lshlrev_b64 v[32:33], v32, v[6:7]
	v_sub_u32_e32 v9, 30, v9
	v_and_b32_e32 v32, 3, v32
	v_cmp_eq_u32_e32 vcc, 0, v1
	v_cndmask_b32_e32 v1, v1, v9, vcc
	v_cndmask_b32_e32 v8, v8, v32, vcc
	v_bfrev_b32_e32 v32, 28
	v_lshlrev_b32_e32 v9, 24, v6
	v_lshl_add_u32 v1, v1, 23, v32
	v_and_or_b32 v1, v9, s96, v1
	v_lshl_or_b32 v1, v8, 21, v1
                                        ; implicit-def: $vgpr8
.LBB6_3272:                             ;   in Loop: Header=BB6_2787 Depth=4
	s_andn2_saveexec_b64 s[74:75], s[74:75]
; %bb.3273:                             ;   in Loop: Header=BB6_2787 Depth=4
	v_mov_b32_e32 v1, -1
	v_cmp_gt_i16_sdwa vcc, sext(v6), v1 src0_sel:BYTE_0 src1_sel:DWORD
	v_mov_b32_e32 v1, 0xc7600000
	v_mov_b32_e32 v9, 0x47600000
	v_cndmask_b32_e32 v1, v1, v9, vcc
	v_cmp_eq_u32_e32 vcc, 0, v8
	v_mov_b32_e32 v8, 0x7f800001
	v_cndmask_b32_e32 v1, v8, v1, vcc
; %bb.3274:                             ;   in Loop: Header=BB6_2787 Depth=4
	s_or_b64 exec, exec, s[74:75]
.LBB6_3275:                             ;   in Loop: Header=BB6_2787 Depth=4
	s_or_b64 exec, exec, s[72:73]
.LBB6_3276:                             ;   in Loop: Header=BB6_2787 Depth=4
	s_or_b64 exec, exec, s[70:71]
	v_cmp_ne_u16_sdwa vcc, v0, v51 src0_sel:BYTE_0 src1_sel:DWORD
	s_and_saveexec_b64 s[70:71], vcc
	s_cbranch_execz .LBB6_3284
; %bb.3277:                             ;   in Loop: Header=BB6_2787 Depth=4
	v_cmp_ne_u16_sdwa vcc, v0, s97 src0_sel:BYTE_0 src1_sel:DWORD
	v_bfrev_b32_e32 v7, 1
	s_and_saveexec_b64 s[72:73], vcc
	s_cbranch_execz .LBB6_3283
; %bb.3278:                             ;   in Loop: Header=BB6_2787 Depth=4
	v_and_b32_e32 v7, 0x7c0000, v10
	v_bfe_u32 v8, v10, 16, 2
	v_cmp_ne_u32_e32 vcc, s36, v7
                                        ; implicit-def: $vgpr7
	s_and_saveexec_b64 s[74:75], vcc
	s_xor_b64 s[74:75], exec, s[74:75]
	s_cbranch_execz .LBB6_3280
; %bb.3279:                             ;   in Loop: Header=BB6_2787 Depth=4
	v_ffbh_u32_e32 v9, v8
	v_min_u32_e32 v9, 32, v9
	v_subrev_u32_e32 v32, 29, v9
	v_bfe_u32 v7, v10, 18, 5
	v_lshlrev_b64 v[32:33], v32, v[0:1]
	v_sub_u32_e32 v9, 30, v9
	v_and_b32_e32 v32, 3, v32
	v_cmp_eq_u32_e32 vcc, 0, v7
	v_cndmask_b32_e32 v7, v7, v9, vcc
	v_cndmask_b32_e32 v8, v8, v32, vcc
	v_bfrev_b32_e32 v32, 28
	v_lshlrev_b32_e32 v9, 24, v0
	v_lshl_add_u32 v7, v7, 23, v32
	v_and_or_b32 v7, v9, s96, v7
	v_lshl_or_b32 v7, v8, 21, v7
                                        ; implicit-def: $vgpr8
.LBB6_3280:                             ;   in Loop: Header=BB6_2787 Depth=4
	s_andn2_saveexec_b64 s[74:75], s[74:75]
; %bb.3281:                             ;   in Loop: Header=BB6_2787 Depth=4
	v_mov_b32_e32 v7, -1
	v_cmp_gt_i16_sdwa vcc, sext(v0), v7 src0_sel:BYTE_0 src1_sel:DWORD
	v_mov_b32_e32 v7, 0xc7600000
	v_mov_b32_e32 v9, 0x47600000
	v_cndmask_b32_e32 v7, v7, v9, vcc
	v_cmp_eq_u32_e32 vcc, 0, v8
	v_mov_b32_e32 v8, 0x7f800001
	v_cndmask_b32_e32 v7, v8, v7, vcc
; %bb.3282:                             ;   in Loop: Header=BB6_2787 Depth=4
	s_or_b64 exec, exec, s[74:75]
.LBB6_3283:                             ;   in Loop: Header=BB6_2787 Depth=4
	s_or_b64 exec, exec, s[72:73]
.LBB6_3284:                             ;   in Loop: Header=BB6_2787 Depth=4
	s_or_b64 exec, exec, s[70:71]
	v_max_f32_e32 v7, v7, v7
	v_max_f32_e32 v1, v1, v1
	;; [unrolled: 1-line block ×3, first 2 shown]
	s_branch .LBB6_3303
.LBB6_3285:                             ;   in Loop: Header=BB6_2787 Depth=4
                                        ; implicit-def: $vgpr1
	s_cbranch_execz .LBB6_3303
; %bb.3286:                             ;   in Loop: Header=BB6_2787 Depth=4
	v_mov_b32_e32 v7, 0
	v_mov_b32_e32 v1, 0
	s_and_saveexec_b64 s[70:71], s[30:31]
	s_cbranch_execz .LBB6_3294
; %bb.3287:                             ;   in Loop: Header=BB6_2787 Depth=4
	v_cmp_ne_u16_sdwa vcc, v6, s97 src0_sel:BYTE_0 src1_sel:DWORD
	v_bfrev_b32_e32 v1, 1
	s_and_saveexec_b64 s[30:31], vcc
	s_cbranch_execz .LBB6_3293
; %bb.3288:                             ;   in Loop: Header=BB6_2787 Depth=4
	v_and_b32_e32 v1, 0x7c0000, v2
	v_bfe_u32 v8, v2, 16, 2
	v_cmp_ne_u32_e32 vcc, s36, v1
                                        ; implicit-def: $vgpr1
	s_and_saveexec_b64 s[72:73], vcc
	s_xor_b64 s[72:73], exec, s[72:73]
	s_cbranch_execz .LBB6_3290
; %bb.3289:                             ;   in Loop: Header=BB6_2787 Depth=4
	v_ffbh_u32_e32 v9, v8
	v_bfe_u32 v1, v2, 18, 5
	v_min_u32_e32 v9, 32, v9
	v_subrev_u32_e32 v32, 29, v9
	v_sub_u32_e32 v9, 30, v9
	v_cmp_eq_u32_e32 vcc, 0, v1
	v_lshlrev_b64 v[32:33], v32, v[6:7]
	v_cndmask_b32_e32 v1, v1, v9, vcc
	v_bfrev_b32_e32 v9, 28
	v_and_b32_e32 v32, 3, v32
	v_lshlrev_b32_e32 v6, 24, v6
	v_lshl_add_u32 v1, v1, 23, v9
	v_cndmask_b32_e32 v8, v8, v32, vcc
	v_and_or_b32 v1, v6, s96, v1
	v_lshl_or_b32 v1, v8, 21, v1
                                        ; implicit-def: $vgpr8
                                        ; implicit-def: $vgpr6
.LBB6_3290:                             ;   in Loop: Header=BB6_2787 Depth=4
	s_andn2_saveexec_b64 s[72:73], s[72:73]
; %bb.3291:                             ;   in Loop: Header=BB6_2787 Depth=4
	v_mov_b32_e32 v1, -1
	v_cmp_gt_i16_sdwa vcc, sext(v6), v1 src0_sel:BYTE_0 src1_sel:DWORD
	v_mov_b32_e32 v1, 0xc7600000
	v_mov_b32_e32 v6, 0x47600000
	v_cndmask_b32_e32 v1, v1, v6, vcc
	v_cmp_eq_u32_e32 vcc, 0, v8
	v_mov_b32_e32 v6, 0x7f800001
	v_cndmask_b32_e32 v1, v6, v1, vcc
; %bb.3292:                             ;   in Loop: Header=BB6_2787 Depth=4
	s_or_b64 exec, exec, s[72:73]
.LBB6_3293:                             ;   in Loop: Header=BB6_2787 Depth=4
	s_or_b64 exec, exec, s[30:31]
.LBB6_3294:                             ;   in Loop: Header=BB6_2787 Depth=4
	s_or_b64 exec, exec, s[70:71]
	v_cmp_ne_u16_sdwa vcc, v0, v51 src0_sel:BYTE_0 src1_sel:DWORD
	s_and_saveexec_b64 s[30:31], vcc
	s_cbranch_execz .LBB6_3302
; %bb.3295:                             ;   in Loop: Header=BB6_2787 Depth=4
	v_cmp_ne_u16_sdwa vcc, v0, s97 src0_sel:BYTE_0 src1_sel:DWORD
	v_bfrev_b32_e32 v7, 1
	s_and_saveexec_b64 s[70:71], vcc
	s_cbranch_execz .LBB6_3301
; %bb.3296:                             ;   in Loop: Header=BB6_2787 Depth=4
	v_and_b32_e32 v7, 0x7c0000, v10
	v_bfe_u32 v6, v10, 16, 2
	v_cmp_ne_u32_e32 vcc, s36, v7
                                        ; implicit-def: $vgpr7
	s_and_saveexec_b64 s[72:73], vcc
	s_xor_b64 s[72:73], exec, s[72:73]
	s_cbranch_execz .LBB6_3298
; %bb.3297:                             ;   in Loop: Header=BB6_2787 Depth=4
	v_ffbh_u32_e32 v8, v6
	v_min_u32_e32 v32, 32, v8
	v_subrev_u32_e32 v8, 29, v32
	v_bfe_u32 v7, v10, 18, 5
	v_lshlrev_b64 v[8:9], v8, v[0:1]
	v_sub_u32_e32 v9, 30, v32
	v_and_b32_e32 v8, 3, v8
	v_cmp_eq_u32_e32 vcc, 0, v7
	v_cndmask_b32_e32 v7, v7, v9, vcc
	v_cndmask_b32_e32 v6, v6, v8, vcc
	v_bfrev_b32_e32 v8, 28
	v_lshlrev_b32_e32 v0, 24, v0
	v_lshl_add_u32 v7, v7, 23, v8
	v_and_or_b32 v0, v0, s96, v7
	v_lshl_or_b32 v7, v6, 21, v0
                                        ; implicit-def: $vgpr6
                                        ; implicit-def: $vgpr0
.LBB6_3298:                             ;   in Loop: Header=BB6_2787 Depth=4
	s_andn2_saveexec_b64 s[72:73], s[72:73]
; %bb.3299:                             ;   in Loop: Header=BB6_2787 Depth=4
	v_mov_b32_e32 v7, -1
	v_cmp_gt_i16_sdwa vcc, sext(v0), v7 src0_sel:BYTE_0 src1_sel:DWORD
	v_mov_b32_e32 v0, 0xc7600000
	v_mov_b32_e32 v7, 0x47600000
	v_cndmask_b32_e32 v0, v0, v7, vcc
	v_cmp_eq_u32_e32 vcc, 0, v6
	v_mov_b32_e32 v6, 0x7f800001
	v_cndmask_b32_e32 v7, v6, v0, vcc
; %bb.3300:                             ;   in Loop: Header=BB6_2787 Depth=4
	s_or_b64 exec, exec, s[72:73]
.LBB6_3301:                             ;   in Loop: Header=BB6_2787 Depth=4
	s_or_b64 exec, exec, s[70:71]
.LBB6_3302:                             ;   in Loop: Header=BB6_2787 Depth=4
	s_or_b64 exec, exec, s[30:31]
	v_max_f32_e32 v0, v7, v7
	v_max_f32_e32 v1, v1, v1
	v_min_f32_e32 v1, v1, v0
.LBB6_3303:                             ;   in Loop: Header=BB6_2787 Depth=4
	v_and_b32_sdwa v6, v1, s97 dst_sel:DWORD dst_unused:UNUSED_PAD src0_sel:BYTE_3 src1_sel:DWORD
	v_and_b32_e32 v8, 0x7f800000, v1
	v_mov_b32_e32 v9, v51
	v_and_b32_e32 v50, 0x7fffff, v1
	v_or_b32_e32 v32, 0x7b, v6
	v_cmp_ne_u64_e32 vcc, s[52:53], v[8:9]
	s_and_saveexec_b64 s[30:31], vcc
	s_xor_b64 s[70:71], exec, s[30:31]
	s_cbranch_execz .LBB6_3313
; %bb.3304:                             ;   in Loop: Header=BB6_2787 Depth=4
	v_and_b32_e32 v8, 0x7fffffff, v1
	v_mov_b32_e32 v9, v51
	v_cmp_gt_u64_e32 vcc, s[54:55], v[8:9]
	s_and_saveexec_b64 s[72:73], vcc
	s_cbranch_execz .LBB6_3312
; %bb.3305:                             ;   in Loop: Header=BB6_2787 Depth=4
	v_cmp_ne_u32_e32 vcc, 0, v1
	v_mov_b32_e32 v32, 0
	s_and_saveexec_b64 s[74:75], vcc
	s_cbranch_execz .LBB6_3311
; %bb.3306:                             ;   in Loop: Header=BB6_2787 Depth=4
	v_bfe_u32 v0, v1, 23, 8
	v_cmp_eq_u32_e32 vcc, 0, v0
	v_add_u32_e32 v1, 0xffffff81, v0
	v_cmp_gt_u32_e64 s[30:31], s38, v0
	v_sub_u32_e32 v0, 0x71, v0
	v_mov_b32_e32 v8, 0xffffff82
	v_cndmask_b32_e64 v0, 0, v0, s[30:31]
	v_cndmask_b32_e32 v32, v1, v8, vcc
	v_mov_b32_e32 v1, 0x70
	v_cndmask_b32_e32 v33, v0, v1, vcc
	v_add_u32_e32 v0, 21, v33
	v_or_b32_e32 v7, 0x800000, v50
	v_lshlrev_b64 v[0:1], v0, -1
	v_cndmask_b32_e32 v50, v7, v50, vcc
	v_not_b32_e32 v1, v1
	v_not_b32_e32 v0, v0
	v_add_u32_e32 v7, 20, v33
	v_and_b32_e32 v1, 0, v1
	v_and_b32_e32 v0, v50, v0
	v_lshlrev_b64 v[8:9], v7, 1
	v_cmp_eq_u64_e32 vcc, v[0:1], v[8:9]
	v_lshrrev_b64 v[0:1], v33, v[50:51]
	v_lshrrev_b32_e32 v7, 23, v0
	v_add3_u32 v9, v33, v32, v7
	v_bfe_u32 v7, v0, 21, 1
	v_add_u32_e32 v7, -1, v7
	v_cndmask_b32_e32 v7, 0, v7, vcc
	v_add_u32_e32 v7, v7, v0
	v_and_b32_e32 v7, 0x1fffff, v7
	v_add_co_u32_e32 v0, vcc, v7, v0
	v_add_u32_e32 v8, 14, v9
	v_addc_co_u32_e32 v1, vcc, 0, v1, vcc
	v_cmp_ne_u32_e32 vcc, 0, v8
                                        ; implicit-def: $vgpr7
	s_and_saveexec_b64 s[30:31], vcc
	s_xor_b64 s[30:31], exec, s[30:31]
; %bb.3307:                             ;   in Loop: Header=BB6_2787 Depth=4
	v_add_u32_e32 v7, 15, v9
	v_cmp_lt_u64_e32 vcc, s[56:57], v[0:1]
	v_cndmask_b32_e32 v7, v8, v7, vcc
	v_cndmask_b32_e64 v8, 0, 1, vcc
	v_lshrrev_b64 v[0:1], v8, v[0:1]
; %bb.3308:                             ;   in Loop: Header=BB6_2787 Depth=4
	s_andn2_saveexec_b64 vcc, s[30:31]
; %bb.3309:                             ;   in Loop: Header=BB6_2787 Depth=4
	v_bfe_u32 v7, v0, 23, 1
; %bb.3310:                             ;   in Loop: Header=BB6_2787 Depth=4
	s_or_b64 exec, exec, vcc
	v_lshrrev_b64 v[0:1], 21, v[0:1]
	v_cmp_gt_i32_e32 vcc, 32, v7
	v_cndmask_b32_e32 v1, 0, v1, vcc
	v_cndmask_b32_e32 v0, 3, v0, vcc
	v_cmp_eq_u64_e64 s[30:31], 0, v[0:1]
	v_min_i32_e32 v1, 31, v7
	v_cmp_eq_u32_e32 vcc, 0, v7
	v_lshlrev_b32_e32 v1, 2, v1
	v_and_or_b32 v0, v0, 3, v1
	s_and_b64 vcc, vcc, s[30:31]
	v_cndmask_b32_e64 v0, v0, 0, vcc
	v_or_b32_e32 v32, v0, v6
.LBB6_3311:                             ;   in Loop: Header=BB6_2787 Depth=4
	s_or_b64 exec, exec, s[74:75]
.LBB6_3312:                             ;   in Loop: Header=BB6_2787 Depth=4
	s_or_b64 exec, exec, s[72:73]
                                        ; implicit-def: $vgpr1
.LBB6_3313:                             ;   in Loop: Header=BB6_2787 Depth=4
	s_andn2_saveexec_b64 s[30:31], s[70:71]
; %bb.3314:                             ;   in Loop: Header=BB6_2787 Depth=4
	v_or_b32_sdwa v0, v1, s39 dst_sel:DWORD dst_unused:UNUSED_PAD src0_sel:BYTE_3 src1_sel:DWORD
	v_cmp_eq_u64_e32 vcc, 0, v[50:51]
	v_cndmask_b32_e32 v32, v0, v32, vcc
; %bb.3315:                             ;   in Loop: Header=BB6_2787 Depth=4
	s_or_b64 exec, exec, s[30:31]
	v_lshrrev_b32_e32 v6, 24, v2
	v_lshrrev_b32_e32 v0, 24, v10
	v_cmp_lt_u32_e64 s[30:31], s43, v2
	s_and_b64 vcc, exec, s[68:69]
	s_cbranch_vccz .LBB6_3333
; %bb.3316:                             ;   in Loop: Header=BB6_2787 Depth=4
	v_mov_b32_e32 v7, 0
	v_mov_b32_e32 v1, 0
	s_and_saveexec_b64 s[70:71], s[30:31]
	s_cbranch_execz .LBB6_3324
; %bb.3317:                             ;   in Loop: Header=BB6_2787 Depth=4
	v_cmp_ne_u32_e32 vcc, s97, v6
	v_bfrev_b32_e32 v1, 1
	s_and_saveexec_b64 s[72:73], vcc
	s_cbranch_execz .LBB6_3323
; %bb.3318:                             ;   in Loop: Header=BB6_2787 Depth=4
	v_and_b32_e32 v1, 0x7c000000, v2
	v_bfe_u32 v8, v2, 24, 2
	v_cmp_ne_u32_e32 vcc, s37, v1
                                        ; implicit-def: $vgpr1
	s_and_saveexec_b64 s[74:75], vcc
	s_xor_b64 s[74:75], exec, s[74:75]
	s_cbranch_execz .LBB6_3320
; %bb.3319:                             ;   in Loop: Header=BB6_2787 Depth=4
	v_ffbh_u32_e32 v9, v8
	v_bfe_u32 v1, v2, 26, 5
	v_min_u32_e32 v9, 32, v9
	v_subrev_u32_e32 v33, 29, v9
	v_sub_u32_e32 v9, 30, v9
	v_cmp_eq_u32_e32 vcc, 0, v1
	v_lshlrev_b64 v[34:35], v33, v[6:7]
	v_cndmask_b32_e32 v1, v1, v9, vcc
	v_bfrev_b32_e32 v9, 28
	v_and_b32_e32 v33, 3, v34
	v_lshl_add_u32 v1, v1, 23, v9
	v_cndmask_b32_e32 v8, v8, v33, vcc
	v_and_or_b32 v1, v2, s96, v1
	v_lshl_or_b32 v1, v8, 21, v1
                                        ; implicit-def: $vgpr8
.LBB6_3320:                             ;   in Loop: Header=BB6_2787 Depth=4
	s_andn2_saveexec_b64 s[74:75], s[74:75]
; %bb.3321:                             ;   in Loop: Header=BB6_2787 Depth=4
	v_cmp_lt_i32_e32 vcc, -1, v2
	v_mov_b32_e32 v1, 0xc7600000
	v_mov_b32_e32 v9, 0x47600000
	v_cndmask_b32_e32 v1, v1, v9, vcc
	v_cmp_eq_u32_e32 vcc, 0, v8
	v_mov_b32_e32 v8, 0x7f800001
	v_cndmask_b32_e32 v1, v8, v1, vcc
; %bb.3322:                             ;   in Loop: Header=BB6_2787 Depth=4
	s_or_b64 exec, exec, s[74:75]
.LBB6_3323:                             ;   in Loop: Header=BB6_2787 Depth=4
	s_or_b64 exec, exec, s[72:73]
.LBB6_3324:                             ;   in Loop: Header=BB6_2787 Depth=4
	s_or_b64 exec, exec, s[70:71]
	v_cmp_lt_u32_e32 vcc, s43, v10
	s_and_saveexec_b64 s[70:71], vcc
	s_cbranch_execz .LBB6_3332
; %bb.3325:                             ;   in Loop: Header=BB6_2787 Depth=4
	v_cmp_ne_u32_e32 vcc, s97, v0
	v_bfrev_b32_e32 v7, 1
	s_and_saveexec_b64 s[72:73], vcc
	s_cbranch_execz .LBB6_3331
; %bb.3326:                             ;   in Loop: Header=BB6_2787 Depth=4
	v_and_b32_e32 v7, 0x7c000000, v10
	v_bfe_u32 v8, v10, 24, 2
	v_cmp_ne_u32_e32 vcc, s37, v7
                                        ; implicit-def: $vgpr7
	s_and_saveexec_b64 s[74:75], vcc
	s_xor_b64 s[74:75], exec, s[74:75]
	s_cbranch_execz .LBB6_3328
; %bb.3327:                             ;   in Loop: Header=BB6_2787 Depth=4
	v_ffbh_u32_e32 v9, v8
	v_bfe_u32 v7, v10, 26, 5
	v_min_u32_e32 v9, 32, v9
	v_subrev_u32_e32 v33, 29, v9
	v_sub_u32_e32 v9, 30, v9
	v_cmp_eq_u32_e32 vcc, 0, v7
	v_lshlrev_b64 v[34:35], v33, v[0:1]
	v_cndmask_b32_e32 v7, v7, v9, vcc
	v_bfrev_b32_e32 v9, 28
	v_and_b32_e32 v33, 3, v34
	v_lshl_add_u32 v7, v7, 23, v9
	v_cndmask_b32_e32 v8, v8, v33, vcc
	v_and_or_b32 v7, v10, s96, v7
	v_lshl_or_b32 v7, v8, 21, v7
                                        ; implicit-def: $vgpr8
.LBB6_3328:                             ;   in Loop: Header=BB6_2787 Depth=4
	s_andn2_saveexec_b64 s[74:75], s[74:75]
; %bb.3329:                             ;   in Loop: Header=BB6_2787 Depth=4
	v_cmp_lt_i32_e32 vcc, -1, v10
	v_mov_b32_e32 v7, 0xc7600000
	v_mov_b32_e32 v9, 0x47600000
	v_cndmask_b32_e32 v7, v7, v9, vcc
	v_cmp_eq_u32_e32 vcc, 0, v8
	v_mov_b32_e32 v8, 0x7f800001
	v_cndmask_b32_e32 v7, v8, v7, vcc
; %bb.3330:                             ;   in Loop: Header=BB6_2787 Depth=4
	s_or_b64 exec, exec, s[74:75]
.LBB6_3331:                             ;   in Loop: Header=BB6_2787 Depth=4
	s_or_b64 exec, exec, s[72:73]
.LBB6_3332:                             ;   in Loop: Header=BB6_2787 Depth=4
	s_or_b64 exec, exec, s[70:71]
	v_max_f32_e32 v7, v7, v7
	v_max_f32_e32 v1, v1, v1
	;; [unrolled: 1-line block ×3, first 2 shown]
	s_branch .LBB6_3351
.LBB6_3333:                             ;   in Loop: Header=BB6_2787 Depth=4
                                        ; implicit-def: $vgpr1
	s_cbranch_execz .LBB6_3351
; %bb.3334:                             ;   in Loop: Header=BB6_2787 Depth=4
	v_mov_b32_e32 v7, 0
	v_mov_b32_e32 v1, 0
	s_and_saveexec_b64 s[70:71], s[30:31]
	s_cbranch_execz .LBB6_3342
; %bb.3335:                             ;   in Loop: Header=BB6_2787 Depth=4
	v_cmp_ne_u32_e32 vcc, s97, v6
	v_bfrev_b32_e32 v1, 1
	s_and_saveexec_b64 s[30:31], vcc
	s_cbranch_execz .LBB6_3341
; %bb.3336:                             ;   in Loop: Header=BB6_2787 Depth=4
	v_and_b32_e32 v1, 0x7c000000, v2
	v_bfe_u32 v8, v2, 24, 2
	v_cmp_ne_u32_e32 vcc, s37, v1
                                        ; implicit-def: $vgpr1
	s_and_saveexec_b64 s[72:73], vcc
	s_xor_b64 s[72:73], exec, s[72:73]
	s_cbranch_execz .LBB6_3338
; %bb.3337:                             ;   in Loop: Header=BB6_2787 Depth=4
	v_ffbh_u32_e32 v9, v8
	v_min_u32_e32 v9, 32, v9
	v_subrev_u32_e32 v33, 29, v9
	v_bfe_u32 v1, v2, 26, 5
	v_lshlrev_b64 v[34:35], v33, v[6:7]
	v_sub_u32_e32 v6, 30, v9
	v_and_b32_e32 v9, 3, v34
	v_cmp_eq_u32_e32 vcc, 0, v1
	v_cndmask_b32_e32 v1, v1, v6, vcc
	v_cndmask_b32_e32 v6, v8, v9, vcc
	v_bfrev_b32_e32 v8, 28
	v_lshl_add_u32 v1, v1, 23, v8
	v_and_or_b32 v1, v2, s96, v1
	v_lshl_or_b32 v1, v6, 21, v1
                                        ; implicit-def: $vgpr8
.LBB6_3338:                             ;   in Loop: Header=BB6_2787 Depth=4
	s_andn2_saveexec_b64 s[72:73], s[72:73]
; %bb.3339:                             ;   in Loop: Header=BB6_2787 Depth=4
	v_cmp_lt_i32_e32 vcc, -1, v2
	v_mov_b32_e32 v1, 0xc7600000
	v_mov_b32_e32 v6, 0x47600000
	v_cndmask_b32_e32 v1, v1, v6, vcc
	v_cmp_eq_u32_e32 vcc, 0, v8
	v_mov_b32_e32 v6, 0x7f800001
	v_cndmask_b32_e32 v1, v6, v1, vcc
; %bb.3340:                             ;   in Loop: Header=BB6_2787 Depth=4
	s_or_b64 exec, exec, s[72:73]
.LBB6_3341:                             ;   in Loop: Header=BB6_2787 Depth=4
	s_or_b64 exec, exec, s[30:31]
.LBB6_3342:                             ;   in Loop: Header=BB6_2787 Depth=4
	s_or_b64 exec, exec, s[70:71]
	v_cmp_lt_u32_e32 vcc, s43, v10
	s_and_saveexec_b64 s[30:31], vcc
	s_cbranch_execz .LBB6_3350
; %bb.3343:                             ;   in Loop: Header=BB6_2787 Depth=4
	v_cmp_ne_u32_e32 vcc, s97, v0
	v_bfrev_b32_e32 v7, 1
	s_and_saveexec_b64 s[70:71], vcc
	s_cbranch_execz .LBB6_3349
; %bb.3344:                             ;   in Loop: Header=BB6_2787 Depth=4
	v_and_b32_e32 v7, 0x7c000000, v10
	v_bfe_u32 v6, v10, 24, 2
	v_cmp_ne_u32_e32 vcc, s37, v7
                                        ; implicit-def: $vgpr7
	s_and_saveexec_b64 s[72:73], vcc
	s_xor_b64 s[72:73], exec, s[72:73]
	s_cbranch_execz .LBB6_3346
; %bb.3345:                             ;   in Loop: Header=BB6_2787 Depth=4
	v_ffbh_u32_e32 v8, v6
	v_min_u32_e32 v33, 32, v8
	v_bfe_u32 v7, v10, 26, 5
	v_subrev_u32_e32 v8, 29, v33
	v_lshlrev_b64 v[8:9], v8, v[0:1]
	v_sub_u32_e32 v0, 30, v33
	v_cmp_eq_u32_e32 vcc, 0, v7
	v_cndmask_b32_e32 v0, v7, v0, vcc
	v_bfrev_b32_e32 v7, 28
	v_and_b32_e32 v8, 3, v8
	v_lshl_add_u32 v0, v0, 23, v7
	v_cndmask_b32_e32 v6, v6, v8, vcc
	v_and_or_b32 v0, v10, s96, v0
	v_lshl_or_b32 v7, v6, 21, v0
                                        ; implicit-def: $vgpr6
.LBB6_3346:                             ;   in Loop: Header=BB6_2787 Depth=4
	s_andn2_saveexec_b64 s[72:73], s[72:73]
; %bb.3347:                             ;   in Loop: Header=BB6_2787 Depth=4
	v_cmp_lt_i32_e32 vcc, -1, v10
	v_mov_b32_e32 v0, 0xc7600000
	v_mov_b32_e32 v7, 0x47600000
	v_cndmask_b32_e32 v0, v0, v7, vcc
	v_cmp_eq_u32_e32 vcc, 0, v6
	v_mov_b32_e32 v6, 0x7f800001
	v_cndmask_b32_e32 v7, v6, v0, vcc
; %bb.3348:                             ;   in Loop: Header=BB6_2787 Depth=4
	s_or_b64 exec, exec, s[72:73]
.LBB6_3349:                             ;   in Loop: Header=BB6_2787 Depth=4
	s_or_b64 exec, exec, s[70:71]
.LBB6_3350:                             ;   in Loop: Header=BB6_2787 Depth=4
	s_or_b64 exec, exec, s[30:31]
	v_max_f32_e32 v0, v7, v7
	v_max_f32_e32 v1, v1, v1
	v_min_f32_e32 v1, v1, v0
.LBB6_3351:                             ;   in Loop: Header=BB6_2787 Depth=4
	v_and_b32_sdwa v6, v1, s97 dst_sel:DWORD dst_unused:UNUSED_PAD src0_sel:BYTE_3 src1_sel:DWORD
	v_and_b32_e32 v8, 0x7f800000, v1
	v_mov_b32_e32 v9, v51
	v_and_b32_e32 v50, 0x7fffff, v1
	v_or_b32_e32 v33, 0x7b, v6
	v_cmp_ne_u64_e32 vcc, s[52:53], v[8:9]
	s_and_saveexec_b64 s[30:31], vcc
	s_xor_b64 s[70:71], exec, s[30:31]
	s_cbranch_execz .LBB6_3361
; %bb.3352:                             ;   in Loop: Header=BB6_2787 Depth=4
	v_and_b32_e32 v8, 0x7fffffff, v1
	v_mov_b32_e32 v9, v51
	v_cmp_gt_u64_e32 vcc, s[54:55], v[8:9]
	s_and_saveexec_b64 s[72:73], vcc
	s_cbranch_execz .LBB6_3360
; %bb.3353:                             ;   in Loop: Header=BB6_2787 Depth=4
	v_cmp_ne_u32_e32 vcc, 0, v1
	v_mov_b32_e32 v33, 0
	s_and_saveexec_b64 s[74:75], vcc
	s_cbranch_execz .LBB6_3359
; %bb.3354:                             ;   in Loop: Header=BB6_2787 Depth=4
	v_bfe_u32 v0, v1, 23, 8
	v_cmp_eq_u32_e32 vcc, 0, v0
	v_add_u32_e32 v1, 0xffffff81, v0
	v_cmp_gt_u32_e64 s[30:31], s38, v0
	v_sub_u32_e32 v0, 0x71, v0
	v_mov_b32_e32 v8, 0xffffff82
	v_cndmask_b32_e64 v0, 0, v0, s[30:31]
	v_cndmask_b32_e32 v33, v1, v8, vcc
	v_mov_b32_e32 v1, 0x70
	v_cndmask_b32_e32 v34, v0, v1, vcc
	v_add_u32_e32 v0, 21, v34
	v_or_b32_e32 v7, 0x800000, v50
	v_lshlrev_b64 v[0:1], v0, -1
	v_cndmask_b32_e32 v50, v7, v50, vcc
	v_not_b32_e32 v1, v1
	v_not_b32_e32 v0, v0
	v_add_u32_e32 v7, 20, v34
	v_and_b32_e32 v1, 0, v1
	v_and_b32_e32 v0, v50, v0
	v_lshlrev_b64 v[8:9], v7, 1
	v_cmp_eq_u64_e32 vcc, v[0:1], v[8:9]
	v_lshrrev_b64 v[0:1], v34, v[50:51]
	v_lshrrev_b32_e32 v7, 23, v0
	v_add3_u32 v9, v34, v33, v7
	v_bfe_u32 v7, v0, 21, 1
	v_add_u32_e32 v7, -1, v7
	v_cndmask_b32_e32 v7, 0, v7, vcc
	v_add_u32_e32 v7, v7, v0
	v_and_b32_e32 v7, 0x1fffff, v7
	v_add_co_u32_e32 v0, vcc, v7, v0
	v_add_u32_e32 v8, 14, v9
	v_addc_co_u32_e32 v1, vcc, 0, v1, vcc
	v_cmp_ne_u32_e32 vcc, 0, v8
                                        ; implicit-def: $vgpr7
	s_and_saveexec_b64 s[30:31], vcc
	s_xor_b64 s[30:31], exec, s[30:31]
; %bb.3355:                             ;   in Loop: Header=BB6_2787 Depth=4
	v_add_u32_e32 v7, 15, v9
	v_cmp_lt_u64_e32 vcc, s[56:57], v[0:1]
	v_cndmask_b32_e32 v7, v8, v7, vcc
	v_cndmask_b32_e64 v8, 0, 1, vcc
	v_lshrrev_b64 v[0:1], v8, v[0:1]
; %bb.3356:                             ;   in Loop: Header=BB6_2787 Depth=4
	s_andn2_saveexec_b64 vcc, s[30:31]
; %bb.3357:                             ;   in Loop: Header=BB6_2787 Depth=4
	v_bfe_u32 v7, v0, 23, 1
; %bb.3358:                             ;   in Loop: Header=BB6_2787 Depth=4
	s_or_b64 exec, exec, vcc
	v_lshrrev_b64 v[0:1], 21, v[0:1]
	v_cmp_gt_i32_e32 vcc, 32, v7
	v_cndmask_b32_e32 v1, 0, v1, vcc
	v_cndmask_b32_e32 v0, 3, v0, vcc
	v_cmp_eq_u64_e64 s[30:31], 0, v[0:1]
	v_min_i32_e32 v1, 31, v7
	v_cmp_eq_u32_e32 vcc, 0, v7
	v_lshlrev_b32_e32 v1, 2, v1
	v_and_or_b32 v0, v0, 3, v1
	s_and_b64 vcc, vcc, s[30:31]
	v_cndmask_b32_e64 v0, v0, 0, vcc
	v_or_b32_e32 v33, v0, v6
.LBB6_3359:                             ;   in Loop: Header=BB6_2787 Depth=4
	s_or_b64 exec, exec, s[74:75]
.LBB6_3360:                             ;   in Loop: Header=BB6_2787 Depth=4
	s_or_b64 exec, exec, s[72:73]
                                        ; implicit-def: $vgpr1
.LBB6_3361:                             ;   in Loop: Header=BB6_2787 Depth=4
	s_andn2_saveexec_b64 s[30:31], s[70:71]
; %bb.3362:                             ;   in Loop: Header=BB6_2787 Depth=4
	v_or_b32_sdwa v0, v1, s39 dst_sel:DWORD dst_unused:UNUSED_PAD src0_sel:BYTE_3 src1_sel:DWORD
	v_cmp_eq_u64_e32 vcc, 0, v[50:51]
	v_cndmask_b32_e32 v33, v0, v33, vcc
; %bb.3363:                             ;   in Loop: Header=BB6_2787 Depth=4
	s_or_b64 exec, exec, s[30:31]
	v_mov_b32_e32 v50, v3
	v_mov_b32_e32 v0, v11
	;; [unrolled: 1-line block ×3, first 2 shown]
	v_cmp_ne_u16_sdwa s[30:31], v3, v51 src0_sel:BYTE_0 src1_sel:DWORD
	s_and_b64 vcc, exec, s[68:69]
	s_cbranch_vccz .LBB6_3381
; %bb.3364:                             ;   in Loop: Header=BB6_2787 Depth=4
	v_mov_b32_e32 v7, 0
	v_mov_b32_e32 v6, 0
	s_and_saveexec_b64 s[70:71], s[30:31]
	s_cbranch_execz .LBB6_3372
; %bb.3365:                             ;   in Loop: Header=BB6_2787 Depth=4
	v_cmp_ne_u16_sdwa vcc, v3, s97 src0_sel:BYTE_0 src1_sel:DWORD
	v_bfrev_b32_e32 v6, 1
	s_and_saveexec_b64 s[72:73], vcc
	s_cbranch_execz .LBB6_3371
; %bb.3366:                             ;   in Loop: Header=BB6_2787 Depth=4
	v_and_b32_e32 v6, 0x7c, v3
	v_and_b32_e32 v8, 3, v3
	v_cmp_ne_u32_e32 vcc, s95, v6
                                        ; implicit-def: $vgpr6
	s_and_saveexec_b64 s[74:75], vcc
	s_xor_b64 s[74:75], exec, s[74:75]
	s_cbranch_execz .LBB6_3368
; %bb.3367:                             ;   in Loop: Header=BB6_2787 Depth=4
	v_ffbh_u32_e32 v9, v8
	v_min_u32_e32 v9, 32, v9
	v_subrev_u32_e32 v34, 29, v9
	v_bfe_u32 v6, v3, 2, 5
	v_lshlrev_b64 v[34:35], v34, v[50:51]
	v_sub_u32_e32 v9, 30, v9
	v_and_b32_e32 v34, 3, v34
	v_cmp_eq_u32_e32 vcc, 0, v6
	v_cndmask_b32_e32 v6, v6, v9, vcc
	v_cndmask_b32_e32 v8, v8, v34, vcc
	v_bfrev_b32_e32 v34, 28
	v_lshlrev_b32_e32 v9, 24, v3
	v_lshl_add_u32 v6, v6, 23, v34
	v_and_or_b32 v6, v9, s96, v6
	v_lshl_or_b32 v6, v8, 21, v6
                                        ; implicit-def: $vgpr8
.LBB6_3368:                             ;   in Loop: Header=BB6_2787 Depth=4
	s_andn2_saveexec_b64 s[74:75], s[74:75]
; %bb.3369:                             ;   in Loop: Header=BB6_2787 Depth=4
	v_mov_b32_e32 v6, -1
	v_cmp_gt_i16_sdwa vcc, sext(v3), v6 src0_sel:BYTE_0 src1_sel:DWORD
	v_mov_b32_e32 v6, 0xc7600000
	v_mov_b32_e32 v9, 0x47600000
	v_cndmask_b32_e32 v6, v6, v9, vcc
	v_cmp_eq_u32_e32 vcc, 0, v8
	v_mov_b32_e32 v8, 0x7f800001
	v_cndmask_b32_e32 v6, v8, v6, vcc
; %bb.3370:                             ;   in Loop: Header=BB6_2787 Depth=4
	s_or_b64 exec, exec, s[74:75]
.LBB6_3371:                             ;   in Loop: Header=BB6_2787 Depth=4
	s_or_b64 exec, exec, s[72:73]
.LBB6_3372:                             ;   in Loop: Header=BB6_2787 Depth=4
	s_or_b64 exec, exec, s[70:71]
	v_cmp_ne_u16_sdwa vcc, v11, v51 src0_sel:BYTE_0 src1_sel:DWORD
	s_and_saveexec_b64 s[70:71], vcc
	s_cbranch_execz .LBB6_3380
; %bb.3373:                             ;   in Loop: Header=BB6_2787 Depth=4
	v_cmp_ne_u16_sdwa vcc, v11, s97 src0_sel:BYTE_0 src1_sel:DWORD
	v_bfrev_b32_e32 v7, 1
	s_and_saveexec_b64 s[72:73], vcc
	s_cbranch_execz .LBB6_3379
; %bb.3374:                             ;   in Loop: Header=BB6_2787 Depth=4
	v_and_b32_e32 v7, 0x7c, v11
	v_and_b32_e32 v8, 3, v11
	v_cmp_ne_u32_e32 vcc, s95, v7
                                        ; implicit-def: $vgpr7
	s_and_saveexec_b64 s[74:75], vcc
	s_xor_b64 s[74:75], exec, s[74:75]
	s_cbranch_execz .LBB6_3376
; %bb.3375:                             ;   in Loop: Header=BB6_2787 Depth=4
	v_ffbh_u32_e32 v9, v8
	v_min_u32_e32 v9, 32, v9
	v_subrev_u32_e32 v34, 29, v9
	v_bfe_u32 v7, v11, 2, 5
	v_lshlrev_b64 v[34:35], v34, v[0:1]
	v_sub_u32_e32 v9, 30, v9
	v_and_b32_e32 v34, 3, v34
	v_cmp_eq_u32_e32 vcc, 0, v7
	v_cndmask_b32_e32 v7, v7, v9, vcc
	v_cndmask_b32_e32 v8, v8, v34, vcc
	v_bfrev_b32_e32 v34, 28
	v_lshlrev_b32_e32 v9, 24, v11
	v_lshl_add_u32 v7, v7, 23, v34
	v_and_or_b32 v7, v9, s96, v7
	v_lshl_or_b32 v7, v8, 21, v7
                                        ; implicit-def: $vgpr8
.LBB6_3376:                             ;   in Loop: Header=BB6_2787 Depth=4
	s_andn2_saveexec_b64 s[74:75], s[74:75]
; %bb.3377:                             ;   in Loop: Header=BB6_2787 Depth=4
	v_mov_b32_e32 v7, -1
	v_cmp_gt_i16_sdwa vcc, sext(v11), v7 src0_sel:BYTE_0 src1_sel:DWORD
	v_mov_b32_e32 v7, 0xc7600000
	v_mov_b32_e32 v9, 0x47600000
	v_cndmask_b32_e32 v7, v7, v9, vcc
	v_cmp_eq_u32_e32 vcc, 0, v8
	v_mov_b32_e32 v8, 0x7f800001
	v_cndmask_b32_e32 v7, v8, v7, vcc
; %bb.3378:                             ;   in Loop: Header=BB6_2787 Depth=4
	s_or_b64 exec, exec, s[74:75]
.LBB6_3379:                             ;   in Loop: Header=BB6_2787 Depth=4
	s_or_b64 exec, exec, s[72:73]
.LBB6_3380:                             ;   in Loop: Header=BB6_2787 Depth=4
	s_or_b64 exec, exec, s[70:71]
	v_max_f32_e32 v7, v7, v7
	v_max_f32_e32 v6, v6, v6
	;; [unrolled: 1-line block ×3, first 2 shown]
	s_branch .LBB6_3399
.LBB6_3381:                             ;   in Loop: Header=BB6_2787 Depth=4
                                        ; implicit-def: $vgpr8
	s_cbranch_execz .LBB6_3399
; %bb.3382:                             ;   in Loop: Header=BB6_2787 Depth=4
	v_mov_b32_e32 v7, 0
	v_mov_b32_e32 v6, 0
	s_and_saveexec_b64 s[70:71], s[30:31]
	s_cbranch_execz .LBB6_3390
; %bb.3383:                             ;   in Loop: Header=BB6_2787 Depth=4
	v_cmp_ne_u16_sdwa vcc, v3, s97 src0_sel:BYTE_0 src1_sel:DWORD
	v_bfrev_b32_e32 v6, 1
	s_and_saveexec_b64 s[30:31], vcc
	s_cbranch_execz .LBB6_3389
; %bb.3384:                             ;   in Loop: Header=BB6_2787 Depth=4
	v_and_b32_e32 v6, 0x7c, v3
	v_and_b32_e32 v8, 3, v3
	v_cmp_ne_u32_e32 vcc, s95, v6
                                        ; implicit-def: $vgpr6
	s_and_saveexec_b64 s[72:73], vcc
	s_xor_b64 s[72:73], exec, s[72:73]
	s_cbranch_execz .LBB6_3386
; %bb.3385:                             ;   in Loop: Header=BB6_2787 Depth=4
	v_ffbh_u32_e32 v9, v8
	v_min_u32_e32 v9, 32, v9
	v_subrev_u32_e32 v34, 29, v9
	v_bfe_u32 v6, v3, 2, 5
	v_lshlrev_b64 v[34:35], v34, v[50:51]
	v_sub_u32_e32 v9, 30, v9
	v_and_b32_e32 v34, 3, v34
	v_cmp_eq_u32_e32 vcc, 0, v6
	v_cndmask_b32_e32 v6, v6, v9, vcc
	v_cndmask_b32_e32 v8, v8, v34, vcc
	v_bfrev_b32_e32 v34, 28
	v_lshlrev_b32_e32 v9, 24, v3
	v_lshl_add_u32 v6, v6, 23, v34
	v_and_or_b32 v6, v9, s96, v6
	v_lshl_or_b32 v6, v8, 21, v6
                                        ; implicit-def: $vgpr8
.LBB6_3386:                             ;   in Loop: Header=BB6_2787 Depth=4
	s_andn2_saveexec_b64 s[72:73], s[72:73]
; %bb.3387:                             ;   in Loop: Header=BB6_2787 Depth=4
	v_mov_b32_e32 v6, -1
	v_cmp_gt_i16_sdwa vcc, sext(v3), v6 src0_sel:BYTE_0 src1_sel:DWORD
	v_mov_b32_e32 v6, 0xc7600000
	v_mov_b32_e32 v9, 0x47600000
	v_cndmask_b32_e32 v6, v6, v9, vcc
	v_cmp_eq_u32_e32 vcc, 0, v8
	v_mov_b32_e32 v8, 0x7f800001
	v_cndmask_b32_e32 v6, v8, v6, vcc
; %bb.3388:                             ;   in Loop: Header=BB6_2787 Depth=4
	s_or_b64 exec, exec, s[72:73]
.LBB6_3389:                             ;   in Loop: Header=BB6_2787 Depth=4
	s_or_b64 exec, exec, s[30:31]
.LBB6_3390:                             ;   in Loop: Header=BB6_2787 Depth=4
	s_or_b64 exec, exec, s[70:71]
	v_cmp_ne_u16_sdwa vcc, v11, v51 src0_sel:BYTE_0 src1_sel:DWORD
	s_and_saveexec_b64 s[30:31], vcc
	s_cbranch_execz .LBB6_3398
; %bb.3391:                             ;   in Loop: Header=BB6_2787 Depth=4
	v_cmp_ne_u16_sdwa vcc, v11, s97 src0_sel:BYTE_0 src1_sel:DWORD
	v_bfrev_b32_e32 v7, 1
	s_and_saveexec_b64 s[70:71], vcc
	s_cbranch_execz .LBB6_3397
; %bb.3392:                             ;   in Loop: Header=BB6_2787 Depth=4
	v_and_b32_e32 v7, 0x7c, v11
	v_and_b32_e32 v8, 3, v11
	v_cmp_ne_u32_e32 vcc, s95, v7
                                        ; implicit-def: $vgpr7
	s_and_saveexec_b64 s[72:73], vcc
	s_xor_b64 s[72:73], exec, s[72:73]
	s_cbranch_execz .LBB6_3394
; %bb.3393:                             ;   in Loop: Header=BB6_2787 Depth=4
	v_ffbh_u32_e32 v9, v8
	v_min_u32_e32 v9, 32, v9
	v_subrev_u32_e32 v34, 29, v9
	v_bfe_u32 v7, v11, 2, 5
	v_lshlrev_b64 v[34:35], v34, v[0:1]
	v_sub_u32_e32 v1, 30, v9
	v_and_b32_e32 v9, 3, v34
	v_cmp_eq_u32_e32 vcc, 0, v7
	v_cndmask_b32_e32 v1, v7, v1, vcc
	v_cndmask_b32_e32 v7, v8, v9, vcc
	v_bfrev_b32_e32 v9, 28
	v_lshlrev_b32_e32 v8, 24, v11
	v_lshl_add_u32 v1, v1, 23, v9
	v_and_or_b32 v1, v8, s96, v1
	v_lshl_or_b32 v7, v7, 21, v1
                                        ; implicit-def: $vgpr8
.LBB6_3394:                             ;   in Loop: Header=BB6_2787 Depth=4
	s_andn2_saveexec_b64 s[72:73], s[72:73]
; %bb.3395:                             ;   in Loop: Header=BB6_2787 Depth=4
	v_mov_b32_e32 v1, -1
	v_cmp_gt_i16_sdwa vcc, sext(v11), v1 src0_sel:BYTE_0 src1_sel:DWORD
	v_mov_b32_e32 v1, 0xc7600000
	v_mov_b32_e32 v7, 0x47600000
	v_cndmask_b32_e32 v1, v1, v7, vcc
	v_cmp_eq_u32_e32 vcc, 0, v8
	v_mov_b32_e32 v7, 0x7f800001
	v_cndmask_b32_e32 v7, v7, v1, vcc
; %bb.3396:                             ;   in Loop: Header=BB6_2787 Depth=4
	s_or_b64 exec, exec, s[72:73]
.LBB6_3397:                             ;   in Loop: Header=BB6_2787 Depth=4
	s_or_b64 exec, exec, s[70:71]
.LBB6_3398:                             ;   in Loop: Header=BB6_2787 Depth=4
	s_or_b64 exec, exec, s[30:31]
	v_max_f32_e32 v1, v7, v7
	v_max_f32_e32 v6, v6, v6
	v_min_f32_e32 v8, v6, v1
.LBB6_3399:                             ;   in Loop: Header=BB6_2787 Depth=4
	v_and_b32_sdwa v1, v8, s97 dst_sel:DWORD dst_unused:UNUSED_PAD src0_sel:BYTE_3 src1_sel:DWORD
	v_and_b32_e32 v36, 0x7f800000, v8
	v_mov_b32_e32 v37, v51
	v_and_b32_e32 v6, 0x7fffff, v8
	v_mov_b32_e32 v7, v51
	v_or_b32_e32 v34, 0x7b, v1
	v_cmp_ne_u64_e32 vcc, s[52:53], v[36:37]
	s_and_saveexec_b64 s[30:31], vcc
	s_xor_b64 s[70:71], exec, s[30:31]
	s_cbranch_execz .LBB6_3409
; %bb.3400:                             ;   in Loop: Header=BB6_2787 Depth=4
	v_and_b32_e32 v36, 0x7fffffff, v8
	v_mov_b32_e32 v37, v51
	v_cmp_gt_u64_e32 vcc, s[54:55], v[36:37]
	s_and_saveexec_b64 s[72:73], vcc
	s_cbranch_execz .LBB6_3408
; %bb.3401:                             ;   in Loop: Header=BB6_2787 Depth=4
	v_cmp_ne_u32_e32 vcc, 0, v8
	v_mov_b32_e32 v34, 0
	s_and_saveexec_b64 s[74:75], vcc
	s_cbranch_execz .LBB6_3407
; %bb.3402:                             ;   in Loop: Header=BB6_2787 Depth=4
	v_bfe_u32 v8, v8, 23, 8
	v_cmp_eq_u32_e32 vcc, 0, v8
	v_add_u32_e32 v9, 0xffffff81, v8
	v_cmp_gt_u32_e64 s[30:31], s38, v8
	v_sub_u32_e32 v8, 0x71, v8
	v_mov_b32_e32 v35, 0xffffff82
	v_cndmask_b32_e64 v8, 0, v8, s[30:31]
	v_cndmask_b32_e32 v36, v9, v35, vcc
	v_mov_b32_e32 v9, 0x70
	v_cndmask_b32_e32 v37, v8, v9, vcc
	v_add_u32_e32 v8, 21, v37
	v_or_b32_e32 v34, 0x800000, v6
	v_lshlrev_b64 v[8:9], v8, -1
	v_cndmask_b32_e32 v6, v34, v6, vcc
	v_not_b32_e32 v9, v9
	v_not_b32_e32 v8, v8
	v_add_u32_e32 v34, 20, v37
	v_and_b32_e32 v9, 0, v9
	v_and_b32_e32 v8, v6, v8
	v_lshlrev_b64 v[34:35], v34, 1
	v_lshrrev_b64 v[6:7], v37, v[6:7]
	v_cmp_eq_u64_e32 vcc, v[8:9], v[34:35]
	v_lshrrev_b32_e32 v8, 23, v6
	v_add3_u32 v34, v37, v36, v8
	v_bfe_u32 v8, v6, 21, 1
	v_add_u32_e32 v8, -1, v8
	v_cndmask_b32_e32 v8, 0, v8, vcc
	v_add_u32_e32 v8, v8, v6
	v_and_b32_e32 v8, 0x1fffff, v8
	v_add_co_u32_e32 v6, vcc, v8, v6
	v_add_u32_e32 v9, 14, v34
	v_addc_co_u32_e32 v7, vcc, 0, v7, vcc
	v_cmp_ne_u32_e32 vcc, 0, v9
                                        ; implicit-def: $vgpr8
	s_and_saveexec_b64 s[30:31], vcc
	s_xor_b64 s[30:31], exec, s[30:31]
; %bb.3403:                             ;   in Loop: Header=BB6_2787 Depth=4
	v_add_u32_e32 v8, 15, v34
	v_cmp_lt_u64_e32 vcc, s[56:57], v[6:7]
	v_cndmask_b32_e32 v8, v9, v8, vcc
	v_cndmask_b32_e64 v9, 0, 1, vcc
	v_lshrrev_b64 v[6:7], v9, v[6:7]
; %bb.3404:                             ;   in Loop: Header=BB6_2787 Depth=4
	s_andn2_saveexec_b64 vcc, s[30:31]
; %bb.3405:                             ;   in Loop: Header=BB6_2787 Depth=4
	v_bfe_u32 v8, v6, 23, 1
; %bb.3406:                             ;   in Loop: Header=BB6_2787 Depth=4
	s_or_b64 exec, exec, vcc
	v_lshrrev_b64 v[6:7], 21, v[6:7]
	v_cmp_gt_i32_e32 vcc, 32, v8
	v_cndmask_b32_e32 v7, 0, v7, vcc
	v_cndmask_b32_e32 v6, 3, v6, vcc
	v_cmp_eq_u64_e64 s[30:31], 0, v[6:7]
	v_min_i32_e32 v7, 31, v8
	v_cmp_eq_u32_e32 vcc, 0, v8
	v_lshlrev_b32_e32 v7, 2, v7
	v_and_or_b32 v6, v6, 3, v7
	s_and_b64 vcc, vcc, s[30:31]
	v_cndmask_b32_e64 v6, v6, 0, vcc
	v_or_b32_e32 v34, v6, v1
.LBB6_3407:                             ;   in Loop: Header=BB6_2787 Depth=4
	s_or_b64 exec, exec, s[74:75]
.LBB6_3408:                             ;   in Loop: Header=BB6_2787 Depth=4
	s_or_b64 exec, exec, s[72:73]
                                        ; implicit-def: $vgpr8
                                        ; implicit-def: $vgpr6_vgpr7
.LBB6_3409:                             ;   in Loop: Header=BB6_2787 Depth=4
	s_andn2_saveexec_b64 s[30:31], s[70:71]
; %bb.3410:                             ;   in Loop: Header=BB6_2787 Depth=4
	v_or_b32_sdwa v1, v8, s39 dst_sel:DWORD dst_unused:UNUSED_PAD src0_sel:BYTE_3 src1_sel:DWORD
	v_cmp_eq_u64_e32 vcc, 0, v[6:7]
	v_cndmask_b32_e32 v34, v1, v34, vcc
; %bb.3411:                             ;   in Loop: Header=BB6_2787 Depth=4
	s_or_b64 exec, exec, s[30:31]
	v_lshrrev_b16_e32 v8, 8, v50
	v_lshrrev_b16_e32 v6, 8, v0
	v_cmp_ne_u16_e64 s[30:31], 0, v8
	s_and_b64 vcc, exec, s[68:69]
	s_cbranch_vccz .LBB6_3429
; %bb.3412:                             ;   in Loop: Header=BB6_2787 Depth=4
	v_mov_b32_e32 v7, 0
	v_mov_b32_e32 v1, 0
	s_and_saveexec_b64 s[70:71], s[30:31]
	s_cbranch_execz .LBB6_3420
; %bb.3413:                             ;   in Loop: Header=BB6_2787 Depth=4
	v_cmp_ne_u16_e32 vcc, s97, v8
	v_bfrev_b32_e32 v1, 1
	s_and_saveexec_b64 s[72:73], vcc
	s_cbranch_execz .LBB6_3419
; %bb.3414:                             ;   in Loop: Header=BB6_2787 Depth=4
	v_and_b32_e32 v1, 0x7c, v8
	v_and_b32_e32 v35, 3, v8
	v_cmp_ne_u32_e32 vcc, s95, v1
                                        ; implicit-def: $vgpr1
	s_and_saveexec_b64 s[74:75], vcc
	s_xor_b64 s[74:75], exec, s[74:75]
	s_cbranch_execz .LBB6_3416
; %bb.3415:                             ;   in Loop: Header=BB6_2787 Depth=4
	v_ffbh_u32_e32 v36, v35
	v_min_u32_e32 v38, 32, v36
	v_mov_b32_e32 v9, v51
	v_subrev_u32_e32 v36, 29, v38
	v_bfe_u32 v1, v8, 2, 5
	v_lshlrev_b64 v[36:37], v36, v[8:9]
	v_sub_u32_e32 v9, 30, v38
	v_and_b32_e32 v36, 3, v36
	v_cmp_eq_u32_e32 vcc, 0, v1
	v_cndmask_b32_e32 v1, v1, v9, vcc
	v_cndmask_b32_e32 v9, v35, v36, vcc
	v_bfrev_b32_e32 v36, 28
	v_lshlrev_b32_e32 v35, 16, v50
	v_lshl_add_u32 v1, v1, 23, v36
	v_and_or_b32 v1, v35, s96, v1
	v_lshl_or_b32 v1, v9, 21, v1
                                        ; implicit-def: $vgpr35
.LBB6_3416:                             ;   in Loop: Header=BB6_2787 Depth=4
	s_andn2_saveexec_b64 s[74:75], s[74:75]
; %bb.3417:                             ;   in Loop: Header=BB6_2787 Depth=4
	v_cmp_lt_i16_e32 vcc, -1, v50
	v_mov_b32_e32 v1, 0xc7600000
	v_mov_b32_e32 v9, 0x47600000
	v_cndmask_b32_e32 v1, v1, v9, vcc
	v_cmp_eq_u32_e32 vcc, 0, v35
	v_mov_b32_e32 v9, 0x7f800001
	v_cndmask_b32_e32 v1, v9, v1, vcc
; %bb.3418:                             ;   in Loop: Header=BB6_2787 Depth=4
	s_or_b64 exec, exec, s[74:75]
.LBB6_3419:                             ;   in Loop: Header=BB6_2787 Depth=4
	s_or_b64 exec, exec, s[72:73]
.LBB6_3420:                             ;   in Loop: Header=BB6_2787 Depth=4
	s_or_b64 exec, exec, s[70:71]
	v_cmp_ne_u16_e32 vcc, 0, v6
	s_and_saveexec_b64 s[70:71], vcc
	s_cbranch_execz .LBB6_3428
; %bb.3421:                             ;   in Loop: Header=BB6_2787 Depth=4
	v_cmp_ne_u16_e32 vcc, s97, v6
	v_bfrev_b32_e32 v7, 1
	s_and_saveexec_b64 s[72:73], vcc
	s_cbranch_execz .LBB6_3427
; %bb.3422:                             ;   in Loop: Header=BB6_2787 Depth=4
	v_and_b32_e32 v7, 0x7c, v6
	v_and_b32_e32 v9, 3, v6
	v_cmp_ne_u32_e32 vcc, s95, v7
                                        ; implicit-def: $vgpr7
	s_and_saveexec_b64 s[74:75], vcc
	s_xor_b64 s[74:75], exec, s[74:75]
	s_cbranch_execz .LBB6_3424
; %bb.3423:                             ;   in Loop: Header=BB6_2787 Depth=4
	v_ffbh_u32_e32 v36, v9
	v_min_u32_e32 v38, 32, v36
	v_mov_b32_e32 v7, v51
	v_subrev_u32_e32 v36, 29, v38
	v_bfe_u32 v35, v6, 2, 5
	v_lshlrev_b64 v[36:37], v36, v[6:7]
	v_sub_u32_e32 v7, 30, v38
	v_and_b32_e32 v36, 3, v36
	v_cmp_eq_u32_e32 vcc, 0, v35
	v_cndmask_b32_e32 v7, v35, v7, vcc
	v_cndmask_b32_e32 v9, v9, v36, vcc
	v_bfrev_b32_e32 v36, 28
	v_lshlrev_b32_e32 v35, 16, v0
	v_lshl_add_u32 v7, v7, 23, v36
	v_and_or_b32 v7, v35, s96, v7
	v_lshl_or_b32 v7, v9, 21, v7
                                        ; implicit-def: $vgpr9
.LBB6_3424:                             ;   in Loop: Header=BB6_2787 Depth=4
	s_andn2_saveexec_b64 s[74:75], s[74:75]
; %bb.3425:                             ;   in Loop: Header=BB6_2787 Depth=4
	v_cmp_lt_i16_e32 vcc, -1, v0
	v_mov_b32_e32 v7, 0xc7600000
	v_mov_b32_e32 v35, 0x47600000
	v_cndmask_b32_e32 v7, v7, v35, vcc
	v_cmp_eq_u32_e32 vcc, 0, v9
	v_mov_b32_e32 v9, 0x7f800001
	v_cndmask_b32_e32 v7, v9, v7, vcc
; %bb.3426:                             ;   in Loop: Header=BB6_2787 Depth=4
	s_or_b64 exec, exec, s[74:75]
.LBB6_3427:                             ;   in Loop: Header=BB6_2787 Depth=4
	s_or_b64 exec, exec, s[72:73]
.LBB6_3428:                             ;   in Loop: Header=BB6_2787 Depth=4
	s_or_b64 exec, exec, s[70:71]
	v_max_f32_e32 v7, v7, v7
	v_max_f32_e32 v1, v1, v1
	;; [unrolled: 1-line block ×3, first 2 shown]
	s_branch .LBB6_3447
.LBB6_3429:                             ;   in Loop: Header=BB6_2787 Depth=4
                                        ; implicit-def: $vgpr1
	s_cbranch_execz .LBB6_3447
; %bb.3430:                             ;   in Loop: Header=BB6_2787 Depth=4
	v_mov_b32_e32 v7, 0
	v_mov_b32_e32 v9, 0
	s_and_saveexec_b64 s[70:71], s[30:31]
	s_cbranch_execz .LBB6_3438
; %bb.3431:                             ;   in Loop: Header=BB6_2787 Depth=4
	v_cmp_ne_u16_e32 vcc, s97, v8
	v_bfrev_b32_e32 v9, 1
	s_and_saveexec_b64 s[30:31], vcc
	s_cbranch_execz .LBB6_3437
; %bb.3432:                             ;   in Loop: Header=BB6_2787 Depth=4
	v_and_b32_e32 v9, 0x7c, v8
	v_and_b32_e32 v1, 3, v8
	v_cmp_ne_u32_e32 vcc, s95, v9
                                        ; implicit-def: $vgpr9
	s_and_saveexec_b64 s[72:73], vcc
	s_xor_b64 s[72:73], exec, s[72:73]
	s_cbranch_execz .LBB6_3434
; %bb.3433:                             ;   in Loop: Header=BB6_2787 Depth=4
	v_ffbh_u32_e32 v36, v1
	v_min_u32_e32 v36, 32, v36
	v_mov_b32_e32 v9, v51
	v_subrev_u32_e32 v37, 29, v36
	v_bfe_u32 v35, v8, 2, 5
	v_lshlrev_b64 v[8:9], v37, v[8:9]
	v_sub_u32_e32 v9, 30, v36
	v_cmp_eq_u32_e32 vcc, 0, v35
	v_and_b32_e32 v8, 3, v8
	v_cndmask_b32_e32 v9, v35, v9, vcc
	v_bfrev_b32_e32 v35, 28
	v_cndmask_b32_e32 v1, v1, v8, vcc
	v_lshlrev_b32_e32 v8, 16, v50
	v_lshl_add_u32 v9, v9, 23, v35
	v_and_or_b32 v8, v8, s96, v9
	v_lshl_or_b32 v9, v1, 21, v8
                                        ; implicit-def: $vgpr1
.LBB6_3434:                             ;   in Loop: Header=BB6_2787 Depth=4
	s_andn2_saveexec_b64 s[72:73], s[72:73]
; %bb.3435:                             ;   in Loop: Header=BB6_2787 Depth=4
	v_cmp_lt_i16_e32 vcc, -1, v50
	v_mov_b32_e32 v8, 0xc7600000
	v_mov_b32_e32 v9, 0x47600000
	v_cndmask_b32_e32 v8, v8, v9, vcc
	v_cmp_eq_u32_e32 vcc, 0, v1
	v_mov_b32_e32 v1, 0x7f800001
	v_cndmask_b32_e32 v9, v1, v8, vcc
; %bb.3436:                             ;   in Loop: Header=BB6_2787 Depth=4
	s_or_b64 exec, exec, s[72:73]
.LBB6_3437:                             ;   in Loop: Header=BB6_2787 Depth=4
	s_or_b64 exec, exec, s[30:31]
.LBB6_3438:                             ;   in Loop: Header=BB6_2787 Depth=4
	s_or_b64 exec, exec, s[70:71]
	v_cmp_ne_u16_e32 vcc, 0, v6
	s_and_saveexec_b64 s[30:31], vcc
	s_cbranch_execz .LBB6_3446
; %bb.3439:                             ;   in Loop: Header=BB6_2787 Depth=4
	v_cmp_ne_u16_e32 vcc, s97, v6
	v_bfrev_b32_e32 v7, 1
	s_and_saveexec_b64 s[70:71], vcc
	s_cbranch_execz .LBB6_3445
; %bb.3440:                             ;   in Loop: Header=BB6_2787 Depth=4
	v_and_b32_e32 v1, 0x7c, v6
	v_and_b32_e32 v8, 3, v6
	v_cmp_ne_u32_e32 vcc, s95, v1
                                        ; implicit-def: $vgpr7
	s_and_saveexec_b64 s[72:73], vcc
	s_xor_b64 s[72:73], exec, s[72:73]
	s_cbranch_execz .LBB6_3442
; %bb.3441:                             ;   in Loop: Header=BB6_2787 Depth=4
	v_ffbh_u32_e32 v35, v8
	v_min_u32_e32 v35, 32, v35
	v_mov_b32_e32 v7, v51
	v_subrev_u32_e32 v36, 29, v35
	v_bfe_u32 v1, v6, 2, 5
	v_lshlrev_b64 v[6:7], v36, v[6:7]
	v_sub_u32_e32 v7, 30, v35
	v_cmp_eq_u32_e32 vcc, 0, v1
	v_cndmask_b32_e32 v1, v1, v7, vcc
	v_bfrev_b32_e32 v7, 28
	v_and_b32_e32 v6, 3, v6
	v_lshlrev_b32_e32 v0, 16, v0
	v_lshl_add_u32 v1, v1, 23, v7
	v_cndmask_b32_e32 v6, v8, v6, vcc
	v_and_or_b32 v0, v0, s96, v1
	v_lshl_or_b32 v7, v6, 21, v0
                                        ; implicit-def: $vgpr8
                                        ; implicit-def: $vgpr0_vgpr1
.LBB6_3442:                             ;   in Loop: Header=BB6_2787 Depth=4
	s_andn2_saveexec_b64 s[72:73], s[72:73]
; %bb.3443:                             ;   in Loop: Header=BB6_2787 Depth=4
	v_cmp_lt_i16_e32 vcc, -1, v0
	v_mov_b32_e32 v0, 0xc7600000
	v_mov_b32_e32 v1, 0x47600000
	v_cndmask_b32_e32 v0, v0, v1, vcc
	v_cmp_eq_u32_e32 vcc, 0, v8
	v_mov_b32_e32 v1, 0x7f800001
	v_cndmask_b32_e32 v7, v1, v0, vcc
; %bb.3444:                             ;   in Loop: Header=BB6_2787 Depth=4
	s_or_b64 exec, exec, s[72:73]
.LBB6_3445:                             ;   in Loop: Header=BB6_2787 Depth=4
	s_or_b64 exec, exec, s[70:71]
.LBB6_3446:                             ;   in Loop: Header=BB6_2787 Depth=4
	s_or_b64 exec, exec, s[30:31]
	v_max_f32_e32 v0, v7, v7
	v_max_f32_e32 v1, v9, v9
	v_min_f32_e32 v1, v1, v0
.LBB6_3447:                             ;   in Loop: Header=BB6_2787 Depth=4
	v_and_b32_sdwa v6, v1, s97 dst_sel:DWORD dst_unused:UNUSED_PAD src0_sel:BYTE_3 src1_sel:DWORD
	v_and_b32_e32 v8, 0x7f800000, v1
	v_mov_b32_e32 v9, v51
	v_and_b32_e32 v50, 0x7fffff, v1
	v_or_b32_e32 v7, 0x7b, v6
	v_cmp_ne_u64_e32 vcc, s[52:53], v[8:9]
	s_and_saveexec_b64 s[30:31], vcc
	s_xor_b64 s[70:71], exec, s[30:31]
	s_cbranch_execz .LBB6_3457
; %bb.3448:                             ;   in Loop: Header=BB6_2787 Depth=4
	v_and_b32_e32 v8, 0x7fffffff, v1
	v_mov_b32_e32 v9, v51
	v_cmp_gt_u64_e32 vcc, s[54:55], v[8:9]
	s_and_saveexec_b64 s[72:73], vcc
	s_cbranch_execz .LBB6_3456
; %bb.3449:                             ;   in Loop: Header=BB6_2787 Depth=4
	v_cmp_ne_u32_e32 vcc, 0, v1
	v_mov_b32_e32 v7, 0
	s_and_saveexec_b64 s[74:75], vcc
	s_cbranch_execz .LBB6_3455
; %bb.3450:                             ;   in Loop: Header=BB6_2787 Depth=4
	v_bfe_u32 v0, v1, 23, 8
	v_cmp_eq_u32_e32 vcc, 0, v0
	v_add_u32_e32 v1, 0xffffff81, v0
	v_cmp_gt_u32_e64 s[30:31], s38, v0
	v_sub_u32_e32 v0, 0x71, v0
	v_mov_b32_e32 v8, 0xffffff82
	v_cndmask_b32_e64 v0, 0, v0, s[30:31]
	v_cndmask_b32_e32 v35, v1, v8, vcc
	v_mov_b32_e32 v1, 0x70
	v_cndmask_b32_e32 v36, v0, v1, vcc
	v_add_u32_e32 v0, 21, v36
	v_or_b32_e32 v7, 0x800000, v50
	v_lshlrev_b64 v[0:1], v0, -1
	v_cndmask_b32_e32 v50, v7, v50, vcc
	v_not_b32_e32 v1, v1
	v_not_b32_e32 v0, v0
	v_add_u32_e32 v7, 20, v36
	v_and_b32_e32 v1, 0, v1
	v_and_b32_e32 v0, v50, v0
	v_lshlrev_b64 v[8:9], v7, 1
	v_cmp_eq_u64_e32 vcc, v[0:1], v[8:9]
	v_lshrrev_b64 v[0:1], v36, v[50:51]
	v_lshrrev_b32_e32 v7, 23, v0
	v_add3_u32 v9, v36, v35, v7
	v_bfe_u32 v7, v0, 21, 1
	v_add_u32_e32 v7, -1, v7
	v_cndmask_b32_e32 v7, 0, v7, vcc
	v_add_u32_e32 v7, v7, v0
	v_and_b32_e32 v7, 0x1fffff, v7
	v_add_co_u32_e32 v0, vcc, v7, v0
	v_add_u32_e32 v8, 14, v9
	v_addc_co_u32_e32 v1, vcc, 0, v1, vcc
	v_cmp_ne_u32_e32 vcc, 0, v8
                                        ; implicit-def: $vgpr7
	s_and_saveexec_b64 s[30:31], vcc
	s_xor_b64 s[30:31], exec, s[30:31]
; %bb.3451:                             ;   in Loop: Header=BB6_2787 Depth=4
	v_add_u32_e32 v7, 15, v9
	v_cmp_lt_u64_e32 vcc, s[56:57], v[0:1]
	v_cndmask_b32_e32 v7, v8, v7, vcc
	v_cndmask_b32_e64 v8, 0, 1, vcc
	v_lshrrev_b64 v[0:1], v8, v[0:1]
; %bb.3452:                             ;   in Loop: Header=BB6_2787 Depth=4
	s_andn2_saveexec_b64 vcc, s[30:31]
; %bb.3453:                             ;   in Loop: Header=BB6_2787 Depth=4
	v_bfe_u32 v7, v0, 23, 1
; %bb.3454:                             ;   in Loop: Header=BB6_2787 Depth=4
	s_or_b64 exec, exec, vcc
	v_lshrrev_b64 v[0:1], 21, v[0:1]
	v_cmp_gt_i32_e32 vcc, 32, v7
	v_cndmask_b32_e32 v1, 0, v1, vcc
	v_cndmask_b32_e32 v0, 3, v0, vcc
	v_cmp_eq_u64_e64 s[30:31], 0, v[0:1]
	v_min_i32_e32 v1, 31, v7
	v_cmp_eq_u32_e32 vcc, 0, v7
	v_lshlrev_b32_e32 v1, 2, v1
	v_and_or_b32 v0, v0, 3, v1
	s_and_b64 vcc, vcc, s[30:31]
	v_cndmask_b32_e64 v0, v0, 0, vcc
	v_or_b32_e32 v7, v0, v6
.LBB6_3455:                             ;   in Loop: Header=BB6_2787 Depth=4
	s_or_b64 exec, exec, s[74:75]
.LBB6_3456:                             ;   in Loop: Header=BB6_2787 Depth=4
	s_or_b64 exec, exec, s[72:73]
                                        ; implicit-def: $vgpr1
.LBB6_3457:                             ;   in Loop: Header=BB6_2787 Depth=4
	s_andn2_saveexec_b64 s[30:31], s[70:71]
; %bb.3458:                             ;   in Loop: Header=BB6_2787 Depth=4
	v_or_b32_sdwa v0, v1, s39 dst_sel:DWORD dst_unused:UNUSED_PAD src0_sel:BYTE_3 src1_sel:DWORD
	v_cmp_eq_u64_e32 vcc, 0, v[50:51]
	v_cndmask_b32_e32 v7, v0, v7, vcc
; %bb.3459:                             ;   in Loop: Header=BB6_2787 Depth=4
	s_or_b64 exec, exec, s[30:31]
	v_lshrrev_b32_e32 v6, 16, v3
	v_lshrrev_b32_e32 v0, 16, v11
	v_cmp_ne_u16_sdwa s[30:31], v6, v51 src0_sel:BYTE_0 src1_sel:DWORD
	s_and_b64 vcc, exec, s[68:69]
	s_cbranch_vccz .LBB6_3477
; %bb.3460:                             ;   in Loop: Header=BB6_2787 Depth=4
	v_mov_b32_e32 v8, 0
	v_mov_b32_e32 v1, 0
	s_and_saveexec_b64 s[70:71], s[30:31]
	s_cbranch_execz .LBB6_3468
; %bb.3461:                             ;   in Loop: Header=BB6_2787 Depth=4
	v_cmp_ne_u16_sdwa vcc, v6, s97 src0_sel:BYTE_0 src1_sel:DWORD
	v_bfrev_b32_e32 v1, 1
	s_and_saveexec_b64 s[72:73], vcc
	s_cbranch_execz .LBB6_3467
; %bb.3462:                             ;   in Loop: Header=BB6_2787 Depth=4
	v_and_b32_e32 v1, 0x7c0000, v3
	v_bfe_u32 v9, v3, 16, 2
	v_cmp_ne_u32_e32 vcc, s36, v1
                                        ; implicit-def: $vgpr1
	s_and_saveexec_b64 s[74:75], vcc
	s_xor_b64 s[74:75], exec, s[74:75]
	s_cbranch_execz .LBB6_3464
; %bb.3463:                             ;   in Loop: Header=BB6_2787 Depth=4
	v_ffbh_u32_e32 v35, v9
	v_min_u32_e32 v35, 32, v35
	v_subrev_u32_e32 v36, 29, v35
	v_bfe_u32 v1, v3, 18, 5
	v_lshlrev_b64 v[36:37], v36, v[6:7]
	v_sub_u32_e32 v35, 30, v35
	v_and_b32_e32 v36, 3, v36
	v_cmp_eq_u32_e32 vcc, 0, v1
	v_cndmask_b32_e32 v1, v1, v35, vcc
	v_cndmask_b32_e32 v9, v9, v36, vcc
	v_bfrev_b32_e32 v36, 28
	v_lshlrev_b32_e32 v35, 24, v6
	v_lshl_add_u32 v1, v1, 23, v36
	v_and_or_b32 v1, v35, s96, v1
	v_lshl_or_b32 v1, v9, 21, v1
                                        ; implicit-def: $vgpr9
.LBB6_3464:                             ;   in Loop: Header=BB6_2787 Depth=4
	s_andn2_saveexec_b64 s[74:75], s[74:75]
; %bb.3465:                             ;   in Loop: Header=BB6_2787 Depth=4
	v_mov_b32_e32 v1, -1
	v_cmp_gt_i16_sdwa vcc, sext(v6), v1 src0_sel:BYTE_0 src1_sel:DWORD
	v_mov_b32_e32 v1, 0xc7600000
	v_mov_b32_e32 v35, 0x47600000
	v_cndmask_b32_e32 v1, v1, v35, vcc
	v_cmp_eq_u32_e32 vcc, 0, v9
	v_mov_b32_e32 v9, 0x7f800001
	v_cndmask_b32_e32 v1, v9, v1, vcc
; %bb.3466:                             ;   in Loop: Header=BB6_2787 Depth=4
	s_or_b64 exec, exec, s[74:75]
.LBB6_3467:                             ;   in Loop: Header=BB6_2787 Depth=4
	s_or_b64 exec, exec, s[72:73]
.LBB6_3468:                             ;   in Loop: Header=BB6_2787 Depth=4
	s_or_b64 exec, exec, s[70:71]
	v_cmp_ne_u16_sdwa vcc, v0, v51 src0_sel:BYTE_0 src1_sel:DWORD
	s_and_saveexec_b64 s[70:71], vcc
	s_cbranch_execz .LBB6_3476
; %bb.3469:                             ;   in Loop: Header=BB6_2787 Depth=4
	v_cmp_ne_u16_sdwa vcc, v0, s97 src0_sel:BYTE_0 src1_sel:DWORD
	v_bfrev_b32_e32 v8, 1
	s_and_saveexec_b64 s[72:73], vcc
	s_cbranch_execz .LBB6_3475
; %bb.3470:                             ;   in Loop: Header=BB6_2787 Depth=4
	v_and_b32_e32 v8, 0x7c0000, v11
	v_bfe_u32 v9, v11, 16, 2
	v_cmp_ne_u32_e32 vcc, s36, v8
                                        ; implicit-def: $vgpr8
	s_and_saveexec_b64 s[74:75], vcc
	s_xor_b64 s[74:75], exec, s[74:75]
	s_cbranch_execz .LBB6_3472
; %bb.3471:                             ;   in Loop: Header=BB6_2787 Depth=4
	v_ffbh_u32_e32 v35, v9
	v_min_u32_e32 v35, 32, v35
	v_subrev_u32_e32 v36, 29, v35
	v_bfe_u32 v8, v11, 18, 5
	v_lshlrev_b64 v[36:37], v36, v[0:1]
	v_sub_u32_e32 v35, 30, v35
	v_and_b32_e32 v36, 3, v36
	v_cmp_eq_u32_e32 vcc, 0, v8
	v_cndmask_b32_e32 v8, v8, v35, vcc
	v_cndmask_b32_e32 v9, v9, v36, vcc
	v_bfrev_b32_e32 v36, 28
	v_lshlrev_b32_e32 v35, 24, v0
	v_lshl_add_u32 v8, v8, 23, v36
	v_and_or_b32 v8, v35, s96, v8
	v_lshl_or_b32 v8, v9, 21, v8
                                        ; implicit-def: $vgpr9
.LBB6_3472:                             ;   in Loop: Header=BB6_2787 Depth=4
	s_andn2_saveexec_b64 s[74:75], s[74:75]
; %bb.3473:                             ;   in Loop: Header=BB6_2787 Depth=4
	v_mov_b32_e32 v8, -1
	v_cmp_gt_i16_sdwa vcc, sext(v0), v8 src0_sel:BYTE_0 src1_sel:DWORD
	v_mov_b32_e32 v8, 0xc7600000
	v_mov_b32_e32 v35, 0x47600000
	v_cndmask_b32_e32 v8, v8, v35, vcc
	v_cmp_eq_u32_e32 vcc, 0, v9
	v_mov_b32_e32 v9, 0x7f800001
	v_cndmask_b32_e32 v8, v9, v8, vcc
; %bb.3474:                             ;   in Loop: Header=BB6_2787 Depth=4
	s_or_b64 exec, exec, s[74:75]
.LBB6_3475:                             ;   in Loop: Header=BB6_2787 Depth=4
	s_or_b64 exec, exec, s[72:73]
.LBB6_3476:                             ;   in Loop: Header=BB6_2787 Depth=4
	s_or_b64 exec, exec, s[70:71]
	v_max_f32_e32 v8, v8, v8
	v_max_f32_e32 v1, v1, v1
	;; [unrolled: 1-line block ×3, first 2 shown]
	s_branch .LBB6_3495
.LBB6_3477:                             ;   in Loop: Header=BB6_2787 Depth=4
                                        ; implicit-def: $vgpr1
	s_cbranch_execz .LBB6_3495
; %bb.3478:                             ;   in Loop: Header=BB6_2787 Depth=4
	v_mov_b32_e32 v8, 0
	v_mov_b32_e32 v1, 0
	s_and_saveexec_b64 s[70:71], s[30:31]
	s_cbranch_execz .LBB6_3486
; %bb.3479:                             ;   in Loop: Header=BB6_2787 Depth=4
	v_cmp_ne_u16_sdwa vcc, v6, s97 src0_sel:BYTE_0 src1_sel:DWORD
	v_bfrev_b32_e32 v1, 1
	s_and_saveexec_b64 s[30:31], vcc
	s_cbranch_execz .LBB6_3485
; %bb.3480:                             ;   in Loop: Header=BB6_2787 Depth=4
	v_and_b32_e32 v1, 0x7c0000, v3
	v_bfe_u32 v9, v3, 16, 2
	v_cmp_ne_u32_e32 vcc, s36, v1
                                        ; implicit-def: $vgpr1
	s_and_saveexec_b64 s[72:73], vcc
	s_xor_b64 s[72:73], exec, s[72:73]
	s_cbranch_execz .LBB6_3482
; %bb.3481:                             ;   in Loop: Header=BB6_2787 Depth=4
	v_ffbh_u32_e32 v35, v9
	v_bfe_u32 v1, v3, 18, 5
	v_min_u32_e32 v35, 32, v35
	v_subrev_u32_e32 v36, 29, v35
	v_sub_u32_e32 v35, 30, v35
	v_cmp_eq_u32_e32 vcc, 0, v1
	v_lshlrev_b64 v[36:37], v36, v[6:7]
	v_cndmask_b32_e32 v1, v1, v35, vcc
	v_bfrev_b32_e32 v35, 28
	v_and_b32_e32 v36, 3, v36
	v_lshlrev_b32_e32 v6, 24, v6
	v_lshl_add_u32 v1, v1, 23, v35
	v_cndmask_b32_e32 v9, v9, v36, vcc
	v_and_or_b32 v1, v6, s96, v1
	v_lshl_or_b32 v1, v9, 21, v1
                                        ; implicit-def: $vgpr9
                                        ; implicit-def: $vgpr6
.LBB6_3482:                             ;   in Loop: Header=BB6_2787 Depth=4
	s_andn2_saveexec_b64 s[72:73], s[72:73]
; %bb.3483:                             ;   in Loop: Header=BB6_2787 Depth=4
	v_mov_b32_e32 v1, -1
	v_cmp_gt_i16_sdwa vcc, sext(v6), v1 src0_sel:BYTE_0 src1_sel:DWORD
	v_mov_b32_e32 v1, 0xc7600000
	v_mov_b32_e32 v6, 0x47600000
	v_cndmask_b32_e32 v1, v1, v6, vcc
	v_cmp_eq_u32_e32 vcc, 0, v9
	v_mov_b32_e32 v6, 0x7f800001
	v_cndmask_b32_e32 v1, v6, v1, vcc
; %bb.3484:                             ;   in Loop: Header=BB6_2787 Depth=4
	s_or_b64 exec, exec, s[72:73]
.LBB6_3485:                             ;   in Loop: Header=BB6_2787 Depth=4
	s_or_b64 exec, exec, s[30:31]
.LBB6_3486:                             ;   in Loop: Header=BB6_2787 Depth=4
	s_or_b64 exec, exec, s[70:71]
	v_cmp_ne_u16_sdwa vcc, v0, v51 src0_sel:BYTE_0 src1_sel:DWORD
	s_and_saveexec_b64 s[30:31], vcc
	s_cbranch_execz .LBB6_3494
; %bb.3487:                             ;   in Loop: Header=BB6_2787 Depth=4
	v_cmp_ne_u16_sdwa vcc, v0, s97 src0_sel:BYTE_0 src1_sel:DWORD
	v_bfrev_b32_e32 v8, 1
	s_and_saveexec_b64 s[70:71], vcc
	s_cbranch_execz .LBB6_3493
; %bb.3488:                             ;   in Loop: Header=BB6_2787 Depth=4
	v_and_b32_e32 v8, 0x7c0000, v11
	v_bfe_u32 v6, v11, 16, 2
	v_cmp_ne_u32_e32 vcc, s36, v8
                                        ; implicit-def: $vgpr8
	s_and_saveexec_b64 s[72:73], vcc
	s_xor_b64 s[72:73], exec, s[72:73]
	s_cbranch_execz .LBB6_3490
; %bb.3489:                             ;   in Loop: Header=BB6_2787 Depth=4
	v_ffbh_u32_e32 v8, v6
	v_min_u32_e32 v36, 32, v8
	v_subrev_u32_e32 v8, 29, v36
	v_bfe_u32 v35, v11, 18, 5
	v_lshlrev_b64 v[8:9], v8, v[0:1]
	v_sub_u32_e32 v9, 30, v36
	v_and_b32_e32 v8, 3, v8
	v_cmp_eq_u32_e32 vcc, 0, v35
	v_cndmask_b32_e32 v9, v35, v9, vcc
	v_cndmask_b32_e32 v6, v6, v8, vcc
	v_bfrev_b32_e32 v8, 28
	v_lshlrev_b32_e32 v0, 24, v0
	v_lshl_add_u32 v8, v9, 23, v8
	v_and_or_b32 v0, v0, s96, v8
	v_lshl_or_b32 v8, v6, 21, v0
                                        ; implicit-def: $vgpr6
                                        ; implicit-def: $vgpr0
.LBB6_3490:                             ;   in Loop: Header=BB6_2787 Depth=4
	s_andn2_saveexec_b64 s[72:73], s[72:73]
; %bb.3491:                             ;   in Loop: Header=BB6_2787 Depth=4
	v_mov_b32_e32 v8, -1
	v_cmp_gt_i16_sdwa vcc, sext(v0), v8 src0_sel:BYTE_0 src1_sel:DWORD
	v_mov_b32_e32 v0, 0xc7600000
	v_mov_b32_e32 v8, 0x47600000
	v_cndmask_b32_e32 v0, v0, v8, vcc
	v_cmp_eq_u32_e32 vcc, 0, v6
	v_mov_b32_e32 v6, 0x7f800001
	v_cndmask_b32_e32 v8, v6, v0, vcc
; %bb.3492:                             ;   in Loop: Header=BB6_2787 Depth=4
	s_or_b64 exec, exec, s[72:73]
.LBB6_3493:                             ;   in Loop: Header=BB6_2787 Depth=4
	s_or_b64 exec, exec, s[70:71]
.LBB6_3494:                             ;   in Loop: Header=BB6_2787 Depth=4
	s_or_b64 exec, exec, s[30:31]
	v_max_f32_e32 v0, v8, v8
	v_max_f32_e32 v1, v1, v1
	v_min_f32_e32 v1, v1, v0
.LBB6_3495:                             ;   in Loop: Header=BB6_2787 Depth=4
	v_and_b32_sdwa v6, v1, s97 dst_sel:DWORD dst_unused:UNUSED_PAD src0_sel:BYTE_3 src1_sel:DWORD
	v_and_b32_e32 v36, 0x7f800000, v1
	v_mov_b32_e32 v37, v51
	v_and_b32_e32 v50, 0x7fffff, v1
	v_or_b32_e32 v8, 0x7b, v6
	v_cmp_ne_u64_e32 vcc, s[52:53], v[36:37]
	s_and_saveexec_b64 s[30:31], vcc
	s_xor_b64 s[70:71], exec, s[30:31]
	s_cbranch_execz .LBB6_3505
; %bb.3496:                             ;   in Loop: Header=BB6_2787 Depth=4
	v_and_b32_e32 v36, 0x7fffffff, v1
	v_mov_b32_e32 v37, v51
	v_cmp_gt_u64_e32 vcc, s[54:55], v[36:37]
	s_and_saveexec_b64 s[72:73], vcc
	s_cbranch_execz .LBB6_3504
; %bb.3497:                             ;   in Loop: Header=BB6_2787 Depth=4
	v_cmp_ne_u32_e32 vcc, 0, v1
	v_mov_b32_e32 v8, 0
	s_and_saveexec_b64 s[74:75], vcc
	s_cbranch_execz .LBB6_3503
; %bb.3498:                             ;   in Loop: Header=BB6_2787 Depth=4
	v_bfe_u32 v0, v1, 23, 8
	v_cmp_eq_u32_e32 vcc, 0, v0
	v_add_u32_e32 v1, 0xffffff81, v0
	v_cmp_gt_u32_e64 s[30:31], s38, v0
	v_sub_u32_e32 v0, 0x71, v0
	v_mov_b32_e32 v9, 0xffffff82
	v_cndmask_b32_e64 v0, 0, v0, s[30:31]
	v_cndmask_b32_e32 v35, v1, v9, vcc
	v_mov_b32_e32 v1, 0x70
	v_cndmask_b32_e32 v36, v0, v1, vcc
	v_add_u32_e32 v0, 21, v36
	v_or_b32_e32 v8, 0x800000, v50
	v_lshlrev_b64 v[0:1], v0, -1
	v_cndmask_b32_e32 v50, v8, v50, vcc
	v_not_b32_e32 v1, v1
	v_not_b32_e32 v0, v0
	v_add_u32_e32 v8, 20, v36
	v_and_b32_e32 v1, 0, v1
	v_and_b32_e32 v0, v50, v0
	v_lshlrev_b64 v[8:9], v8, 1
	v_cmp_eq_u64_e32 vcc, v[0:1], v[8:9]
	v_lshrrev_b64 v[0:1], v36, v[50:51]
	v_lshrrev_b32_e32 v8, 23, v0
	v_add3_u32 v35, v36, v35, v8
	v_bfe_u32 v8, v0, 21, 1
	v_add_u32_e32 v8, -1, v8
	v_cndmask_b32_e32 v8, 0, v8, vcc
	v_add_u32_e32 v8, v8, v0
	v_and_b32_e32 v8, 0x1fffff, v8
	v_add_co_u32_e32 v0, vcc, v8, v0
	v_add_u32_e32 v9, 14, v35
	v_addc_co_u32_e32 v1, vcc, 0, v1, vcc
	v_cmp_ne_u32_e32 vcc, 0, v9
                                        ; implicit-def: $vgpr8
	s_and_saveexec_b64 s[30:31], vcc
	s_xor_b64 s[30:31], exec, s[30:31]
; %bb.3499:                             ;   in Loop: Header=BB6_2787 Depth=4
	v_add_u32_e32 v8, 15, v35
	v_cmp_lt_u64_e32 vcc, s[56:57], v[0:1]
	v_cndmask_b32_e32 v8, v9, v8, vcc
	v_cndmask_b32_e64 v9, 0, 1, vcc
	v_lshrrev_b64 v[0:1], v9, v[0:1]
; %bb.3500:                             ;   in Loop: Header=BB6_2787 Depth=4
	s_andn2_saveexec_b64 vcc, s[30:31]
; %bb.3501:                             ;   in Loop: Header=BB6_2787 Depth=4
	v_bfe_u32 v8, v0, 23, 1
; %bb.3502:                             ;   in Loop: Header=BB6_2787 Depth=4
	s_or_b64 exec, exec, vcc
	v_lshrrev_b64 v[0:1], 21, v[0:1]
	v_cmp_gt_i32_e32 vcc, 32, v8
	v_cndmask_b32_e32 v1, 0, v1, vcc
	v_cndmask_b32_e32 v0, 3, v0, vcc
	v_cmp_eq_u64_e64 s[30:31], 0, v[0:1]
	v_min_i32_e32 v1, 31, v8
	v_cmp_eq_u32_e32 vcc, 0, v8
	v_lshlrev_b32_e32 v1, 2, v1
	v_and_or_b32 v0, v0, 3, v1
	s_and_b64 vcc, vcc, s[30:31]
	v_cndmask_b32_e64 v0, v0, 0, vcc
	v_or_b32_e32 v8, v0, v6
.LBB6_3503:                             ;   in Loop: Header=BB6_2787 Depth=4
	s_or_b64 exec, exec, s[74:75]
.LBB6_3504:                             ;   in Loop: Header=BB6_2787 Depth=4
	s_or_b64 exec, exec, s[72:73]
                                        ; implicit-def: $vgpr1
.LBB6_3505:                             ;   in Loop: Header=BB6_2787 Depth=4
	s_andn2_saveexec_b64 s[30:31], s[70:71]
; %bb.3506:                             ;   in Loop: Header=BB6_2787 Depth=4
	v_or_b32_sdwa v0, v1, s39 dst_sel:DWORD dst_unused:UNUSED_PAD src0_sel:BYTE_3 src1_sel:DWORD
	v_cmp_eq_u64_e32 vcc, 0, v[50:51]
	v_cndmask_b32_e32 v8, v0, v8, vcc
; %bb.3507:                             ;   in Loop: Header=BB6_2787 Depth=4
	s_or_b64 exec, exec, s[30:31]
	v_lshrrev_b32_e32 v6, 24, v3
	v_lshrrev_b32_e32 v0, 24, v11
	v_cmp_lt_u64_e64 s[30:31], s[42:43], v[2:3]
	s_and_b64 vcc, exec, s[68:69]
	s_cbranch_vccz .LBB6_3525
; %bb.3508:                             ;   in Loop: Header=BB6_2787 Depth=4
	v_mov_b32_e32 v9, 0
	v_mov_b32_e32 v1, 0
	s_and_saveexec_b64 s[70:71], s[30:31]
	s_cbranch_execz .LBB6_3516
; %bb.3509:                             ;   in Loop: Header=BB6_2787 Depth=4
	v_cmp_ne_u32_e32 vcc, s97, v6
	v_bfrev_b32_e32 v1, 1
	s_and_saveexec_b64 s[72:73], vcc
	s_cbranch_execz .LBB6_3515
; %bb.3510:                             ;   in Loop: Header=BB6_2787 Depth=4
	v_and_b32_e32 v1, 0x7c000000, v3
	v_bfe_u32 v35, v3, 24, 2
	v_cmp_ne_u32_e32 vcc, s37, v1
                                        ; implicit-def: $vgpr1
	s_and_saveexec_b64 s[74:75], vcc
	s_xor_b64 s[74:75], exec, s[74:75]
	s_cbranch_execz .LBB6_3512
; %bb.3511:                             ;   in Loop: Header=BB6_2787 Depth=4
	v_ffbh_u32_e32 v36, v35
	v_min_u32_e32 v38, 32, v36
	v_subrev_u32_e32 v36, 29, v38
	v_bfe_u32 v1, v3, 26, 5
	v_lshlrev_b64 v[36:37], v36, v[6:7]
	v_sub_u32_e32 v37, 30, v38
	v_and_b32_e32 v36, 3, v36
	v_cmp_eq_u32_e32 vcc, 0, v1
	v_cndmask_b32_e32 v1, v1, v37, vcc
	v_cndmask_b32_e32 v35, v35, v36, vcc
	v_bfrev_b32_e32 v36, 28
	v_lshl_add_u32 v1, v1, 23, v36
	v_and_or_b32 v1, v3, s96, v1
	v_lshl_or_b32 v1, v35, 21, v1
                                        ; implicit-def: $vgpr35
.LBB6_3512:                             ;   in Loop: Header=BB6_2787 Depth=4
	s_andn2_saveexec_b64 s[74:75], s[74:75]
; %bb.3513:                             ;   in Loop: Header=BB6_2787 Depth=4
	v_cmp_lt_i64_e32 vcc, -1, v[2:3]
	v_mov_b32_e32 v1, 0xc7600000
	v_mov_b32_e32 v36, 0x47600000
	v_cndmask_b32_e32 v1, v1, v36, vcc
	v_cmp_eq_u32_e32 vcc, 0, v35
	v_mov_b32_e32 v35, 0x7f800001
	v_cndmask_b32_e32 v1, v35, v1, vcc
; %bb.3514:                             ;   in Loop: Header=BB6_2787 Depth=4
	s_or_b64 exec, exec, s[74:75]
.LBB6_3515:                             ;   in Loop: Header=BB6_2787 Depth=4
	s_or_b64 exec, exec, s[72:73]
.LBB6_3516:                             ;   in Loop: Header=BB6_2787 Depth=4
	s_or_b64 exec, exec, s[70:71]
	v_cmp_lt_u64_e32 vcc, s[42:43], v[10:11]
	s_and_saveexec_b64 s[70:71], vcc
	s_cbranch_execz .LBB6_3524
; %bb.3517:                             ;   in Loop: Header=BB6_2787 Depth=4
	v_cmp_ne_u32_e32 vcc, s97, v0
	v_bfrev_b32_e32 v9, 1
	s_and_saveexec_b64 s[72:73], vcc
	s_cbranch_execz .LBB6_3523
; %bb.3518:                             ;   in Loop: Header=BB6_2787 Depth=4
	v_and_b32_e32 v9, 0x7c000000, v11
	v_bfe_u32 v35, v11, 24, 2
	v_cmp_ne_u32_e32 vcc, s37, v9
                                        ; implicit-def: $vgpr9
	s_and_saveexec_b64 s[74:75], vcc
	s_xor_b64 s[74:75], exec, s[74:75]
	s_cbranch_execz .LBB6_3520
; %bb.3519:                             ;   in Loop: Header=BB6_2787 Depth=4
	v_ffbh_u32_e32 v36, v35
	v_min_u32_e32 v38, 32, v36
	v_subrev_u32_e32 v36, 29, v38
	v_bfe_u32 v9, v11, 26, 5
	v_lshlrev_b64 v[36:37], v36, v[0:1]
	v_sub_u32_e32 v37, 30, v38
	v_and_b32_e32 v36, 3, v36
	v_cmp_eq_u32_e32 vcc, 0, v9
	v_cndmask_b32_e32 v9, v9, v37, vcc
	v_cndmask_b32_e32 v35, v35, v36, vcc
	v_bfrev_b32_e32 v36, 28
	v_lshl_add_u32 v9, v9, 23, v36
	v_and_or_b32 v9, v11, s96, v9
	v_lshl_or_b32 v9, v35, 21, v9
                                        ; implicit-def: $vgpr35
.LBB6_3520:                             ;   in Loop: Header=BB6_2787 Depth=4
	s_andn2_saveexec_b64 s[74:75], s[74:75]
; %bb.3521:                             ;   in Loop: Header=BB6_2787 Depth=4
	v_cmp_lt_i64_e32 vcc, -1, v[10:11]
	v_mov_b32_e32 v9, 0xc7600000
	v_mov_b32_e32 v36, 0x47600000
	v_cndmask_b32_e32 v9, v9, v36, vcc
	v_cmp_eq_u32_e32 vcc, 0, v35
	v_mov_b32_e32 v35, 0x7f800001
	v_cndmask_b32_e32 v9, v35, v9, vcc
; %bb.3522:                             ;   in Loop: Header=BB6_2787 Depth=4
	s_or_b64 exec, exec, s[74:75]
.LBB6_3523:                             ;   in Loop: Header=BB6_2787 Depth=4
	s_or_b64 exec, exec, s[72:73]
.LBB6_3524:                             ;   in Loop: Header=BB6_2787 Depth=4
	s_or_b64 exec, exec, s[70:71]
	v_max_f32_e32 v9, v9, v9
	v_max_f32_e32 v1, v1, v1
	;; [unrolled: 1-line block ×3, first 2 shown]
	s_branch .LBB6_3543
.LBB6_3525:                             ;   in Loop: Header=BB6_2787 Depth=4
                                        ; implicit-def: $vgpr1
	s_cbranch_execz .LBB6_3543
; %bb.3526:                             ;   in Loop: Header=BB6_2787 Depth=4
	v_mov_b32_e32 v9, 0
	v_mov_b32_e32 v1, 0
	s_and_saveexec_b64 s[70:71], s[30:31]
	s_cbranch_execz .LBB6_3534
; %bb.3527:                             ;   in Loop: Header=BB6_2787 Depth=4
	v_cmp_ne_u32_e32 vcc, s97, v6
	v_bfrev_b32_e32 v1, 1
	s_and_saveexec_b64 s[30:31], vcc
	s_cbranch_execz .LBB6_3533
; %bb.3528:                             ;   in Loop: Header=BB6_2787 Depth=4
	v_and_b32_e32 v1, 0x7c000000, v3
	v_bfe_u32 v35, v3, 24, 2
	v_cmp_ne_u32_e32 vcc, s37, v1
                                        ; implicit-def: $vgpr1
	s_and_saveexec_b64 s[72:73], vcc
	s_xor_b64 s[72:73], exec, s[72:73]
	s_cbranch_execz .LBB6_3530
; %bb.3529:                             ;   in Loop: Header=BB6_2787 Depth=4
	v_ffbh_u32_e32 v2, v35
	v_min_u32_e32 v2, 32, v2
	v_subrev_u32_e32 v36, 29, v2
	v_bfe_u32 v1, v3, 26, 5
	v_lshlrev_b64 v[36:37], v36, v[6:7]
	v_sub_u32_e32 v2, 30, v2
	v_and_b32_e32 v6, 3, v36
	v_cmp_eq_u32_e32 vcc, 0, v1
	v_cndmask_b32_e32 v1, v1, v2, vcc
	v_cndmask_b32_e32 v2, v35, v6, vcc
	v_bfrev_b32_e32 v6, 28
	v_lshl_add_u32 v1, v1, 23, v6
	v_and_or_b32 v1, v3, s96, v1
	v_lshl_or_b32 v1, v2, 21, v1
                                        ; implicit-def: $vgpr35
                                        ; implicit-def: $vgpr2_vgpr3
.LBB6_3530:                             ;   in Loop: Header=BB6_2787 Depth=4
	s_andn2_saveexec_b64 s[72:73], s[72:73]
; %bb.3531:                             ;   in Loop: Header=BB6_2787 Depth=4
	v_cmp_lt_i64_e32 vcc, -1, v[2:3]
	v_mov_b32_e32 v1, 0xc7600000
	v_mov_b32_e32 v2, 0x47600000
	v_cndmask_b32_e32 v1, v1, v2, vcc
	v_cmp_eq_u32_e32 vcc, 0, v35
	v_mov_b32_e32 v2, 0x7f800001
	v_cndmask_b32_e32 v1, v2, v1, vcc
; %bb.3532:                             ;   in Loop: Header=BB6_2787 Depth=4
	s_or_b64 exec, exec, s[72:73]
.LBB6_3533:                             ;   in Loop: Header=BB6_2787 Depth=4
	s_or_b64 exec, exec, s[30:31]
.LBB6_3534:                             ;   in Loop: Header=BB6_2787 Depth=4
	s_or_b64 exec, exec, s[70:71]
	v_cmp_lt_u64_e32 vcc, s[42:43], v[10:11]
	s_and_saveexec_b64 s[30:31], vcc
	s_cbranch_execz .LBB6_3542
; %bb.3535:                             ;   in Loop: Header=BB6_2787 Depth=4
	v_cmp_ne_u32_e32 vcc, s97, v0
	v_bfrev_b32_e32 v9, 1
	s_and_saveexec_b64 s[70:71], vcc
	s_cbranch_execz .LBB6_3541
; %bb.3536:                             ;   in Loop: Header=BB6_2787 Depth=4
	v_and_b32_e32 v3, 0x7c000000, v11
	v_bfe_u32 v2, v11, 24, 2
	v_cmp_ne_u32_e32 vcc, s37, v3
                                        ; implicit-def: $vgpr9
	s_and_saveexec_b64 s[72:73], vcc
	s_xor_b64 s[72:73], exec, s[72:73]
	s_cbranch_execz .LBB6_3538
; %bb.3537:                             ;   in Loop: Header=BB6_2787 Depth=4
	v_ffbh_u32_e32 v6, v2
	v_min_u32_e32 v6, 32, v6
	v_bfe_u32 v3, v11, 26, 5
	v_subrev_u32_e32 v9, 29, v6
	v_lshlrev_b64 v[36:37], v9, v[0:1]
	v_sub_u32_e32 v0, 30, v6
	v_cmp_eq_u32_e32 vcc, 0, v3
	v_cndmask_b32_e32 v0, v3, v0, vcc
	v_bfrev_b32_e32 v3, 28
	v_and_b32_e32 v6, 3, v36
	v_lshl_add_u32 v0, v0, 23, v3
	v_cndmask_b32_e32 v2, v2, v6, vcc
	v_and_or_b32 v0, v11, s96, v0
	v_lshl_or_b32 v9, v2, 21, v0
                                        ; implicit-def: $vgpr2
                                        ; implicit-def: $vgpr10_vgpr11
.LBB6_3538:                             ;   in Loop: Header=BB6_2787 Depth=4
	s_andn2_saveexec_b64 s[72:73], s[72:73]
; %bb.3539:                             ;   in Loop: Header=BB6_2787 Depth=4
	v_cmp_lt_i64_e32 vcc, -1, v[10:11]
	v_mov_b32_e32 v0, 0xc7600000
	v_mov_b32_e32 v3, 0x47600000
	v_cndmask_b32_e32 v0, v0, v3, vcc
	v_cmp_eq_u32_e32 vcc, 0, v2
	v_mov_b32_e32 v2, 0x7f800001
	v_cndmask_b32_e32 v9, v2, v0, vcc
; %bb.3540:                             ;   in Loop: Header=BB6_2787 Depth=4
	s_or_b64 exec, exec, s[72:73]
.LBB6_3541:                             ;   in Loop: Header=BB6_2787 Depth=4
	s_or_b64 exec, exec, s[70:71]
.LBB6_3542:                             ;   in Loop: Header=BB6_2787 Depth=4
	s_or_b64 exec, exec, s[30:31]
	v_max_f32_e32 v0, v9, v9
	v_max_f32_e32 v1, v1, v1
	v_min_f32_e32 v1, v1, v0
.LBB6_3543:                             ;   in Loop: Header=BB6_2787 Depth=4
	v_and_b32_sdwa v2, v1, s97 dst_sel:DWORD dst_unused:UNUSED_PAD src0_sel:BYTE_3 src1_sel:DWORD
	v_and_b32_e32 v50, 0x7fffff, v1
	v_or_b32_e32 v0, 0x7b, v2
	v_and_b32_e32 v10, 0x7f800000, v1
	v_mov_b32_e32 v11, v51
	v_cmp_ne_u64_e32 vcc, s[52:53], v[10:11]
	s_mov_b64 s[30:31], exec
	s_and_b64 vcc, s[30:31], vcc
	s_xor_b64 s[70:71], vcc, s[30:31]
	v_accvgpr_read_b32 v6, a34
	s_mov_b64 exec, vcc
	s_cbranch_execz .LBB6_3553
; %bb.3544:                             ;   in Loop: Header=BB6_2787 Depth=4
	v_and_b32_e32 v10, 0x7fffffff, v1
	v_mov_b32_e32 v11, v51
	v_cmp_gt_u64_e32 vcc, s[54:55], v[10:11]
	s_and_saveexec_b64 s[72:73], vcc
	s_cbranch_execz .LBB6_3552
; %bb.3545:                             ;   in Loop: Header=BB6_2787 Depth=4
	v_cmp_ne_u32_e32 vcc, 0, v1
	v_mov_b32_e32 v0, 0
	s_and_saveexec_b64 s[74:75], vcc
	s_cbranch_execz .LBB6_3551
; %bb.3546:                             ;   in Loop: Header=BB6_2787 Depth=4
	v_bfe_u32 v0, v1, 23, 8
	v_cmp_eq_u32_e32 vcc, 0, v0
	v_add_u32_e32 v1, 0xffffff81, v0
	v_cmp_gt_u32_e64 s[30:31], s38, v0
	v_sub_u32_e32 v0, 0x71, v0
	v_mov_b32_e32 v6, 0xffffff82
	v_cndmask_b32_e64 v0, 0, v0, s[30:31]
	v_cndmask_b32_e32 v6, v1, v6, vcc
	v_mov_b32_e32 v1, 0x70
	v_cndmask_b32_e32 v9, v0, v1, vcc
	v_add_u32_e32 v0, 21, v9
	v_or_b32_e32 v3, 0x800000, v50
	v_lshlrev_b64 v[0:1], v0, -1
	v_cndmask_b32_e32 v50, v3, v50, vcc
	v_not_b32_e32 v1, v1
	v_not_b32_e32 v0, v0
	v_add_u32_e32 v3, 20, v9
	v_and_b32_e32 v1, 0, v1
	v_and_b32_e32 v0, v50, v0
	v_lshlrev_b64 v[10:11], v3, 1
	v_cmp_eq_u64_e32 vcc, v[0:1], v[10:11]
	v_lshrrev_b64 v[0:1], v9, v[50:51]
	v_lshrrev_b32_e32 v3, 23, v0
	v_add3_u32 v9, v9, v6, v3
	v_bfe_u32 v3, v0, 21, 1
	v_add_u32_e32 v3, -1, v3
	v_cndmask_b32_e32 v3, 0, v3, vcc
	v_add_u32_e32 v3, v3, v0
	v_and_b32_e32 v3, 0x1fffff, v3
	v_add_co_u32_e32 v0, vcc, v3, v0
	v_add_u32_e32 v6, 14, v9
	v_addc_co_u32_e32 v1, vcc, 0, v1, vcc
	v_cmp_ne_u32_e32 vcc, 0, v6
                                        ; implicit-def: $vgpr3
	s_and_saveexec_b64 s[30:31], vcc
	s_xor_b64 s[30:31], exec, s[30:31]
; %bb.3547:                             ;   in Loop: Header=BB6_2787 Depth=4
	v_add_u32_e32 v3, 15, v9
	v_cmp_lt_u64_e32 vcc, s[56:57], v[0:1]
	v_cndmask_b32_e32 v3, v6, v3, vcc
	v_cndmask_b32_e64 v6, 0, 1, vcc
	v_lshrrev_b64 v[0:1], v6, v[0:1]
; %bb.3548:                             ;   in Loop: Header=BB6_2787 Depth=4
	s_andn2_saveexec_b64 vcc, s[30:31]
; %bb.3549:                             ;   in Loop: Header=BB6_2787 Depth=4
	v_bfe_u32 v3, v0, 23, 1
; %bb.3550:                             ;   in Loop: Header=BB6_2787 Depth=4
	s_or_b64 exec, exec, vcc
	v_lshrrev_b64 v[0:1], 21, v[0:1]
	v_cmp_gt_i32_e32 vcc, 32, v3
	v_cndmask_b32_e32 v1, 0, v1, vcc
	v_cndmask_b32_e32 v0, 3, v0, vcc
	v_cmp_eq_u64_e64 s[30:31], 0, v[0:1]
	v_min_i32_e32 v1, 31, v3
	v_lshlrev_b32_e32 v1, 2, v1
	v_cmp_eq_u32_e32 vcc, 0, v3
	v_and_b32_e32 v1, 0xfc, v1
	v_and_or_b32 v0, v0, 3, v1
	s_and_b64 vcc, vcc, s[30:31]
	v_cndmask_b32_e64 v0, v0, 0, vcc
	v_or_b32_e32 v0, v0, v2
	v_accvgpr_read_b32 v6, a34
.LBB6_3551:                             ;   in Loop: Header=BB6_2787 Depth=4
	s_or_b64 exec, exec, s[74:75]
.LBB6_3552:                             ;   in Loop: Header=BB6_2787 Depth=4
	s_or_b64 exec, exec, s[72:73]
                                        ; implicit-def: $vgpr1
.LBB6_3553:                             ;   in Loop: Header=BB6_2787 Depth=4
	s_andn2_saveexec_b64 s[30:31], s[70:71]
	s_cbranch_execz .LBB6_2786
; %bb.3554:                             ;   in Loop: Header=BB6_2787 Depth=4
	v_or_b32_sdwa v1, v1, s39 dst_sel:DWORD dst_unused:UNUSED_PAD src0_sel:BYTE_3 src1_sel:DWORD
	v_cmp_eq_u64_e32 vcc, 0, v[50:51]
	v_cndmask_b32_e32 v0, v1, v0, vcc
	s_branch .LBB6_2786
.LBB6_3555:                             ;   in Loop: Header=BB6_274 Depth=3
	s_or_b64 exec, exec, s[66:67]
.LBB6_3556:                             ;   in Loop: Header=BB6_274 Depth=3
	s_or_b64 exec, exec, s[64:65]
	v_and_b32_e32 v1, 15, v47
	v_cndmask_b32_e64 v3, v24, v1, s[28:29]
	v_cmp_ne_u32_e32 vcc, 0, v3
	s_mov_b64 s[30:31], 0
	v_mov_b32_e32 v9, 0
                                        ; implicit-def: $vgpr2
                                        ; implicit-def: $vgpr0
	s_and_saveexec_b64 s[64:65], vcc
	s_cbranch_execz .LBB6_3558
; %bb.3557:                             ;   in Loop: Header=BB6_274 Depth=3
	v_sub_u32_e32 v0, v24, v1
	v_cndmask_b32_e64 v0, 0, v0, s[28:29]
	v_cmp_lt_i32_e32 vcc, 0, v23
	v_add3_u32 v9, v22, v20, v0
	v_cndmask_b32_e32 v0, 0, v40, vcc
	v_sub_u32_e32 v0, v0, v23
	v_lshl_add_u32 v2, v0, 6, v21
	v_ashrrev_i32_e32 v0, 31, v2
	v_lshrrev_b32_e32 v0, 26, v0
	v_add_u32_e32 v0, v2, v0
	s_mov_b64 s[30:31], exec
	v_ashrrev_i32_e32 v0, 6, v0
.LBB6_3558:                             ;   in Loop: Header=BB6_274 Depth=3
	s_or_b64 exec, exec, s[64:65]
	s_and_b64 s[28:29], s[30:31], exec
.LBB6_3559:                             ;   in Loop: Header=BB6_274 Depth=3
	s_or_b64 exec, exec, s[34:35]
	v_accvgpr_read_b32 v25, a17
	v_accvgpr_read_b32 v24, a16
	s_and_saveexec_b64 s[64:65], s[28:29]
	s_cbranch_execnz .LBB6_345
.LBB6_3560:                             ;   in Loop: Header=BB6_274 Depth=3
	s_or_b64 exec, exec, s[64:65]
	s_and_saveexec_b64 s[28:29], s[10:11]
	s_cbranch_execz .LBB6_1181
.LBB6_3561:                             ;   in Loop: Header=BB6_274 Depth=3
	s_and_saveexec_b64 vcc, s[44:45]
	s_xor_b64 s[30:31], exec, vcc
	s_cbranch_execz .LBB6_3576
; %bb.3562:                             ;   in Loop: Header=BB6_274 Depth=3
	s_and_saveexec_b64 s[34:35], s[16:17]
	s_cbranch_execz .LBB6_3575
; %bb.3563:                             ;   in Loop: Header=BB6_274 Depth=3
	s_mov_b64 s[66:67], exec
	v_mbcnt_lo_u32_b32 v0, s66, 0
	v_mbcnt_hi_u32_b32 v0, s67, v0
	v_cmp_eq_u32_e32 vcc, 0, v0
	s_waitcnt vmcnt(0) lgkmcnt(0)
	buffer_wbinvl1_vol
	s_and_saveexec_b64 s[64:65], vcc
	s_cbranch_execz .LBB6_3565
; %bb.3564:                             ;   in Loop: Header=BB6_274 Depth=3
	s_bcnt1_i32_b64 vcc_lo, s[66:67]
	v_mov_b32_e32 v50, vcc_lo
	ds_add_u64 v0, v[50:51]
	s_trap 2
.LBB6_3565:                             ;   in Loop: Header=BB6_274 Depth=3
	s_or_b64 exec, exec, s[64:65]
	s_trap 2
	ds_read_b64 v[0:1], v0
	v_accvgpr_read_b32 v2, a28
	v_accvgpr_read_b32 v3, a29
	v_add_co_u32_e32 v2, vcc, v2, v40
	v_addc_co_u32_e32 v3, vcc, 0, v3, vcc
	v_accvgpr_write_b32 a29, v3
	v_accvgpr_write_b32 a28, v2
	s_waitcnt lgkmcnt(0)
	v_cmp_lt_u64_e32 vcc, v[0:1], v[2:3]
	s_and_saveexec_b64 s[64:65], vcc
	s_cbranch_execz .LBB6_3574
; %bb.3566:                             ;   in Loop: Header=BB6_274 Depth=3
	s_mov_b32 s76, 0
	s_mov_b64 s[66:67], 0
                                        ; implicit-def: $sgpr68_sgpr69
                                        ; implicit-def: $sgpr70_sgpr71
	s_branch .LBB6_3568
.LBB6_3567:                             ;   in Loop: Header=BB6_3568 Depth=4
	s_or_b64 exec, exec, s[74:75]
	s_and_b64 vcc, exec, vcc
	s_or_b64 s[66:67], vcc, s[66:67]
	s_andn2_b64 vcc, s[68:69], exec
	s_and_b64 s[50:51], s[70:71], exec
	s_or_b64 s[68:69], vcc, s[50:51]
	s_andn2_b64 exec, exec, s[66:67]
	s_cbranch_execz .LBB6_3572
.LBB6_3568:                             ;   Parent Loop BB6_47 Depth=1
                                        ;     Parent Loop BB6_271 Depth=2
                                        ;       Parent Loop BB6_274 Depth=3
                                        ; =>      This Inner Loop Header: Depth=4
	s_add_i32 s76, s76, 1
	s_cmpk_lg_i32 s76, 0x2710
	s_cselect_b64 s[72:73], -1, 0
	s_and_b64 vcc, exec, s[72:73]
                                        ; implicit-def: $sgpr74_sgpr75
	s_cbranch_vccnz .LBB6_3570
; %bb.3569:                             ;   in Loop: Header=BB6_3568 Depth=4
	s_trap 2
	ds_read_b64 v[0:1], v0
	s_andn2_b64 s[50:51], s[72:73], exec
	s_mov_b32 s76, 0
	s_mov_b64 s[74:75], -1
	s_waitcnt lgkmcnt(0)
	flat_load_dword v0, v[0:1] glc
	s_waitcnt vmcnt(0) lgkmcnt(0)
	buffer_invl2
	buffer_wbinvl1_vol
	v_cmp_eq_u32_e32 vcc, 0, v0
	s_and_b64 vcc, vcc, exec
	s_or_b64 s[72:73], s[50:51], vcc
.LBB6_3570:                             ;   in Loop: Header=BB6_3568 Depth=4
	s_andn2_b64 s[50:51], s[70:71], exec
	s_and_b64 s[70:71], s[74:75], exec
	s_mov_b64 vcc, -1
	s_or_b64 s[70:71], s[50:51], s[70:71]
	s_and_saveexec_b64 s[74:75], s[72:73]
	s_cbranch_execz .LBB6_3567
; %bb.3571:                             ;   in Loop: Header=BB6_3568 Depth=4
	s_sleep 1
	s_trap 2
	ds_read_b64 v[0:1], v0
	v_accvgpr_read_b32 v2, a28
	v_accvgpr_read_b32 v3, a29
	s_andn2_b64 s[70:71], s[70:71], exec
	s_waitcnt lgkmcnt(0)
	v_cmp_ge_u64_e32 vcc, v[0:1], v[2:3]
	s_orn2_b64 vcc, vcc, exec
	s_branch .LBB6_3567
.LBB6_3572:                             ;   in Loop: Header=BB6_274 Depth=3
	s_or_b64 exec, exec, s[66:67]
	s_and_saveexec_b64 vcc, s[68:69]
	s_xor_b64 vcc, exec, vcc
	s_cbranch_execz .LBB6_3574
; %bb.3573:                             ;   in Loop: Header=BB6_274 Depth=3
	v_mov_b32_e32 v0, 1
	ds_write_b32 v0, v0
	s_trap 2
.LBB6_3574:                             ;   in Loop: Header=BB6_274 Depth=3
	s_or_b64 exec, exec, s[64:65]
	;;#ASMSTART
	s_wakeup
	;;#ASMEND
.LBB6_3575:                             ;   in Loop: Header=BB6_274 Depth=3
	s_or_b64 exec, exec, s[34:35]
.LBB6_3576:                             ;   in Loop: Header=BB6_274 Depth=3
	s_andn2_saveexec_b64 vcc, s[30:31]
	s_cbranch_execz .LBB6_3578
; %bb.3577:                             ;   in Loop: Header=BB6_274 Depth=3
	s_waitcnt vmcnt(0) lgkmcnt(0)
	buffer_wbinvl1_vol
	s_barrier
.LBB6_3578:                             ;   in Loop: Header=BB6_274 Depth=3
	s_or_b64 exec, exec, vcc
	s_or_b64 exec, exec, s[28:29]
                                        ; implicit-def: $vgpr0
	s_and_saveexec_b64 s[28:29], s[24:25]
	s_xor_b64 s[30:31], exec, s[28:29]
	s_cbranch_execnz .LBB6_1182
.LBB6_3579:                             ;   in Loop: Header=BB6_274 Depth=3
	s_andn2_saveexec_b64 s[28:29], s[30:31]
	s_cbranch_execz .LBB6_3598
.LBB6_3580:                             ;   in Loop: Header=BB6_274 Depth=3
	s_and_saveexec_b64 vcc, s[44:45]
	s_xor_b64 s[30:31], exec, vcc
	s_cbranch_execz .LBB6_3595
; %bb.3581:                             ;   in Loop: Header=BB6_274 Depth=3
	s_and_saveexec_b64 s[34:35], s[16:17]
	s_cbranch_execz .LBB6_3594
; %bb.3582:                             ;   in Loop: Header=BB6_274 Depth=3
	s_mov_b64 s[66:67], exec
	v_mbcnt_lo_u32_b32 v0, s66, 0
	v_mbcnt_hi_u32_b32 v0, s67, v0
	v_cmp_eq_u32_e32 vcc, 0, v0
	;;#ASMSTART
	s_waitcnt lgkmcnt(0) vmcnt(0)
	;;#ASMEND
	s_and_saveexec_b64 s[64:65], vcc
	s_cbranch_execz .LBB6_3584
; %bb.3583:                             ;   in Loop: Header=BB6_274 Depth=3
	s_bcnt1_i32_b64 vcc_lo, s[66:67]
	v_mov_b32_e32 v50, vcc_lo
	ds_add_u64 v0, v[50:51]
	s_trap 2
.LBB6_3584:                             ;   in Loop: Header=BB6_274 Depth=3
	s_or_b64 exec, exec, s[64:65]
	s_trap 2
	ds_read_b64 v[0:1], v0
	v_accvgpr_read_b32 v2, a28
	v_accvgpr_read_b32 v3, a29
	v_add_co_u32_e32 v2, vcc, v2, v40
	v_addc_co_u32_e32 v3, vcc, 0, v3, vcc
	v_accvgpr_write_b32 a29, v3
	v_accvgpr_write_b32 a28, v2
	s_waitcnt lgkmcnt(0)
	v_cmp_lt_u64_e32 vcc, v[0:1], v[2:3]
	s_and_saveexec_b64 s[64:65], vcc
	s_cbranch_execz .LBB6_3593
; %bb.3585:                             ;   in Loop: Header=BB6_274 Depth=3
	s_mov_b32 s76, 0
	s_mov_b64 s[66:67], 0
                                        ; implicit-def: $sgpr68_sgpr69
                                        ; implicit-def: $sgpr70_sgpr71
	s_branch .LBB6_3587
.LBB6_3586:                             ;   in Loop: Header=BB6_3587 Depth=4
	s_or_b64 exec, exec, s[74:75]
	s_and_b64 vcc, exec, vcc
	s_or_b64 s[66:67], vcc, s[66:67]
	s_andn2_b64 vcc, s[68:69], exec
	s_and_b64 s[50:51], s[70:71], exec
	s_or_b64 s[68:69], vcc, s[50:51]
	s_andn2_b64 exec, exec, s[66:67]
	s_cbranch_execz .LBB6_3591
.LBB6_3587:                             ;   Parent Loop BB6_47 Depth=1
                                        ;     Parent Loop BB6_271 Depth=2
                                        ;       Parent Loop BB6_274 Depth=3
                                        ; =>      This Inner Loop Header: Depth=4
	s_add_i32 s76, s76, 1
	s_cmpk_lg_i32 s76, 0x2710
	s_cselect_b64 s[72:73], -1, 0
	s_and_b64 vcc, exec, s[72:73]
                                        ; implicit-def: $sgpr74_sgpr75
	s_cbranch_vccnz .LBB6_3589
; %bb.3588:                             ;   in Loop: Header=BB6_3587 Depth=4
	s_trap 2
	ds_read_b64 v[0:1], v0
	s_andn2_b64 s[50:51], s[72:73], exec
	s_mov_b32 s76, 0
	s_mov_b64 s[74:75], -1
	s_waitcnt vmcnt(0) lgkmcnt(0)
	flat_load_dword v0, v[0:1] glc
	s_waitcnt vmcnt(0) lgkmcnt(0)
	buffer_invl2
	buffer_wbinvl1_vol
	v_cmp_eq_u32_e32 vcc, 0, v0
	s_and_b64 vcc, vcc, exec
	s_or_b64 s[72:73], s[50:51], vcc
.LBB6_3589:                             ;   in Loop: Header=BB6_3587 Depth=4
	s_andn2_b64 s[50:51], s[70:71], exec
	s_and_b64 s[70:71], s[74:75], exec
	s_mov_b64 vcc, -1
	s_or_b64 s[70:71], s[50:51], s[70:71]
	s_and_saveexec_b64 s[74:75], s[72:73]
	s_cbranch_execz .LBB6_3586
; %bb.3590:                             ;   in Loop: Header=BB6_3587 Depth=4
	s_sleep 1
	s_trap 2
	ds_read_b64 v[0:1], v0
	v_accvgpr_read_b32 v2, a28
	v_accvgpr_read_b32 v3, a29
	s_andn2_b64 s[70:71], s[70:71], exec
	s_waitcnt lgkmcnt(0)
	v_cmp_ge_u64_e32 vcc, v[0:1], v[2:3]
	s_orn2_b64 vcc, vcc, exec
	s_branch .LBB6_3586
.LBB6_3591:                             ;   in Loop: Header=BB6_274 Depth=3
	s_or_b64 exec, exec, s[66:67]
	s_and_saveexec_b64 vcc, s[68:69]
	s_xor_b64 vcc, exec, vcc
	s_cbranch_execz .LBB6_3593
; %bb.3592:                             ;   in Loop: Header=BB6_274 Depth=3
	v_mov_b32_e32 v0, 1
	ds_write_b32 v0, v0
	s_trap 2
.LBB6_3593:                             ;   in Loop: Header=BB6_274 Depth=3
	s_or_b64 exec, exec, s[64:65]
	;;#ASMSTART
	s_wakeup
	;;#ASMEND
.LBB6_3594:                             ;   in Loop: Header=BB6_274 Depth=3
	s_or_b64 exec, exec, s[34:35]
.LBB6_3595:                             ;   in Loop: Header=BB6_274 Depth=3
	s_andn2_saveexec_b64 vcc, s[30:31]
	s_cbranch_execz .LBB6_3597
; %bb.3596:                             ;   in Loop: Header=BB6_274 Depth=3
	;;#ASMSTART
	s_waitcnt lgkmcnt(0) vmcnt(0)
	;;#ASMEND
	s_barrier
.LBB6_3597:                             ;   in Loop: Header=BB6_274 Depth=3
	s_or_b64 exec, exec, vcc
	v_and_b32_e32 v0, 16, v46
.LBB6_3598:                             ;   in Loop: Header=BB6_274 Depth=3
	s_or_b64 exec, exec, s[28:29]
	v_cmp_ne_u32_e32 vcc, 0, v0
	s_xor_b64 s[28:29], s[12:13], -1
	s_and_b64 vcc, vcc, s[28:29]
	s_and_saveexec_b64 s[28:29], vcc
	s_cbranch_execz .LBB6_3600
; %bb.3599:                             ;   in Loop: Header=BB6_274 Depth=3
	v_accvgpr_read_b32 v0, a24
	v_accvgpr_read_b32 v1, a25
	v_mov_b32_e32 v2, 1
	flat_store_dword v[0:1], v2
.LBB6_3600:                             ;   in Loop: Header=BB6_274 Depth=3
	s_or_b64 exec, exec, s[28:29]
	v_and_b32_e32 v0, 48, v46
	v_cmp_ne_u32_e32 vcc, 0, v0
	s_and_saveexec_b64 s[28:29], vcc
	s_cbranch_execz .LBB6_273
; %bb.3601:                             ;   in Loop: Header=BB6_274 Depth=3
	v_add_co_u32_e32 v58, vcc, 2, v58
	v_accvgpr_read_b32 v0, a18
	v_addc_co_u32_e32 v59, vcc, 0, v59, vcc
	v_accvgpr_read_b32 v1, a19
	flat_store_dwordx2 v[0:1], v[58:59]
	s_branch .LBB6_273
.LBB6_3602:                             ;   in Loop: Header=BB6_271 Depth=2
	s_or_b64 exec, exec, s[60:61]
.LBB6_3603:                             ;   in Loop: Header=BB6_271 Depth=2
	s_or_b64 exec, exec, s[58:59]
	v_cmp_gt_i32_e32 vcc, 2, v0
	s_and_saveexec_b64 s[30:31], vcc
	s_cbranch_execz .LBB6_270
; %bb.3604:                             ;   in Loop: Header=BB6_271 Depth=2
	v_cmp_eq_u32_e64 s[28:29], 0, v0
	s_mov_b64 s[34:35], 0
	s_branch .LBB6_3606
.LBB6_3605:                             ;   in Loop: Header=BB6_3606 Depth=3
	s_or_b64 exec, exec, s[28:29]
	v_add_u32_e32 v44, v56, v44
	s_mov_b64 s[28:29], 0
	s_andn2_b64 exec, exec, s[34:35]
	s_cbranch_execz .LBB6_269
.LBB6_3606:                             ;   Parent Loop BB6_47 Depth=1
                                        ;     Parent Loop BB6_271 Depth=2
                                        ; =>    This Loop Header: Depth=3
                                        ;         Child Loop BB6_3612 Depth 4
                                        ;         Child Loop BB6_3650 Depth 4
	;; [unrolled: 1-line block ×3, first 2 shown]
	v_and_b32_e32 v0, 12, v46
	s_mov_b64 s[60:61], -1
	v_cmp_ne_u32_e32 vcc, 0, v0
	s_and_saveexec_b64 s[58:59], vcc
	s_cbranch_execz .LBB6_3618
; %bb.3607:                             ;   in Loop: Header=BB6_3606 Depth=3
	v_and_b32_e32 v0, 8, v46
	v_accvgpr_read_b32 v2, a26
	v_accvgpr_read_b32 v3, a27
	v_add_co_u32_e32 v4, vcc, v2, v0
	v_addc_co_u32_e32 v5, vcc, 0, v3, vcc
	v_add_co_u32_e32 v2, vcc, 2, v58
	v_addc_co_u32_e32 v3, vcc, 0, v59, vcc
	v_cmp_lt_u64_e32 vcc, v[4:5], v[2:3]
	v_mov_b32_e32 v1, 1
	s_and_saveexec_b64 s[60:61], vcc
	s_cbranch_execz .LBB6_3617
; %bb.3608:                             ;   in Loop: Header=BB6_3606 Depth=3
	s_mov_b64 s[62:63], 0
	v_mov_b32_e32 v1, 0
                                        ; implicit-def: $sgpr64_sgpr65
	s_branch .LBB6_3612
.LBB6_3609:                             ;   in Loop: Header=BB6_3612 Depth=4
	s_or_b64 exec, exec, s[72:73]
	v_mov_b32_e32 v4, 0
	s_orn2_b64 s[70:71], s[70:71], exec
.LBB6_3610:                             ;   in Loop: Header=BB6_3612 Depth=4
	s_or_b64 exec, exec, s[68:69]
	s_andn2_b64 vcc, s[64:65], exec
	s_and_b64 s[50:51], s[70:71], exec
	s_or_b64 s[64:65], vcc, s[50:51]
	v_mov_b32_e32 v1, v4
.LBB6_3611:                             ;   in Loop: Header=BB6_3612 Depth=4
	s_or_b64 exec, exec, s[66:67]
	s_waitcnt vmcnt(0) lgkmcnt(0)
	v_accvgpr_read_b32 v4, a26
	v_accvgpr_read_b32 v5, a27
	v_add_co_u32_e32 v4, vcc, v4, v0
	v_addc_co_u32_e32 v5, vcc, 0, v5, vcc
	v_cmp_ge_u64_e32 vcc, v[4:5], v[2:3]
	s_xor_b64 s[50:51], s[64:65], -1
	s_or_b64 vcc, s[50:51], vcc
	s_and_b64 vcc, exec, vcc
	s_or_b64 s[62:63], vcc, s[62:63]
	s_andn2_b64 exec, exec, s[62:63]
	s_cbranch_execz .LBB6_3616
.LBB6_3612:                             ;   Parent Loop BB6_47 Depth=1
                                        ;     Parent Loop BB6_271 Depth=2
                                        ;       Parent Loop BB6_3606 Depth=3
                                        ; =>      This Inner Loop Header: Depth=4
	v_accvgpr_read_b32 v4, a18
	v_accvgpr_read_b32 v5, a19
	s_sleep 1
	flat_load_dwordx2 a[26:27], v[4:5] glc
	v_and_b32_e32 v4, 64, v46
	v_cmp_eq_u32_e32 vcc, 0, v4
	s_andn2_b64 s[64:65], s[64:65], exec
	s_and_saveexec_b64 s[66:67], vcc
	s_cbranch_execz .LBB6_3611
; %bb.3613:                             ;   in Loop: Header=BB6_3612 Depth=4
	v_add_u32_e32 v4, 1, v1
	v_cmp_lt_i32_e32 vcc, s91, v1
	s_mov_b64 s[70:71], -1
	s_and_saveexec_b64 s[68:69], vcc
	s_cbranch_execz .LBB6_3610
; %bb.3614:                             ;   in Loop: Header=BB6_3612 Depth=4
	s_trap 2
	ds_read_b64 v[4:5], v0
	s_waitcnt vmcnt(0) lgkmcnt(0)
	flat_load_dword v1, v[4:5] glc
	s_waitcnt vmcnt(0) lgkmcnt(0)
	buffer_invl2
	buffer_wbinvl1_vol
	v_cmp_ne_u32_e32 vcc, 0, v1
	s_and_saveexec_b64 s[72:73], vcc
	s_cbranch_execz .LBB6_3609
; %bb.3615:                             ;   in Loop: Header=BB6_3612 Depth=4
	v_or_b32_e32 v46, 64, v46
	s_xor_b64 s[70:71], exec, -1
	ds_write_b32 v0, v1
	s_trap 2
	s_branch .LBB6_3609
.LBB6_3616:                             ;   in Loop: Header=BB6_3606 Depth=3
	s_or_b64 exec, exec, s[62:63]
	v_and_b32_e32 v1, 12, v46
.LBB6_3617:                             ;   in Loop: Header=BB6_3606 Depth=3
	s_or_b64 exec, exec, s[60:61]
	v_cmp_eq_u32_e32 vcc, 0, v1
	s_orn2_b64 s[60:61], vcc, exec
	;;#ASMSTART
	s_wakeup
	;;#ASMEND
.LBB6_3618:                             ;   in Loop: Header=BB6_3606 Depth=3
	s_or_b64 exec, exec, s[58:59]
	s_xor_b64 s[28:29], s[28:29], -1
	s_and_b64 s[28:29], exec, s[28:29]
	s_or_b64 s[34:35], s[28:29], s[34:35]
	v_sub_u32_e32 v0, v43, v44
	s_xor_b64 s[28:29], s[60:61], -1
	v_min_i32_e32 v56, v56, v0
	s_and_saveexec_b64 s[58:59], s[28:29]
	s_cbranch_execz .LBB6_3642
; %bb.3619:                             ;   in Loop: Header=BB6_3606 Depth=3
	v_and_b32_e32 v0, 0x108, v46
	v_cmp_ne_u32_e32 vcc, s92, v0
	v_and_b32_e32 v0, 7, v58
	s_and_saveexec_b64 s[28:29], vcc
	s_xor_b64 s[28:29], exec, s[28:29]
	s_andn2_saveexec_b64 s[28:29], s[28:29]
	s_cbranch_execz .LBB6_3621
; %bb.3620:                             ;   in Loop: Header=BB6_3606 Depth=3
	v_mad_u64_u32 v[2:3], vcc, v0, 24, v[24:25]
	v_ashrrev_i32_e32 v57, 31, v56
	flat_store_dwordx2 v[2:3], v[56:57] offset:8
.LBB6_3621:                             ;   in Loop: Header=BB6_3606 Depth=3
	s_or_b64 exec, exec, s[28:29]
	v_and_b32_e32 v1, 0x100, v46
	v_cmp_ne_u32_e32 vcc, 0, v1
	s_mov_b64 s[28:29], -1
                                        ; implicit-def: $vgpr2_vgpr3
	s_and_saveexec_b64 s[60:61], vcc
	s_cbranch_execz .LBB6_3625
; %bb.3622:                             ;   in Loop: Header=BB6_3606 Depth=3
	v_mad_u64_u32 v[4:5], s[28:29], v0, 24, v[24:25]
	v_mov_b32_e32 v2, v5
	v_mad_u64_u32 v[2:3], s[28:29], v51, 24, v[2:3]
	v_mov_b32_e32 v5, v2
	flat_load_dword v1, v[4:5]
                                        ; implicit-def: $vgpr2_vgpr3
	s_waitcnt vmcnt(0) lgkmcnt(0)
	v_cmp_ne_u32_e32 vcc, 1, v1
	v_cmp_eq_u32_e64 s[28:29], 1, v1
	s_and_saveexec_b64 s[62:63], s[28:29]
	s_cbranch_execz .LBB6_3624
; %bb.3623:                             ;   in Loop: Header=BB6_3606 Depth=3
	flat_load_dword v2, v[4:5] offset:4 glc
	s_waitcnt vmcnt(0) lgkmcnt(0)
	v_ashrrev_i32_e32 v3, 31, v2
.LBB6_3624:                             ;   in Loop: Header=BB6_3606 Depth=3
	s_or_b64 exec, exec, s[62:63]
	s_orn2_b64 s[28:29], vcc, exec
.LBB6_3625:                             ;   in Loop: Header=BB6_3606 Depth=3
	s_or_b64 exec, exec, s[60:61]
	s_and_saveexec_b64 vcc, s[28:29]
; %bb.3626:                             ;   in Loop: Header=BB6_3606 Depth=3
	v_accvgpr_read_b32 v2, a20
	v_accvgpr_read_b32 v3, a21
	v_mul_lo_u32 v1, v51, v2
	v_mul_lo_u32 v4, v0, v3
	v_mad_u64_u32 v[2:3], s[28:29], v0, v2, 0
	v_add3_u32 v3, v3, v4, v1
; %bb.3627:                             ;   in Loop: Header=BB6_3606 Depth=3
	s_or_b64 exec, exec, vcc
	v_accvgpr_read_b32 v0, a22
	v_accvgpr_read_b32 v1, a23
	v_add_co_u32_e32 v0, vcc, v0, v2
	v_addc_co_u32_e32 v1, vcc, v1, v3, vcc
	s_trap 2
	ds_write_b64 v0, v[0:1]
	v_and_b32_e32 v0, 0x2000, v46
	v_cmp_ne_u32_e32 vcc, 0, v0
	s_and_saveexec_b64 s[28:29], vcc
	s_cbranch_execz .LBB6_3629
; %bb.3628:                             ;   in Loop: Header=BB6_3606 Depth=3
	ds_read_b64 v[0:1], v0 offset:584
	s_waitcnt lgkmcnt(0)
	v_add_co_u32_e32 v0, vcc, 1, v0
	v_addc_co_u32_e32 v1, vcc, 0, v1, vcc
	ds_write_b64 v0, v[0:1] offset:584
.LBB6_3629:                             ;   in Loop: Header=BB6_3606 Depth=3
	s_or_b64 exec, exec, s[28:29]
	v_add_co_u32_e32 v58, vcc, 2, v58
	v_addc_co_u32_e32 v59, vcc, 0, v59, vcc
	s_or_b64 exec, exec, s[58:59]
	s_and_saveexec_b64 s[28:29], s[10:11]
	s_cbranch_execnz .LBB6_3643
.LBB6_3630:                             ;   in Loop: Header=BB6_3606 Depth=3
	s_or_b64 exec, exec, s[28:29]
                                        ; implicit-def: $vgpr0
	s_and_saveexec_b64 s[28:29], s[48:49]
	s_xor_b64 s[28:29], exec, s[28:29]
	s_cbranch_execz .LBB6_3668
.LBB6_3631:                             ;   in Loop: Header=BB6_3606 Depth=3
	s_and_saveexec_b64 vcc, s[44:45]
	s_xor_b64 s[58:59], exec, vcc
	s_cbranch_execz .LBB6_3658
; %bb.3632:                             ;   in Loop: Header=BB6_3606 Depth=3
	s_and_saveexec_b64 s[60:61], s[16:17]
	s_cbranch_execz .LBB6_3657
; %bb.3633:                             ;   in Loop: Header=BB6_3606 Depth=3
	s_mov_b64 s[64:65], exec
	v_mbcnt_lo_u32_b32 v0, s64, 0
	v_mbcnt_hi_u32_b32 v0, s65, v0
	v_cmp_eq_u32_e32 vcc, 0, v0
	;;#ASMSTART
	s_waitcnt lgkmcnt(0) vmcnt(0)
	;;#ASMEND
	s_and_saveexec_b64 s[62:63], vcc
	s_cbranch_execz .LBB6_3635
; %bb.3634:                             ;   in Loop: Header=BB6_3606 Depth=3
	s_bcnt1_i32_b64 s27, s[64:65]
	v_mov_b32_e32 v50, s27
	ds_add_u64 v0, v[50:51]
	s_trap 2
.LBB6_3635:                             ;   in Loop: Header=BB6_3606 Depth=3
	s_or_b64 exec, exec, s[62:63]
	s_trap 2
	ds_read_b64 v[0:1], v0
	v_accvgpr_read_b32 v2, a28
	v_accvgpr_read_b32 v3, a29
	v_add_co_u32_e32 v2, vcc, v2, v40
	v_addc_co_u32_e32 v3, vcc, 0, v3, vcc
	v_accvgpr_write_b32 a29, v3
	v_accvgpr_write_b32 a28, v2
	s_waitcnt lgkmcnt(0)
	v_cmp_lt_u64_e32 vcc, v[0:1], v[2:3]
	s_and_saveexec_b64 s[62:63], vcc
	s_cbranch_execz .LBB6_3656
; %bb.3636:                             ;   in Loop: Header=BB6_3606 Depth=3
	s_mov_b32 s27, 0
	s_mov_b64 s[64:65], 0
                                        ; implicit-def: $sgpr66_sgpr67
                                        ; implicit-def: $sgpr68_sgpr69
	s_branch .LBB6_3638
.LBB6_3637:                             ;   in Loop: Header=BB6_3638 Depth=4
	s_or_b64 exec, exec, s[72:73]
	s_and_b64 vcc, exec, vcc
	s_or_b64 s[64:65], vcc, s[64:65]
	s_andn2_b64 vcc, s[66:67], exec
	s_and_b64 s[50:51], s[68:69], exec
	s_or_b64 s[66:67], vcc, s[50:51]
	s_andn2_b64 exec, exec, s[64:65]
	s_cbranch_execz .LBB6_3654
.LBB6_3638:                             ;   Parent Loop BB6_47 Depth=1
                                        ;     Parent Loop BB6_271 Depth=2
                                        ;       Parent Loop BB6_3606 Depth=3
                                        ; =>      This Inner Loop Header: Depth=4
	s_add_i32 s27, s27, 1
	s_cmpk_lg_i32 s27, 0x2710
	s_cselect_b64 s[70:71], -1, 0
	s_and_b64 vcc, exec, s[70:71]
                                        ; implicit-def: $sgpr72_sgpr73
	s_cbranch_vccnz .LBB6_3640
; %bb.3639:                             ;   in Loop: Header=BB6_3638 Depth=4
	s_trap 2
	ds_read_b64 v[0:1], v0
	s_andn2_b64 s[50:51], s[70:71], exec
	s_mov_b32 s27, 0
	s_mov_b64 s[72:73], -1
	s_waitcnt vmcnt(0) lgkmcnt(0)
	flat_load_dword v0, v[0:1] glc
	s_waitcnt vmcnt(0) lgkmcnt(0)
	buffer_invl2
	buffer_wbinvl1_vol
	v_cmp_eq_u32_e32 vcc, 0, v0
	s_and_b64 vcc, vcc, exec
	s_or_b64 s[70:71], s[50:51], vcc
.LBB6_3640:                             ;   in Loop: Header=BB6_3638 Depth=4
	s_andn2_b64 s[50:51], s[68:69], exec
	s_and_b64 s[68:69], s[72:73], exec
	s_mov_b64 vcc, -1
	s_or_b64 s[68:69], s[50:51], s[68:69]
	s_and_saveexec_b64 s[72:73], s[70:71]
	s_cbranch_execz .LBB6_3637
; %bb.3641:                             ;   in Loop: Header=BB6_3638 Depth=4
	s_sleep 1
	s_trap 2
	ds_read_b64 v[0:1], v0
	v_accvgpr_read_b32 v2, a28
	v_accvgpr_read_b32 v3, a29
	s_andn2_b64 s[68:69], s[68:69], exec
	s_waitcnt lgkmcnt(0)
	v_cmp_ge_u64_e32 vcc, v[0:1], v[2:3]
	s_orn2_b64 vcc, vcc, exec
	s_branch .LBB6_3637
.LBB6_3642:                             ;   in Loop: Header=BB6_3606 Depth=3
	s_or_b64 exec, exec, s[58:59]
	s_and_saveexec_b64 s[28:29], s[10:11]
	s_cbranch_execz .LBB6_3630
.LBB6_3643:                             ;   in Loop: Header=BB6_3606 Depth=3
	s_and_saveexec_b64 vcc, s[44:45]
	s_xor_b64 s[58:59], exec, vcc
	s_cbranch_execz .LBB6_3665
; %bb.3644:                             ;   in Loop: Header=BB6_3606 Depth=3
	s_and_saveexec_b64 s[60:61], s[16:17]
	s_cbranch_execz .LBB6_3664
; %bb.3645:                             ;   in Loop: Header=BB6_3606 Depth=3
	s_mov_b64 s[64:65], exec
	v_mbcnt_lo_u32_b32 v0, s64, 0
	v_mbcnt_hi_u32_b32 v0, s65, v0
	v_cmp_eq_u32_e32 vcc, 0, v0
	s_waitcnt vmcnt(0) lgkmcnt(0)
	buffer_wbinvl1_vol
	s_and_saveexec_b64 s[62:63], vcc
	s_cbranch_execz .LBB6_3647
; %bb.3646:                             ;   in Loop: Header=BB6_3606 Depth=3
	s_bcnt1_i32_b64 s27, s[64:65]
	v_mov_b32_e32 v50, s27
	ds_add_u64 v0, v[50:51]
	s_trap 2
.LBB6_3647:                             ;   in Loop: Header=BB6_3606 Depth=3
	s_or_b64 exec, exec, s[62:63]
	s_trap 2
	ds_read_b64 v[0:1], v0
	v_accvgpr_read_b32 v2, a28
	v_accvgpr_read_b32 v3, a29
	v_add_co_u32_e32 v2, vcc, v2, v40
	v_addc_co_u32_e32 v3, vcc, 0, v3, vcc
	v_accvgpr_write_b32 a29, v3
	v_accvgpr_write_b32 a28, v2
	s_waitcnt lgkmcnt(0)
	v_cmp_lt_u64_e32 vcc, v[0:1], v[2:3]
	s_and_saveexec_b64 s[62:63], vcc
	s_cbranch_execz .LBB6_3663
; %bb.3648:                             ;   in Loop: Header=BB6_3606 Depth=3
	s_mov_b32 s27, 0
	s_mov_b64 s[64:65], 0
                                        ; implicit-def: $sgpr66_sgpr67
                                        ; implicit-def: $sgpr68_sgpr69
	s_branch .LBB6_3650
.LBB6_3649:                             ;   in Loop: Header=BB6_3650 Depth=4
	s_or_b64 exec, exec, s[72:73]
	s_and_b64 vcc, exec, vcc
	s_or_b64 s[64:65], vcc, s[64:65]
	s_andn2_b64 vcc, s[66:67], exec
	s_and_b64 s[50:51], s[68:69], exec
	s_or_b64 s[66:67], vcc, s[50:51]
	s_andn2_b64 exec, exec, s[64:65]
	s_cbranch_execz .LBB6_3661
.LBB6_3650:                             ;   Parent Loop BB6_47 Depth=1
                                        ;     Parent Loop BB6_271 Depth=2
                                        ;       Parent Loop BB6_3606 Depth=3
                                        ; =>      This Inner Loop Header: Depth=4
	s_add_i32 s27, s27, 1
	s_cmpk_lg_i32 s27, 0x2710
	s_cselect_b64 s[70:71], -1, 0
	s_and_b64 vcc, exec, s[70:71]
                                        ; implicit-def: $sgpr72_sgpr73
	s_cbranch_vccnz .LBB6_3652
; %bb.3651:                             ;   in Loop: Header=BB6_3650 Depth=4
	s_trap 2
	ds_read_b64 v[0:1], v0
	s_andn2_b64 s[50:51], s[70:71], exec
	s_mov_b32 s27, 0
	s_mov_b64 s[72:73], -1
	s_waitcnt lgkmcnt(0)
	flat_load_dword v0, v[0:1] glc
	s_waitcnt vmcnt(0) lgkmcnt(0)
	buffer_invl2
	buffer_wbinvl1_vol
	v_cmp_eq_u32_e32 vcc, 0, v0
	s_and_b64 vcc, vcc, exec
	s_or_b64 s[70:71], s[50:51], vcc
.LBB6_3652:                             ;   in Loop: Header=BB6_3650 Depth=4
	s_andn2_b64 s[50:51], s[68:69], exec
	s_and_b64 s[68:69], s[72:73], exec
	s_mov_b64 vcc, -1
	s_or_b64 s[68:69], s[50:51], s[68:69]
	s_and_saveexec_b64 s[72:73], s[70:71]
	s_cbranch_execz .LBB6_3649
; %bb.3653:                             ;   in Loop: Header=BB6_3650 Depth=4
	s_sleep 1
	s_trap 2
	ds_read_b64 v[0:1], v0
	v_accvgpr_read_b32 v2, a28
	v_accvgpr_read_b32 v3, a29
	s_andn2_b64 s[68:69], s[68:69], exec
	s_waitcnt lgkmcnt(0)
	v_cmp_ge_u64_e32 vcc, v[0:1], v[2:3]
	s_orn2_b64 vcc, vcc, exec
	s_branch .LBB6_3649
.LBB6_3654:                             ;   in Loop: Header=BB6_3606 Depth=3
	s_or_b64 exec, exec, s[64:65]
	s_and_saveexec_b64 vcc, s[66:67]
	s_xor_b64 vcc, exec, vcc
	s_cbranch_execz .LBB6_3656
; %bb.3655:                             ;   in Loop: Header=BB6_3606 Depth=3
	v_mov_b32_e32 v0, 1
	ds_write_b32 v0, v0
	s_trap 2
.LBB6_3656:                             ;   in Loop: Header=BB6_3606 Depth=3
	s_or_b64 exec, exec, s[62:63]
	;;#ASMSTART
	s_wakeup
	;;#ASMEND
.LBB6_3657:                             ;   in Loop: Header=BB6_3606 Depth=3
	s_or_b64 exec, exec, s[60:61]
.LBB6_3658:                             ;   in Loop: Header=BB6_3606 Depth=3
	s_andn2_saveexec_b64 vcc, s[58:59]
	s_cbranch_execz .LBB6_3660
; %bb.3659:                             ;   in Loop: Header=BB6_3606 Depth=3
	;;#ASMSTART
	s_waitcnt lgkmcnt(0) vmcnt(0)
	;;#ASMEND
	s_barrier
.LBB6_3660:                             ;   in Loop: Header=BB6_3606 Depth=3
	s_or_b64 exec, exec, vcc
	v_and_b32_e32 v0, 16, v46
	s_andn2_saveexec_b64 s[28:29], s[28:29]
	s_cbranch_execz .LBB6_3672
	s_branch .LBB6_3669
.LBB6_3661:                             ;   in Loop: Header=BB6_3606 Depth=3
	s_or_b64 exec, exec, s[64:65]
	s_and_saveexec_b64 vcc, s[66:67]
	s_xor_b64 vcc, exec, vcc
	s_cbranch_execz .LBB6_3663
; %bb.3662:                             ;   in Loop: Header=BB6_3606 Depth=3
	v_mov_b32_e32 v0, 1
	ds_write_b32 v0, v0
	s_trap 2
.LBB6_3663:                             ;   in Loop: Header=BB6_3606 Depth=3
	s_or_b64 exec, exec, s[62:63]
	;;#ASMSTART
	s_wakeup
	;;#ASMEND
.LBB6_3664:                             ;   in Loop: Header=BB6_3606 Depth=3
	s_or_b64 exec, exec, s[60:61]
.LBB6_3665:                             ;   in Loop: Header=BB6_3606 Depth=3
	s_andn2_saveexec_b64 vcc, s[58:59]
	s_cbranch_execz .LBB6_3667
; %bb.3666:                             ;   in Loop: Header=BB6_3606 Depth=3
	s_waitcnt vmcnt(0) lgkmcnt(0)
	buffer_wbinvl1_vol
	s_barrier
.LBB6_3667:                             ;   in Loop: Header=BB6_3606 Depth=3
	s_or_b64 exec, exec, vcc
	s_or_b64 exec, exec, s[28:29]
                                        ; implicit-def: $vgpr0
	s_and_saveexec_b64 s[28:29], s[48:49]
	s_xor_b64 s[28:29], exec, s[28:29]
	s_cbranch_execnz .LBB6_3631
.LBB6_3668:                             ;   in Loop: Header=BB6_3606 Depth=3
	s_andn2_saveexec_b64 s[28:29], s[28:29]
	s_cbranch_execz .LBB6_3672
.LBB6_3669:                             ;   in Loop: Header=BB6_3606 Depth=3
	s_trap 2
	ds_read_b32 v1, v0
	v_cmp_lt_i32_e32 vcc, 0, v56
	v_and_b32_e32 v2, 16, v46
	v_and_b32_e32 v0, 16, v46
	s_waitcnt lgkmcnt(0)
	v_readfirstlane_b32 s27, v1
	s_cmp_eq_u32 s27, 0
	s_cselect_b64 s[50:51], -1, 0
	s_and_b64 s[50:51], vcc, s[50:51]
	v_cmp_ne_u32_e32 vcc, 0, v2
	s_and_b64 s[50:51], vcc, s[50:51]
	s_and_saveexec_b64 vcc, s[50:51]
	s_cbranch_execz .LBB6_3671
; %bb.3670:                             ;   in Loop: Header=BB6_3606 Depth=3
	v_mov_b32_e32 v0, 1
	s_waitcnt vmcnt(0)
	buffer_wbinvl1_vol
.LBB6_3671:                             ;   in Loop: Header=BB6_3606 Depth=3
	s_or_b64 exec, exec, vcc
.LBB6_3672:                             ;   in Loop: Header=BB6_3606 Depth=3
	s_or_b64 exec, exec, s[28:29]
	v_cmp_ne_u32_e32 vcc, 0, v0
	s_xor_b64 s[28:29], s[12:13], -1
	s_and_b64 vcc, vcc, s[28:29]
	s_and_saveexec_b64 s[28:29], vcc
	s_cbranch_execz .LBB6_3674
; %bb.3673:                             ;   in Loop: Header=BB6_3606 Depth=3
	v_accvgpr_read_b32 v0, a24
	v_accvgpr_read_b32 v1, a25
	v_mov_b32_e32 v2, 1
	flat_store_dword v[0:1], v2
.LBB6_3674:                             ;   in Loop: Header=BB6_3606 Depth=3
	s_or_b64 exec, exec, s[28:29]
	v_and_b32_e32 v0, 48, v46
	v_cmp_ne_u32_e32 vcc, 0, v0
	s_and_saveexec_b64 s[28:29], vcc
	s_cbranch_execz .LBB6_3605
; %bb.3675:                             ;   in Loop: Header=BB6_3606 Depth=3
	v_add_co_u32_e32 v58, vcc, 2, v58
	v_accvgpr_read_b32 v0, a18
	v_addc_co_u32_e32 v59, vcc, 0, v59, vcc
	v_accvgpr_read_b32 v1, a19
	flat_store_dwordx2 v[0:1], v[58:59]
	s_branch .LBB6_3605
.LBB6_3676:                             ;   in Loop: Header=BB6_47 Depth=1
	buffer_load_dword v4, off, s[0:3], s33 offset:180 ; 4-byte Folded Reload
	buffer_load_dword v5, off, s[0:3], s33 offset:184 ; 4-byte Folded Reload
	v_readlane_b32 s26, v61, 11
	v_mov_b32_e32 v23, 0
	s_waitcnt vmcnt(0)
	v_mul_lo_u32 v2, v5, s78
	v_mul_lo_u32 v3, v4, s26
	v_mad_u64_u32 v[0:1], s[26:27], v4, s78, 0
	v_add3_u32 v1, v1, v3, v2
	buffer_load_dword v2, off, s[0:3], s33 offset:172 ; 4-byte Folded Reload
	buffer_load_dword v3, off, s[0:3], s33 offset:176 ; 4-byte Folded Reload
	v_readlane_b32 s26, v61, 19
	v_readlane_b32 s27, v61, 20
	s_waitcnt vmcnt(0)
	v_sub_co_u32_e32 v2, vcc, v2, v0
	v_subb_co_u32_e32 v3, vcc, v3, v1, vcc
	v_cmp_lt_i64_e32 vcc, v[4:5], v[2:3]
	v_cndmask_b32_e32 v2, v2, v4, vcc
	v_max_i32_e32 v22, 0, v2
	v_add_u32_e32 v3, 31, v22
	v_lshrrev_b32_e32 v3, 1, v3
	v_and_b32_e32 v3, 0x3ffffff0, v3
	v_cmp_lt_i32_e32 vcc, 0, v2
	v_max_i32_e32 v56, s87, v3
	s_and_b64 s[26:27], s[26:27], vcc
	v_mov_b32_e32 v2, 0
	s_and_saveexec_b64 s[58:59], s[26:27]
	s_cbranch_execnz .LBB6_3677
; %bb.10819:                            ;   in Loop: Header=BB6_47 Depth=1
	s_getpc_b64 s[98:99]
.Lpost_getpc20:
	s_add_u32 s98, s98, (.LBB6_10231-.Lpost_getpc20)&4294967295
	s_addc_u32 s99, s99, (.LBB6_10231-.Lpost_getpc20)>>32
	s_setpc_b64 s[98:99]
.LBB6_3677:                             ;   in Loop: Header=BB6_47 Depth=1
	v_accvgpr_read_b32 v2, a53
	v_add_co_u32_e32 v0, vcc, v0, v2
	v_accvgpr_write_b32 a63, v0
	v_accvgpr_read_b32 v0, a60
	v_addc_co_u32_e32 v0, vcc, v1, v0, vcc
	v_accvgpr_write_b32 a10, v0
	s_mov_b32 s26, 1
	s_mov_b64 s[62:63], -1
	s_mov_b64 s[60:61], 0
	v_mov_b32_e32 v23, 0
	v_accvgpr_write_b32 a61, v22
	s_branch .LBB6_3679
.LBB6_3678:                             ;   in Loop: Header=BB6_3679 Depth=2
	s_or_b64 exec, exec, s[28:29]
	v_add_u32_e32 v23, v56, v23
	v_cmp_ge_i32_e32 vcc, v23, v22
	s_xor_b64 s[28:29], s[62:63], -1
	s_or_b64 s[28:29], s[28:29], vcc
	s_and_b64 s[28:29], exec, s[28:29]
	s_or_b64 s[60:61], s[28:29], s[60:61]
	s_mov_b64 s[62:63], 0
	v_mov_b32_e32 v2, s26
	s_mov_b32 s26, 2
	s_andn2_b64 exec, exec, s[60:61]
	s_cbranch_execnz .LBB6_3679
; %bb.10821:                            ;   in Loop: Header=BB6_47 Depth=1
	s_getpc_b64 s[98:99]
.Lpost_getpc21:
	s_add_u32 s98, s98, (.LBB6_10230-.Lpost_getpc21)&4294967295
	s_addc_u32 s99, s99, (.LBB6_10230-.Lpost_getpc21)>>32
	s_setpc_b64 s[98:99]
.LBB6_3679:                             ;   Parent Loop BB6_47 Depth=1
                                        ; =>  This Loop Header: Depth=2
                                        ;       Child Loop BB6_3687 Depth 3
                                        ;       Child Loop BB6_3713 Depth 3
                                        ;       Child Loop BB6_3732 Depth 3
                                        ;       Child Loop BB6_7023 Depth 3
                                        ;       Child Loop BB6_8564 Depth 3
                                        ;       Child Loop BB6_9340 Depth 3
                                        ;       Child Loop BB6_10177 Depth 3
                                        ;       Child Loop BB6_3768 Depth 3
                                        ;       Child Loop BB6_5342 Depth 3
                                        ;         Child Loop BB6_6111 Depth 4
                                        ;       Child Loop BB6_6121 Depth 3
                                        ;       Child Loop BB6_6957 Depth 3
                                        ;         Child Loop BB6_7010 Depth 4
                                        ;       Child Loop BB6_3760 Depth 3
                                        ;       Child Loop BB6_5323 Depth 3
	s_and_saveexec_b64 s[28:29], s[4:5]
	s_cbranch_execz .LBB6_3681
; %bb.3680:                             ;   in Loop: Header=BB6_3679 Depth=2
	s_trap 2
	ds_read2_b64 v[0:3], v0 offset1:1
	v_accvgpr_read_b32 v7, a63
	v_accvgpr_read_b32 v8, a10
	v_ashrrev_i32_e32 v6, 31, v23
	s_waitcnt lgkmcnt(0)
	ds_read_b64 v[4:5], v0
	v_add_co_u32_e32 v0, vcc, v0, v7
	v_addc_co_u32_e32 v1, vcc, v1, v8, vcc
	v_add_co_u32_e32 v0, vcc, v0, v23
	v_addc_co_u32_e32 v1, vcc, v1, v6, vcc
	ds_write_b64 v0, v[0:1]
	v_add_co_u32_e32 v0, vcc, v2, v7
	v_addc_co_u32_e32 v1, vcc, v3, v8, vcc
	v_add_co_u32_e32 v0, vcc, v0, v23
	v_addc_co_u32_e32 v1, vcc, v1, v6, vcc
	ds_write_b64 v0, v[0:1]
	s_waitcnt lgkmcnt(0)
	v_add_co_u32_e32 v0, vcc, v4, v7
	v_addc_co_u32_e32 v1, vcc, v5, v8, vcc
	v_add_co_u32_e32 v0, vcc, v0, v23
	v_addc_co_u32_e32 v1, vcc, v1, v6, vcc
	v_cmp_ne_u64_e32 vcc, 0, v[4:5]
	v_cndmask_b32_e32 v1, 0, v1, vcc
	v_cndmask_b32_e32 v0, 0, v0, vcc
	ds_write_b64 v0, v[0:1]
.LBB6_3681:                             ;   in Loop: Header=BB6_3679 Depth=2
	s_or_b64 exec, exec, s[28:29]
	v_and_b32_e32 v0, 12, v46
	v_cmp_ne_u32_e32 vcc, 0, v0
	s_mov_b64 s[30:31], -1
	s_and_saveexec_b64 s[28:29], vcc
	s_cbranch_execz .LBB6_3693
; %bb.3682:                             ;   in Loop: Header=BB6_3679 Depth=2
	v_and_b32_e32 v0, 8, v46
	v_accvgpr_read_b32 v2, a26
	v_accvgpr_read_b32 v3, a27
	v_add_co_u32_e32 v4, vcc, v2, v0
	v_addc_co_u32_e32 v5, vcc, 0, v3, vcc
	v_add_co_u32_e32 v2, vcc, 2, v58
	v_addc_co_u32_e32 v3, vcc, 0, v59, vcc
	v_cmp_lt_u64_e32 vcc, v[4:5], v[2:3]
	v_mov_b32_e32 v1, 1
	s_and_saveexec_b64 s[30:31], vcc
	s_cbranch_execz .LBB6_3692
; %bb.3683:                             ;   in Loop: Header=BB6_3679 Depth=2
	s_mov_b64 s[34:35], 0
	v_mov_b32_e32 v1, 0
                                        ; implicit-def: $sgpr64_sgpr65
	s_branch .LBB6_3687
.LBB6_3684:                             ;   in Loop: Header=BB6_3687 Depth=3
	s_or_b64 exec, exec, s[72:73]
	v_mov_b32_e32 v4, 0
	s_orn2_b64 s[70:71], s[70:71], exec
.LBB6_3685:                             ;   in Loop: Header=BB6_3687 Depth=3
	s_or_b64 exec, exec, s[68:69]
	s_andn2_b64 vcc, s[64:65], exec
	s_and_b64 s[64:65], s[70:71], exec
	s_or_b64 s[64:65], vcc, s[64:65]
	v_mov_b32_e32 v1, v4
.LBB6_3686:                             ;   in Loop: Header=BB6_3687 Depth=3
	s_or_b64 exec, exec, s[66:67]
	s_waitcnt vmcnt(0) lgkmcnt(0)
	v_accvgpr_read_b32 v4, a26
	v_accvgpr_read_b32 v5, a27
	v_add_co_u32_e32 v4, vcc, v4, v0
	v_addc_co_u32_e32 v5, vcc, 0, v5, vcc
	v_cmp_ge_u64_e32 vcc, v[4:5], v[2:3]
	s_xor_b64 s[66:67], s[64:65], -1
	s_or_b64 vcc, s[66:67], vcc
	s_and_b64 vcc, exec, vcc
	s_or_b64 s[34:35], vcc, s[34:35]
	s_andn2_b64 exec, exec, s[34:35]
	s_cbranch_execz .LBB6_3691
.LBB6_3687:                             ;   Parent Loop BB6_47 Depth=1
                                        ;     Parent Loop BB6_3679 Depth=2
                                        ; =>    This Inner Loop Header: Depth=3
	v_accvgpr_read_b32 v4, a18
	v_accvgpr_read_b32 v5, a19
	s_sleep 1
	flat_load_dwordx2 a[26:27], v[4:5] glc
	v_and_b32_e32 v4, 64, v46
	v_cmp_eq_u32_e32 vcc, 0, v4
	s_andn2_b64 s[64:65], s[64:65], exec
	s_and_saveexec_b64 s[66:67], vcc
	s_cbranch_execz .LBB6_3686
; %bb.3688:                             ;   in Loop: Header=BB6_3687 Depth=3
	v_add_u32_e32 v4, 1, v1
	v_cmp_lt_i32_e32 vcc, s91, v1
	s_mov_b64 s[70:71], -1
	s_and_saveexec_b64 s[68:69], vcc
	s_cbranch_execz .LBB6_3685
; %bb.3689:                             ;   in Loop: Header=BB6_3687 Depth=3
	s_trap 2
	ds_read_b64 v[4:5], v0
	s_waitcnt vmcnt(0) lgkmcnt(0)
	flat_load_dword v1, v[4:5] glc
	s_waitcnt vmcnt(0) lgkmcnt(0)
	buffer_invl2
	buffer_wbinvl1_vol
	v_cmp_ne_u32_e32 vcc, 0, v1
	s_and_saveexec_b64 s[72:73], vcc
	s_cbranch_execz .LBB6_3684
; %bb.3690:                             ;   in Loop: Header=BB6_3687 Depth=3
	v_or_b32_e32 v46, 64, v46
	s_xor_b64 s[70:71], exec, -1
	ds_write_b32 v0, v1
	s_trap 2
	s_branch .LBB6_3684
.LBB6_3691:                             ;   in Loop: Header=BB6_3679 Depth=2
	s_or_b64 exec, exec, s[34:35]
	v_and_b32_e32 v1, 12, v46
.LBB6_3692:                             ;   in Loop: Header=BB6_3679 Depth=2
	s_or_b64 exec, exec, s[30:31]
	v_cmp_eq_u32_e32 vcc, 0, v1
	s_orn2_b64 s[30:31], vcc, exec
	;;#ASMSTART
	s_wakeup
	;;#ASMEND
.LBB6_3693:                             ;   in Loop: Header=BB6_3679 Depth=2
	s_or_b64 exec, exec, s[28:29]
	v_sub_u32_e32 v0, v22, v23
	s_xor_b64 s[28:29], s[30:31], -1
	v_min_i32_e32 v56, v56, v0
	s_and_saveexec_b64 s[30:31], s[28:29]
	s_cbranch_execz .LBB6_3705
; %bb.3694:                             ;   in Loop: Header=BB6_3679 Depth=2
	v_and_b32_e32 v0, 0x108, v46
	v_cmp_ne_u32_e32 vcc, s92, v0
	v_and_b32_e32 v0, 7, v58
	s_and_saveexec_b64 s[28:29], vcc
	s_xor_b64 s[28:29], exec, s[28:29]
	s_andn2_saveexec_b64 s[28:29], s[28:29]
	s_cbranch_execz .LBB6_3696
; %bb.3695:                             ;   in Loop: Header=BB6_3679 Depth=2
	v_mad_u64_u32 v[2:3], vcc, v0, 24, v[24:25]
	v_ashrrev_i32_e32 v57, 31, v56
	flat_store_dwordx2 v[2:3], v[56:57] offset:8
.LBB6_3696:                             ;   in Loop: Header=BB6_3679 Depth=2
	s_or_b64 exec, exec, s[28:29]
	v_and_b32_e32 v1, 0x100, v46
	v_cmp_ne_u32_e32 vcc, 0, v1
	s_mov_b64 s[28:29], -1
                                        ; implicit-def: $vgpr2_vgpr3
	s_and_saveexec_b64 s[34:35], vcc
	s_cbranch_execz .LBB6_3700
; %bb.3697:                             ;   in Loop: Header=BB6_3679 Depth=2
	v_mad_u64_u32 v[4:5], s[28:29], v0, 24, v[24:25]
	v_mov_b32_e32 v2, v5
	v_mad_u64_u32 v[2:3], s[28:29], v51, 24, v[2:3]
	v_mov_b32_e32 v5, v2
	flat_load_dword v1, v[4:5]
                                        ; implicit-def: $vgpr2_vgpr3
	s_waitcnt vmcnt(0) lgkmcnt(0)
	v_cmp_ne_u32_e32 vcc, 1, v1
	v_cmp_eq_u32_e64 s[28:29], 1, v1
	s_and_saveexec_b64 s[64:65], s[28:29]
	s_cbranch_execz .LBB6_3699
; %bb.3698:                             ;   in Loop: Header=BB6_3679 Depth=2
	flat_load_dword v2, v[4:5] offset:4 glc
	s_waitcnt vmcnt(0) lgkmcnt(0)
	v_ashrrev_i32_e32 v3, 31, v2
.LBB6_3699:                             ;   in Loop: Header=BB6_3679 Depth=2
	s_or_b64 exec, exec, s[64:65]
	s_orn2_b64 s[28:29], vcc, exec
.LBB6_3700:                             ;   in Loop: Header=BB6_3679 Depth=2
	s_or_b64 exec, exec, s[34:35]
	s_and_saveexec_b64 vcc, s[28:29]
; %bb.3701:                             ;   in Loop: Header=BB6_3679 Depth=2
	v_accvgpr_read_b32 v2, a20
	v_accvgpr_read_b32 v3, a21
	v_mul_lo_u32 v1, v51, v2
	v_mul_lo_u32 v4, v0, v3
	v_mad_u64_u32 v[2:3], s[28:29], v0, v2, 0
	v_add3_u32 v3, v3, v4, v1
; %bb.3702:                             ;   in Loop: Header=BB6_3679 Depth=2
	s_or_b64 exec, exec, vcc
	v_accvgpr_read_b32 v0, a22
	v_accvgpr_read_b32 v1, a23
	v_add_co_u32_e32 v0, vcc, v0, v2
	v_addc_co_u32_e32 v1, vcc, v1, v3, vcc
	s_trap 2
	ds_write_b64 v0, v[0:1]
	v_and_b32_e32 v0, 0x2000, v46
	v_cmp_ne_u32_e32 vcc, 0, v0
	s_and_saveexec_b64 s[28:29], vcc
	s_cbranch_execz .LBB6_3704
; %bb.3703:                             ;   in Loop: Header=BB6_3679 Depth=2
	ds_read_b64 v[0:1], v0 offset:584
	s_waitcnt lgkmcnt(0)
	v_add_co_u32_e32 v0, vcc, 1, v0
	v_addc_co_u32_e32 v1, vcc, 0, v1, vcc
	ds_write_b64 v0, v[0:1] offset:584
.LBB6_3704:                             ;   in Loop: Header=BB6_3679 Depth=2
	s_or_b64 exec, exec, s[28:29]
	v_add_co_u32_e32 v58, vcc, 2, v58
	v_addc_co_u32_e32 v59, vcc, 0, v59, vcc
.LBB6_3705:                             ;   in Loop: Header=BB6_3679 Depth=2
	s_or_b64 exec, exec, s[30:31]
	s_and_saveexec_b64 s[28:29], s[10:11]
	s_cbranch_execz .LBB6_3724
; %bb.3706:                             ;   in Loop: Header=BB6_3679 Depth=2
	s_and_saveexec_b64 vcc, s[44:45]
	s_xor_b64 s[30:31], exec, vcc
	s_cbranch_execz .LBB6_3721
; %bb.3707:                             ;   in Loop: Header=BB6_3679 Depth=2
	s_and_saveexec_b64 s[34:35], s[16:17]
	s_cbranch_execz .LBB6_3720
; %bb.3708:                             ;   in Loop: Header=BB6_3679 Depth=2
	s_mov_b64 s[66:67], exec
	v_mbcnt_lo_u32_b32 v0, s66, 0
	v_mbcnt_hi_u32_b32 v0, s67, v0
	v_cmp_eq_u32_e32 vcc, 0, v0
	s_waitcnt vmcnt(0) lgkmcnt(0)
	buffer_wbinvl1_vol
	s_and_saveexec_b64 s[64:65], vcc
	s_cbranch_execz .LBB6_3710
; %bb.3709:                             ;   in Loop: Header=BB6_3679 Depth=2
	s_bcnt1_i32_b64 s27, s[66:67]
	v_mov_b32_e32 v50, s27
	ds_add_u64 v0, v[50:51]
	s_trap 2
.LBB6_3710:                             ;   in Loop: Header=BB6_3679 Depth=2
	s_or_b64 exec, exec, s[64:65]
	s_trap 2
	ds_read_b64 v[0:1], v0
	v_accvgpr_read_b32 v2, a28
	v_accvgpr_read_b32 v3, a29
	v_add_co_u32_e32 v2, vcc, v2, v40
	v_addc_co_u32_e32 v3, vcc, 0, v3, vcc
	v_accvgpr_write_b32 a29, v3
	v_accvgpr_write_b32 a28, v2
	s_waitcnt lgkmcnt(0)
	v_cmp_lt_u64_e32 vcc, v[0:1], v[2:3]
	s_and_saveexec_b64 s[64:65], vcc
	s_cbranch_execz .LBB6_3719
; %bb.3711:                             ;   in Loop: Header=BB6_3679 Depth=2
	s_mov_b32 s27, 0
	s_mov_b64 s[66:67], 0
                                        ; implicit-def: $sgpr68_sgpr69
                                        ; implicit-def: $sgpr70_sgpr71
	s_branch .LBB6_3713
.LBB6_3712:                             ;   in Loop: Header=BB6_3713 Depth=3
	s_or_b64 exec, exec, s[74:75]
	s_and_b64 vcc, exec, vcc
	s_or_b64 s[66:67], vcc, s[66:67]
	s_andn2_b64 vcc, s[68:69], exec
	s_and_b64 s[50:51], s[70:71], exec
	s_or_b64 s[68:69], vcc, s[50:51]
	s_andn2_b64 exec, exec, s[66:67]
	s_cbranch_execz .LBB6_3717
.LBB6_3713:                             ;   Parent Loop BB6_47 Depth=1
                                        ;     Parent Loop BB6_3679 Depth=2
                                        ; =>    This Inner Loop Header: Depth=3
	s_add_i32 s27, s27, 1
	s_cmpk_lg_i32 s27, 0x2710
	s_cselect_b64 s[72:73], -1, 0
	s_and_b64 vcc, exec, s[72:73]
                                        ; implicit-def: $sgpr74_sgpr75
	s_cbranch_vccnz .LBB6_3715
; %bb.3714:                             ;   in Loop: Header=BB6_3713 Depth=3
	s_trap 2
	ds_read_b64 v[0:1], v0
	s_andn2_b64 s[72:73], s[72:73], exec
	s_mov_b32 s27, 0
	s_mov_b64 s[74:75], -1
	s_waitcnt lgkmcnt(0)
	flat_load_dword v0, v[0:1] glc
	s_waitcnt vmcnt(0) lgkmcnt(0)
	buffer_invl2
	buffer_wbinvl1_vol
	v_cmp_eq_u32_e32 vcc, 0, v0
	s_and_b64 vcc, vcc, exec
	s_or_b64 s[72:73], s[72:73], vcc
.LBB6_3715:                             ;   in Loop: Header=BB6_3713 Depth=3
	s_andn2_b64 s[70:71], s[70:71], exec
	s_and_b64 s[74:75], s[74:75], exec
	s_mov_b64 vcc, -1
	s_or_b64 s[70:71], s[70:71], s[74:75]
	s_and_saveexec_b64 s[74:75], s[72:73]
	s_cbranch_execz .LBB6_3712
; %bb.3716:                             ;   in Loop: Header=BB6_3713 Depth=3
	s_sleep 1
	s_trap 2
	ds_read_b64 v[0:1], v0
	v_accvgpr_read_b32 v2, a28
	v_accvgpr_read_b32 v3, a29
	s_andn2_b64 s[70:71], s[70:71], exec
	s_waitcnt lgkmcnt(0)
	v_cmp_ge_u64_e32 vcc, v[0:1], v[2:3]
	s_orn2_b64 vcc, vcc, exec
	s_branch .LBB6_3712
.LBB6_3717:                             ;   in Loop: Header=BB6_3679 Depth=2
	s_or_b64 exec, exec, s[66:67]
	s_and_saveexec_b64 vcc, s[68:69]
	s_xor_b64 vcc, exec, vcc
	s_cbranch_execz .LBB6_3719
; %bb.3718:                             ;   in Loop: Header=BB6_3679 Depth=2
	v_mov_b32_e32 v0, 1
	ds_write_b32 v0, v0
	s_trap 2
.LBB6_3719:                             ;   in Loop: Header=BB6_3679 Depth=2
	s_or_b64 exec, exec, s[64:65]
	;;#ASMSTART
	s_wakeup
	;;#ASMEND
.LBB6_3720:                             ;   in Loop: Header=BB6_3679 Depth=2
	s_or_b64 exec, exec, s[34:35]
.LBB6_3721:                             ;   in Loop: Header=BB6_3679 Depth=2
	s_andn2_saveexec_b64 vcc, s[30:31]
	s_cbranch_execz .LBB6_3723
; %bb.3722:                             ;   in Loop: Header=BB6_3679 Depth=2
	s_waitcnt vmcnt(0) lgkmcnt(0)
	buffer_wbinvl1_vol
	s_barrier
.LBB6_3723:                             ;   in Loop: Header=BB6_3679 Depth=2
	s_or_b64 exec, exec, vcc
.LBB6_3724:                             ;   in Loop: Header=BB6_3679 Depth=2
	s_or_b64 exec, exec, s[28:29]
	s_trap 2
	ds_read_b32 v0, v0
	v_and_b32_e32 v1, 0x4000, v46
	v_cmp_ne_u32_e32 vcc, 0, v1
	s_xor_b64 s[28:29], s[6:7], -1
	s_and_b64 vcc, s[28:29], vcc
	s_and_saveexec_b64 s[28:29], vcc
	s_cbranch_execz .LBB6_3743
; %bb.3725:                             ;   in Loop: Header=BB6_3679 Depth=2
	s_and_saveexec_b64 vcc, s[44:45]
	s_xor_b64 s[30:31], exec, vcc
	s_cbranch_execz .LBB6_3740
; %bb.3726:                             ;   in Loop: Header=BB6_3679 Depth=2
	s_and_saveexec_b64 s[34:35], s[16:17]
	s_cbranch_execz .LBB6_3739
; %bb.3727:                             ;   in Loop: Header=BB6_3679 Depth=2
	s_mov_b64 s[66:67], exec
	v_mbcnt_lo_u32_b32 v1, s66, 0
	v_mbcnt_hi_u32_b32 v1, s67, v1
	v_cmp_eq_u32_e32 vcc, 0, v1
	s_waitcnt vmcnt(0) lgkmcnt(0)
	buffer_wbinvl1_vol
	s_and_saveexec_b64 s[64:65], vcc
	s_cbranch_execz .LBB6_3729
; %bb.3728:                             ;   in Loop: Header=BB6_3679 Depth=2
	s_bcnt1_i32_b64 s27, s[66:67]
	v_mov_b32_e32 v50, s27
	ds_add_u64 v0, v[50:51]
	s_trap 2
.LBB6_3729:                             ;   in Loop: Header=BB6_3679 Depth=2
	s_or_b64 exec, exec, s[64:65]
	s_trap 2
	ds_read_b64 v[2:3], v0
	v_accvgpr_read_b32 v4, a28
	v_accvgpr_read_b32 v5, a29
	v_add_co_u32_e32 v4, vcc, v4, v40
	v_addc_co_u32_e32 v5, vcc, 0, v5, vcc
	v_accvgpr_write_b32 a29, v5
	v_accvgpr_write_b32 a28, v4
	s_waitcnt lgkmcnt(0)
	v_cmp_lt_u64_e32 vcc, v[2:3], v[4:5]
	s_and_saveexec_b64 s[64:65], vcc
	s_cbranch_execz .LBB6_3738
; %bb.3730:                             ;   in Loop: Header=BB6_3679 Depth=2
	s_mov_b32 s27, 0
	s_mov_b64 s[66:67], 0
                                        ; implicit-def: $sgpr68_sgpr69
                                        ; implicit-def: $sgpr70_sgpr71
	s_branch .LBB6_3732
.LBB6_3731:                             ;   in Loop: Header=BB6_3732 Depth=3
	s_or_b64 exec, exec, s[74:75]
	s_and_b64 vcc, exec, vcc
	s_or_b64 s[66:67], vcc, s[66:67]
	s_andn2_b64 vcc, s[68:69], exec
	s_and_b64 s[50:51], s[70:71], exec
	s_or_b64 s[68:69], vcc, s[50:51]
	s_andn2_b64 exec, exec, s[66:67]
	s_cbranch_execz .LBB6_3736
.LBB6_3732:                             ;   Parent Loop BB6_47 Depth=1
                                        ;     Parent Loop BB6_3679 Depth=2
                                        ; =>    This Inner Loop Header: Depth=3
	s_add_i32 s27, s27, 1
	s_cmpk_lg_i32 s27, 0x2710
	s_cselect_b64 s[72:73], -1, 0
	s_and_b64 vcc, exec, s[72:73]
                                        ; implicit-def: $sgpr74_sgpr75
	s_cbranch_vccnz .LBB6_3734
; %bb.3733:                             ;   in Loop: Header=BB6_3732 Depth=3
	s_trap 2
	ds_read_b64 v[2:3], v0
	s_andn2_b64 s[72:73], s[72:73], exec
	s_mov_b32 s27, 0
	s_mov_b64 s[74:75], -1
	s_waitcnt lgkmcnt(0)
	flat_load_dword v1, v[2:3] glc
	s_waitcnt vmcnt(0) lgkmcnt(0)
	buffer_invl2
	buffer_wbinvl1_vol
	v_cmp_eq_u32_e32 vcc, 0, v1
	s_and_b64 vcc, vcc, exec
	s_or_b64 s[72:73], s[72:73], vcc
.LBB6_3734:                             ;   in Loop: Header=BB6_3732 Depth=3
	s_andn2_b64 s[70:71], s[70:71], exec
	s_and_b64 s[74:75], s[74:75], exec
	s_mov_b64 vcc, -1
	s_or_b64 s[70:71], s[70:71], s[74:75]
	s_and_saveexec_b64 s[74:75], s[72:73]
	s_cbranch_execz .LBB6_3731
; %bb.3735:                             ;   in Loop: Header=BB6_3732 Depth=3
	s_sleep 1
	s_trap 2
	ds_read_b64 v[2:3], v0
	v_accvgpr_read_b32 v4, a28
	v_accvgpr_read_b32 v5, a29
	s_andn2_b64 s[70:71], s[70:71], exec
	s_waitcnt lgkmcnt(0)
	v_cmp_ge_u64_e32 vcc, v[2:3], v[4:5]
	s_orn2_b64 vcc, vcc, exec
	s_branch .LBB6_3731
.LBB6_3736:                             ;   in Loop: Header=BB6_3679 Depth=2
	s_or_b64 exec, exec, s[66:67]
	s_and_saveexec_b64 vcc, s[68:69]
	s_xor_b64 vcc, exec, vcc
	s_cbranch_execz .LBB6_3738
; %bb.3737:                             ;   in Loop: Header=BB6_3679 Depth=2
	v_mov_b32_e32 v1, 1
	ds_write_b32 v0, v1
	s_trap 2
.LBB6_3738:                             ;   in Loop: Header=BB6_3679 Depth=2
	s_or_b64 exec, exec, s[64:65]
	;;#ASMSTART
	s_wakeup
	;;#ASMEND
.LBB6_3739:                             ;   in Loop: Header=BB6_3679 Depth=2
	s_or_b64 exec, exec, s[34:35]
.LBB6_3740:                             ;   in Loop: Header=BB6_3679 Depth=2
	s_andn2_saveexec_b64 vcc, s[30:31]
	s_cbranch_execz .LBB6_3742
; %bb.3741:                             ;   in Loop: Header=BB6_3679 Depth=2
	s_waitcnt vmcnt(0) lgkmcnt(0)
	buffer_wbinvl1_vol
	s_barrier
.LBB6_3742:                             ;   in Loop: Header=BB6_3679 Depth=2
	s_or_b64 exec, exec, vcc
.LBB6_3743:                             ;   in Loop: Header=BB6_3679 Depth=2
	s_or_b64 exec, exec, s[28:29]
	s_trap 2
	s_waitcnt lgkmcnt(0)
	ds_read_b64 v[2:3], v0
	v_mov_b32_e32 v44, 0
	s_waitcnt lgkmcnt(0)
	v_readfirstlane_b32 s28, v2
	v_readfirstlane_b32 s29, v3
	s_cmp_eq_u64 s[28:29], 0
	s_cselect_b64 s[28:29], -1, 0
	s_or_b64 s[28:29], s[28:29], s[28:29]
	s_and_b64 vcc, exec, s[28:29]
	s_cbranch_vccnz .LBB6_3752
; %bb.3744:                             ;   in Loop: Header=BB6_3679 Depth=2
	s_trap 2
	ds_read_b64 v[2:3], v0
	v_cmp_eq_u32_e32 vcc, 0, v0
	v_cndmask_b32_e32 v44, 0, v56, vcc
	s_waitcnt lgkmcnt(0)
	v_cmp_ne_u64_e32 vcc, 0, v[2:3]
	v_readfirstlane_b32 s27, v2
	s_cbranch_vccz .LBB6_3764
; %bb.3745:                             ;   in Loop: Header=BB6_3679 Depth=2
	s_mov_b64 s[30:31], -1
	s_and_saveexec_b64 s[28:29], s[22:23]
	s_cbranch_execz .LBB6_3747
; %bb.3746:                             ;   in Loop: Header=BB6_3679 Depth=2
	ds_read_b32 v0, v0 offset:720
	s_waitcnt lgkmcnt(0)
	v_and_b32_e32 v0, 15, v0
	v_cmp_eq_u32_e32 vcc, 0, v0
	s_orn2_b64 s[30:31], vcc, exec
.LBB6_3747:                             ;   in Loop: Header=BB6_3679 Depth=2
	s_or_b64 exec, exec, s[28:29]
	s_and_saveexec_b64 s[28:29], s[22:23]
	s_cbranch_execz .LBB6_3749
; %bb.3748:                             ;   in Loop: Header=BB6_3679 Depth=2
	ds_read_b32 v0, v0 offset:784
	s_waitcnt lgkmcnt(0)
	v_and_b32_e32 v0, 15, v0
	v_cmp_eq_u32_e32 vcc, 0, v0
	s_and_b64 vcc, s[30:31], vcc
	s_andn2_b64 s[30:31], s[30:31], exec
	s_and_b64 vcc, vcc, exec
	s_or_b64 s[30:31], s[30:31], vcc
.LBB6_3749:                             ;   in Loop: Header=BB6_3679 Depth=2
	s_or_b64 exec, exec, s[28:29]
	s_xor_b64 vcc, s[30:31], -1
	v_cndmask_b32_e64 v0, 0, 1, vcc
	;;#ASMSTART
	;;#ASMEND
	s_mov_b64 s[28:29], -1
	v_cmp_ne_u32_e32 vcc, 0, v0
	v_mov_b32_e32 v8, 0
	v_mov_b32_e32 v3, v44
	;; [unrolled: 1-line block ×3, first 2 shown]
	v_accvgpr_read_b32 v0, a37
	s_cbranch_vccz .LBB6_3765
; %bb.3750:                             ;   in Loop: Header=BB6_3679 Depth=2
	s_and_saveexec_b64 s[64:65], s[28:29]
	s_cbranch_execnz .LBB6_6118
.LBB6_3751:                             ;   in Loop: Header=BB6_3679 Depth=2
	s_or_b64 exec, exec, s[64:65]
.LBB6_3752:                             ;   in Loop: Header=BB6_3679 Depth=2
	s_and_saveexec_b64 s[28:29], s[10:11]
	s_cbranch_execz .LBB6_5311
.LBB6_3753:                             ;   in Loop: Header=BB6_3679 Depth=2
	s_and_saveexec_b64 vcc, s[44:45]
	s_xor_b64 s[30:31], exec, vcc
	s_cbranch_execz .LBB6_5308
; %bb.3754:                             ;   in Loop: Header=BB6_3679 Depth=2
	s_and_saveexec_b64 s[34:35], s[16:17]
	s_cbranch_execz .LBB6_5307
; %bb.3755:                             ;   in Loop: Header=BB6_3679 Depth=2
	s_mov_b64 s[66:67], exec
	v_mbcnt_lo_u32_b32 v0, s66, 0
	v_mbcnt_hi_u32_b32 v0, s67, v0
	v_cmp_eq_u32_e32 vcc, 0, v0
	s_waitcnt vmcnt(0) lgkmcnt(0)
	buffer_wbinvl1_vol
	s_and_saveexec_b64 s[64:65], vcc
	s_cbranch_execz .LBB6_3757
; %bb.3756:                             ;   in Loop: Header=BB6_3679 Depth=2
	s_bcnt1_i32_b64 s27, s[66:67]
	v_mov_b32_e32 v50, s27
	ds_add_u64 v0, v[50:51]
	s_trap 2
.LBB6_3757:                             ;   in Loop: Header=BB6_3679 Depth=2
	s_or_b64 exec, exec, s[64:65]
	s_trap 2
	ds_read_b64 v[0:1], v0
	v_accvgpr_read_b32 v2, a28
	v_accvgpr_read_b32 v3, a29
	v_add_co_u32_e32 v2, vcc, v2, v40
	v_addc_co_u32_e32 v3, vcc, 0, v3, vcc
	v_accvgpr_write_b32 a29, v3
	v_accvgpr_write_b32 a28, v2
	s_waitcnt lgkmcnt(0)
	v_cmp_lt_u64_e32 vcc, v[0:1], v[2:3]
	s_and_saveexec_b64 s[64:65], vcc
	s_cbranch_execz .LBB6_5306
; %bb.3758:                             ;   in Loop: Header=BB6_3679 Depth=2
	s_mov_b32 s27, 0
	s_mov_b64 s[66:67], 0
                                        ; implicit-def: $sgpr68_sgpr69
                                        ; implicit-def: $sgpr70_sgpr71
	s_branch .LBB6_3760
.LBB6_3759:                             ;   in Loop: Header=BB6_3760 Depth=3
	s_or_b64 exec, exec, s[74:75]
	s_and_b64 vcc, exec, vcc
	s_or_b64 s[66:67], vcc, s[66:67]
	s_andn2_b64 vcc, s[68:69], exec
	s_and_b64 s[50:51], s[70:71], exec
	s_or_b64 s[68:69], vcc, s[50:51]
	s_andn2_b64 exec, exec, s[66:67]
	s_cbranch_execz .LBB6_5304
.LBB6_3760:                             ;   Parent Loop BB6_47 Depth=1
                                        ;     Parent Loop BB6_3679 Depth=2
                                        ; =>    This Inner Loop Header: Depth=3
	s_add_i32 s27, s27, 1
	s_cmpk_lg_i32 s27, 0x2710
	s_cselect_b64 s[72:73], -1, 0
	s_and_b64 vcc, exec, s[72:73]
                                        ; implicit-def: $sgpr74_sgpr75
	s_cbranch_vccnz .LBB6_3762
; %bb.3761:                             ;   in Loop: Header=BB6_3760 Depth=3
	s_trap 2
	ds_read_b64 v[0:1], v0
	s_andn2_b64 s[72:73], s[72:73], exec
	s_mov_b32 s27, 0
	s_mov_b64 s[74:75], -1
	s_waitcnt lgkmcnt(0)
	flat_load_dword v0, v[0:1] glc
	s_waitcnt vmcnt(0) lgkmcnt(0)
	buffer_invl2
	buffer_wbinvl1_vol
	v_cmp_eq_u32_e32 vcc, 0, v0
	s_and_b64 vcc, vcc, exec
	s_or_b64 s[72:73], s[72:73], vcc
.LBB6_3762:                             ;   in Loop: Header=BB6_3760 Depth=3
	s_andn2_b64 s[70:71], s[70:71], exec
	s_and_b64 s[74:75], s[74:75], exec
	s_mov_b64 vcc, -1
	s_or_b64 s[70:71], s[70:71], s[74:75]
	s_and_saveexec_b64 s[74:75], s[72:73]
	s_cbranch_execz .LBB6_3759
; %bb.3763:                             ;   in Loop: Header=BB6_3760 Depth=3
	s_sleep 1
	s_trap 2
	ds_read_b64 v[0:1], v0
	v_accvgpr_read_b32 v2, a28
	v_accvgpr_read_b32 v3, a29
	s_andn2_b64 s[70:71], s[70:71], exec
	s_waitcnt lgkmcnt(0)
	v_cmp_ge_u64_e32 vcc, v[0:1], v[2:3]
	s_orn2_b64 vcc, vcc, exec
	s_branch .LBB6_3759
.LBB6_3764:                             ;   in Loop: Header=BB6_3679 Depth=2
	s_cbranch_execnz .LBB6_7013
	s_branch .LBB6_3752
.LBB6_3765:                             ;   in Loop: Header=BB6_3679 Depth=2
	v_ashrrev_i32_e32 v0, 31, v44
	v_lshrrev_b32_e32 v0, 21, v0
	v_add_u32_e32 v0, v44, v0
	v_ashrrev_i32_e32 v27, 11, v0
	v_accvgpr_read_b32 v0, a37
	v_sub_u32_e32 v26, v27, v0
	v_accvgpr_write_b32 a14, v23
	v_cmp_lt_i32_e32 vcc, 0, v26
	s_and_saveexec_b64 s[34:35], vcc
	s_cbranch_execz .LBB6_5339
; %bb.3766:                             ;   in Loop: Header=BB6_3679 Depth=2
	s_trap 2
	ds_read_b128 v[0:3], v0
	v_accvgpr_read_b32 v4, a52
	v_accvgpr_read_b32 v5, a33
	v_accvgpr_write_b32 a4, v58
	s_bitcmp1_b32 s27, 0
	s_waitcnt lgkmcnt(0)
	v_add_co_u32_e32 v24, vcc, v0, v4
	v_addc_co_u32_e32 v25, vcc, v1, v5, vcc
	v_add_co_u32_e32 v40, vcc, v2, v4
	v_addc_co_u32_e32 v41, vcc, v3, v5, vcc
	v_accvgpr_write_b32 a5, v59
	s_mov_b64 s[64:65], 0
	s_cselect_b64 s[66:67], -1, 0
	v_pk_mov_b32 v[4:5], v[24:25], v[24:25] op_sel:[0,1]
	v_pk_mov_b32 v[58:59], v[40:41], v[40:41] op_sel:[0,1]
	v_accvgpr_write_b32 a11, v44
	s_branch .LBB6_3768
.LBB6_3767:                             ;   in Loop: Header=BB6_3768 Depth=3
	s_or_b64 exec, exec, s[28:29]
	v_lshlrev_b32_e32 v1, 16, v34
	v_lshlrev_b32_e32 v2, 8, v33
	v_perm_b32 v1, v16, v1, s82
	v_perm_b32 v2, v2, v32, s9
	v_or_b32_e32 v33, v1, v2
	v_and_b32_e32 v1, 0xff, v30
	v_lshlrev_b32_e32 v3, 8, v29
	v_lshlrev_b32_e32 v2, 24, v31
	;; [unrolled: 1-line block ×3, first 2 shown]
	v_perm_b32 v3, v3, v28, s9
	v_or3_b32 v32, v2, v1, v3
	v_and_b32_e32 v1, 0xff, v21
	v_lshlrev_b32_e32 v3, 8, v20
	v_lshlrev_b32_e32 v2, 24, v35
	;; [unrolled: 1-line block ×3, first 2 shown]
	v_perm_b32 v3, v3, v17, s9
	v_or3_b32 v34, v2, v1, v3
	v_lshlrev_b32_e32 v1, 8, v37
	v_lshlrev_b32_e32 v2, 16, v38
	v_perm_b32 v1, v1, v36, s9
	v_perm_b32 v2, v18, v2, s82
	v_or_b32_e32 v35, v2, v1
	v_lshlrev_b32_e32 v1, 16, v14
	v_lshlrev_b32_e32 v2, 8, v13
	v_perm_b32 v1, v12, v1, s82
	v_perm_b32 v2, v2, v48, s9
	v_or_b32_e32 v11, v1, v2
	v_and_b32_e32 v1, 0xff, v23
	v_lshlrev_b32_e32 v3, 8, v22
	v_lshlrev_b32_e32 v2, 24, v39
	;; [unrolled: 1-line block ×3, first 2 shown]
	v_perm_b32 v3, v3, v19, s9
	v_or3_b32 v10, v2, v1, v3
	v_and_b32_e32 v1, 0xff, v52
	v_lshlrev_b32_e32 v3, 8, v49
	v_lshlrev_b32_e32 v2, 24, v53
	;; [unrolled: 1-line block ×3, first 2 shown]
	v_perm_b32 v3, v3, v15, s9
	v_or3_b32 v12, v2, v1, v3
	v_lshlrev_b32_e32 v1, 8, v7
	v_lshlrev_b32_e32 v2, 16, v8
	v_perm_b32 v1, v1, v54, s9
	v_perm_b32 v0, v0, v2, s82
	v_or_b32_e32 v13, v0, v1
	v_accvgpr_read_b32 v1, a42
	v_add_co_u32_e32 v24, vcc, v24, v1
	v_accvgpr_read_b32 v2, a43
	v_addc_co_u32_e32 v25, vcc, v25, v2, vcc
	v_add_co_u32_e32 v40, vcc, v40, v1
	v_addc_co_u32_e32 v41, vcc, v41, v2, vcc
	global_store_dwordx4 v[4:5], v[32:35], off glc slc
	global_store_dwordx4 v[4:5], v[10:13], off offset:1024 glc slc
	global_store_dwordx4 v[58:59], v[32:35], off glc slc
	global_store_dwordx4 v[58:59], v[10:13], off offset:1024 glc slc
	v_add_co_u32_e32 v4, vcc, v4, v1
	v_accvgpr_read_b32 v0, a30
	v_addc_co_u32_e32 v5, vcc, v5, v2, vcc
	v_sub_u32_e32 v26, v26, v0
	v_cmp_gt_i32_e32 vcc, 1, v26
	s_or_b64 s[64:65], vcc, s[64:65]
	v_add_co_u32_e32 v58, vcc, v58, v1
	v_addc_co_u32_e32 v59, vcc, v59, v2, vcc
	s_andn2_b64 exec, exec, s[64:65]
	s_cbranch_execz .LBB6_5338
.LBB6_3768:                             ;   Parent Loop BB6_47 Depth=1
                                        ;     Parent Loop BB6_3679 Depth=2
                                        ; =>    This Inner Loop Header: Depth=3
	global_load_dwordx4 v[20:23], v[24:25], off glc slc
	global_load_dwordx4 v[0:3], v[24:25], off offset:1024 glc slc
	global_load_dwordx4 v[16:19], v[40:41], off glc slc
	global_load_dwordx4 v[8:11], v[40:41], off offset:1024 glc slc
	s_and_b64 vcc, exec, s[66:67]
	s_waitcnt vmcnt(0)
	v_cmp_ne_u16_sdwa s[28:29], v20, v51 src0_sel:BYTE_0 src1_sel:DWORD
	s_cbranch_vccz .LBB6_3786
; %bb.3769:                             ;   in Loop: Header=BB6_3768 Depth=3
	v_mov_b32_e32 v7, 0
	v_mov_b32_e32 v6, 0
	s_and_saveexec_b64 s[30:31], s[28:29]
	s_cbranch_execz .LBB6_3777
; %bb.3770:                             ;   in Loop: Header=BB6_3768 Depth=3
	v_cmp_ne_u16_sdwa vcc, sext(v20), s94 src0_sel:BYTE_0 src1_sel:DWORD
	v_bfrev_b32_e32 v6, 1
	s_and_saveexec_b64 s[68:69], vcc
	s_cbranch_execz .LBB6_3776
; %bb.3771:                             ;   in Loop: Header=BB6_3768 Depth=3
	v_and_b32_e32 v6, 0x7c, v20
	v_and_b32_e32 v12, 3, v20
	v_cmp_ne_u32_e32 vcc, s95, v6
                                        ; implicit-def: $vgpr6
	s_and_saveexec_b64 s[70:71], vcc
	s_xor_b64 s[70:71], exec, s[70:71]
	s_cbranch_execz .LBB6_3773
; %bb.3772:                             ;   in Loop: Header=BB6_3768 Depth=3
	v_ffbh_u32_e32 v13, v12
	v_min_u32_e32 v13, 32, v13
	v_subrev_u32_e32 v14, 29, v13
	v_bfe_u32 v6, v20, 2, 5
	v_lshlrev_b64 v[14:15], v14, v[20:21]
	v_sub_u32_e32 v13, 30, v13
	v_and_b32_e32 v14, 3, v14
	v_cmp_eq_u32_e32 vcc, 0, v6
	v_cndmask_b32_e32 v6, v6, v13, vcc
	v_cndmask_b32_e32 v12, v12, v14, vcc
	v_bfrev_b32_e32 v14, 28
	v_lshlrev_b32_e32 v13, 24, v20
	v_lshl_add_u32 v6, v6, 23, v14
	v_and_or_b32 v6, v13, s96, v6
	v_lshl_or_b32 v6, v12, 21, v6
                                        ; implicit-def: $vgpr12
.LBB6_3773:                             ;   in Loop: Header=BB6_3768 Depth=3
	s_andn2_saveexec_b64 s[70:71], s[70:71]
; %bb.3774:                             ;   in Loop: Header=BB6_3768 Depth=3
	v_mov_b32_e32 v6, -1
	v_cmp_gt_i16_sdwa vcc, sext(v20), v6 src0_sel:BYTE_0 src1_sel:DWORD
	v_mov_b32_e32 v6, 0xc7600000
	v_mov_b32_e32 v13, 0x47600000
	v_cndmask_b32_e32 v6, v6, v13, vcc
	v_cmp_eq_u32_e32 vcc, 0, v12
	v_mov_b32_e32 v12, 0x7f800001
	v_cndmask_b32_e32 v6, v12, v6, vcc
; %bb.3775:                             ;   in Loop: Header=BB6_3768 Depth=3
	s_or_b64 exec, exec, s[70:71]
.LBB6_3776:                             ;   in Loop: Header=BB6_3768 Depth=3
	s_or_b64 exec, exec, s[68:69]
.LBB6_3777:                             ;   in Loop: Header=BB6_3768 Depth=3
	s_or_b64 exec, exec, s[30:31]
	v_cmp_ne_u16_sdwa vcc, sext(v16), v51 src0_sel:BYTE_0 src1_sel:DWORD
	s_and_saveexec_b64 s[30:31], vcc
	s_cbranch_execz .LBB6_3785
; %bb.3778:                             ;   in Loop: Header=BB6_3768 Depth=3
	v_cmp_ne_u16_sdwa vcc, sext(v16), s94 src0_sel:BYTE_0 src1_sel:DWORD
	v_bfrev_b32_e32 v7, 1
	s_and_saveexec_b64 s[68:69], vcc
	s_cbranch_execz .LBB6_3784
; %bb.3779:                             ;   in Loop: Header=BB6_3768 Depth=3
	v_and_b32_e32 v7, 0x7c, v16
	v_and_b32_e32 v12, 3, v16
	v_cmp_ne_u32_e32 vcc, s95, v7
                                        ; implicit-def: $vgpr7
	s_and_saveexec_b64 s[70:71], vcc
	s_xor_b64 s[70:71], exec, s[70:71]
	s_cbranch_execz .LBB6_3781
; %bb.3780:                             ;   in Loop: Header=BB6_3768 Depth=3
	v_ffbh_u32_e32 v13, v12
	v_min_u32_e32 v13, 32, v13
	v_subrev_u32_e32 v14, 29, v13
	v_bfe_u32 v7, v16, 2, 5
	v_lshlrev_b64 v[14:15], v14, v[16:17]
	v_sub_u32_e32 v13, 30, v13
	v_and_b32_e32 v14, 3, v14
	v_cmp_eq_u32_e32 vcc, 0, v7
	v_cndmask_b32_e32 v7, v7, v13, vcc
	v_cndmask_b32_e32 v12, v12, v14, vcc
	v_bfrev_b32_e32 v14, 28
	v_lshlrev_b32_e32 v13, 24, v16
	v_lshl_add_u32 v7, v7, 23, v14
	v_and_or_b32 v7, v13, s96, v7
	v_lshl_or_b32 v7, v12, 21, v7
                                        ; implicit-def: $vgpr12
.LBB6_3781:                             ;   in Loop: Header=BB6_3768 Depth=3
	s_andn2_saveexec_b64 s[70:71], s[70:71]
; %bb.3782:                             ;   in Loop: Header=BB6_3768 Depth=3
	v_mov_b32_e32 v7, -1
	v_cmp_gt_i16_sdwa vcc, sext(v16), v7 src0_sel:BYTE_0 src1_sel:DWORD
	v_mov_b32_e32 v7, 0xc7600000
	v_mov_b32_e32 v13, 0x47600000
	v_cndmask_b32_e32 v7, v7, v13, vcc
	v_cmp_eq_u32_e32 vcc, 0, v12
	v_mov_b32_e32 v12, 0x7f800001
	v_cndmask_b32_e32 v7, v12, v7, vcc
; %bb.3783:                             ;   in Loop: Header=BB6_3768 Depth=3
	s_or_b64 exec, exec, s[70:71]
.LBB6_3784:                             ;   in Loop: Header=BB6_3768 Depth=3
	s_or_b64 exec, exec, s[68:69]
.LBB6_3785:                             ;   in Loop: Header=BB6_3768 Depth=3
	s_or_b64 exec, exec, s[30:31]
	v_max_f32_e32 v7, v7, v7
	v_max_f32_e32 v6, v6, v6
	;; [unrolled: 1-line block ×3, first 2 shown]
	s_branch .LBB6_3804
.LBB6_3786:                             ;   in Loop: Header=BB6_3768 Depth=3
                                        ; implicit-def: $vgpr6
	s_cbranch_execz .LBB6_3804
; %bb.3787:                             ;   in Loop: Header=BB6_3768 Depth=3
	v_mov_b32_e32 v7, 0
	v_mov_b32_e32 v6, 0
	s_and_saveexec_b64 s[30:31], s[28:29]
	s_cbranch_execz .LBB6_3795
; %bb.3788:                             ;   in Loop: Header=BB6_3768 Depth=3
	v_cmp_ne_u16_sdwa vcc, sext(v20), s94 src0_sel:BYTE_0 src1_sel:DWORD
	v_bfrev_b32_e32 v6, 1
	s_and_saveexec_b64 s[28:29], vcc
	s_cbranch_execz .LBB6_3794
; %bb.3789:                             ;   in Loop: Header=BB6_3768 Depth=3
	v_and_b32_e32 v6, 0x7c, v20
	v_and_b32_e32 v12, 3, v20
	v_cmp_ne_u32_e32 vcc, s95, v6
                                        ; implicit-def: $vgpr6
	s_and_saveexec_b64 s[68:69], vcc
	s_xor_b64 s[68:69], exec, s[68:69]
	s_cbranch_execz .LBB6_3791
; %bb.3790:                             ;   in Loop: Header=BB6_3768 Depth=3
	v_ffbh_u32_e32 v13, v12
	v_min_u32_e32 v13, 32, v13
	v_subrev_u32_e32 v14, 29, v13
	v_bfe_u32 v6, v20, 2, 5
	v_lshlrev_b64 v[14:15], v14, v[20:21]
	v_sub_u32_e32 v13, 30, v13
	v_and_b32_e32 v14, 3, v14
	v_cmp_eq_u32_e32 vcc, 0, v6
	v_cndmask_b32_e32 v6, v6, v13, vcc
	v_cndmask_b32_e32 v12, v12, v14, vcc
	v_bfrev_b32_e32 v14, 28
	v_lshlrev_b32_e32 v13, 24, v20
	v_lshl_add_u32 v6, v6, 23, v14
	v_and_or_b32 v6, v13, s96, v6
	v_lshl_or_b32 v6, v12, 21, v6
                                        ; implicit-def: $vgpr12
.LBB6_3791:                             ;   in Loop: Header=BB6_3768 Depth=3
	s_andn2_saveexec_b64 s[68:69], s[68:69]
; %bb.3792:                             ;   in Loop: Header=BB6_3768 Depth=3
	v_mov_b32_e32 v6, -1
	v_cmp_gt_i16_sdwa vcc, sext(v20), v6 src0_sel:BYTE_0 src1_sel:DWORD
	v_mov_b32_e32 v6, 0xc7600000
	v_mov_b32_e32 v13, 0x47600000
	v_cndmask_b32_e32 v6, v6, v13, vcc
	v_cmp_eq_u32_e32 vcc, 0, v12
	v_mov_b32_e32 v12, 0x7f800001
	v_cndmask_b32_e32 v6, v12, v6, vcc
; %bb.3793:                             ;   in Loop: Header=BB6_3768 Depth=3
	s_or_b64 exec, exec, s[68:69]
.LBB6_3794:                             ;   in Loop: Header=BB6_3768 Depth=3
	s_or_b64 exec, exec, s[28:29]
.LBB6_3795:                             ;   in Loop: Header=BB6_3768 Depth=3
	s_or_b64 exec, exec, s[30:31]
	v_cmp_ne_u16_sdwa vcc, sext(v16), v51 src0_sel:BYTE_0 src1_sel:DWORD
	s_and_saveexec_b64 s[28:29], vcc
	s_cbranch_execz .LBB6_3803
; %bb.3796:                             ;   in Loop: Header=BB6_3768 Depth=3
	v_cmp_ne_u16_sdwa vcc, sext(v16), s94 src0_sel:BYTE_0 src1_sel:DWORD
	v_bfrev_b32_e32 v7, 1
	s_and_saveexec_b64 s[30:31], vcc
	s_cbranch_execz .LBB6_3802
; %bb.3797:                             ;   in Loop: Header=BB6_3768 Depth=3
	v_and_b32_e32 v7, 0x7c, v16
	v_and_b32_e32 v12, 3, v16
	v_cmp_ne_u32_e32 vcc, s95, v7
                                        ; implicit-def: $vgpr7
	s_and_saveexec_b64 s[68:69], vcc
	s_xor_b64 s[68:69], exec, s[68:69]
	s_cbranch_execz .LBB6_3799
; %bb.3798:                             ;   in Loop: Header=BB6_3768 Depth=3
	v_ffbh_u32_e32 v13, v12
	v_min_u32_e32 v13, 32, v13
	v_subrev_u32_e32 v14, 29, v13
	v_bfe_u32 v7, v16, 2, 5
	v_lshlrev_b64 v[14:15], v14, v[16:17]
	v_sub_u32_e32 v13, 30, v13
	v_and_b32_e32 v14, 3, v14
	v_cmp_eq_u32_e32 vcc, 0, v7
	v_cndmask_b32_e32 v7, v7, v13, vcc
	v_cndmask_b32_e32 v12, v12, v14, vcc
	v_bfrev_b32_e32 v14, 28
	v_lshlrev_b32_e32 v13, 24, v16
	v_lshl_add_u32 v7, v7, 23, v14
	v_and_or_b32 v7, v13, s96, v7
	v_lshl_or_b32 v7, v12, 21, v7
                                        ; implicit-def: $vgpr12
.LBB6_3799:                             ;   in Loop: Header=BB6_3768 Depth=3
	s_andn2_saveexec_b64 s[68:69], s[68:69]
; %bb.3800:                             ;   in Loop: Header=BB6_3768 Depth=3
	v_mov_b32_e32 v7, -1
	v_cmp_gt_i16_sdwa vcc, sext(v16), v7 src0_sel:BYTE_0 src1_sel:DWORD
	v_mov_b32_e32 v7, 0xc7600000
	v_mov_b32_e32 v13, 0x47600000
	v_cndmask_b32_e32 v7, v7, v13, vcc
	v_cmp_eq_u32_e32 vcc, 0, v12
	v_mov_b32_e32 v12, 0x7f800001
	v_cndmask_b32_e32 v7, v12, v7, vcc
; %bb.3801:                             ;   in Loop: Header=BB6_3768 Depth=3
	s_or_b64 exec, exec, s[68:69]
.LBB6_3802:                             ;   in Loop: Header=BB6_3768 Depth=3
	s_or_b64 exec, exec, s[30:31]
.LBB6_3803:                             ;   in Loop: Header=BB6_3768 Depth=3
	s_or_b64 exec, exec, s[28:29]
	v_max_f32_e32 v7, v7, v7
	v_max_f32_e32 v6, v6, v6
	v_min_f32_e32 v6, v6, v7
.LBB6_3804:                             ;   in Loop: Header=BB6_3768 Depth=3
	v_and_b32_sdwa v12, v6, s97 dst_sel:DWORD dst_unused:UNUSED_PAD src0_sel:BYTE_3 src1_sel:DWORD
	v_and_b32_e32 v14, 0x7f800000, v6
	v_mov_b32_e32 v15, v51
	v_and_b32_e32 v50, 0x7fffff, v6
	v_or_b32_e32 v28, 0x7b, v12
	v_cmp_ne_u64_e32 vcc, s[52:53], v[14:15]
	s_and_saveexec_b64 s[28:29], vcc
	s_xor_b64 s[30:31], exec, s[28:29]
	s_cbranch_execz .LBB6_3814
; %bb.3805:                             ;   in Loop: Header=BB6_3768 Depth=3
	v_and_b32_e32 v14, 0x7fffffff, v6
	v_mov_b32_e32 v15, v51
	v_cmp_gt_u64_e32 vcc, s[54:55], v[14:15]
	s_and_saveexec_b64 s[68:69], vcc
	s_cbranch_execz .LBB6_3813
; %bb.3806:                             ;   in Loop: Header=BB6_3768 Depth=3
	v_cmp_ne_u32_e32 vcc, 0, v6
	v_mov_b32_e32 v28, 0
	s_and_saveexec_b64 s[70:71], vcc
	s_cbranch_execz .LBB6_3812
; %bb.3807:                             ;   in Loop: Header=BB6_3768 Depth=3
	v_bfe_u32 v6, v6, 23, 8
	v_cmp_eq_u32_e32 vcc, 0, v6
	v_add_u32_e32 v7, 0xffffff81, v6
	v_cmp_gt_u32_e64 s[28:29], s38, v6
	v_sub_u32_e32 v6, 0x71, v6
	v_mov_b32_e32 v14, 0xffffff82
	v_cndmask_b32_e64 v6, 0, v6, s[28:29]
	v_cndmask_b32_e32 v28, v7, v14, vcc
	v_mov_b32_e32 v7, 0x70
	v_cndmask_b32_e32 v29, v6, v7, vcc
	v_add_u32_e32 v6, 21, v29
	v_or_b32_e32 v13, 0x800000, v50
	v_lshlrev_b64 v[6:7], v6, -1
	v_cndmask_b32_e32 v50, v13, v50, vcc
	v_not_b32_e32 v7, v7
	v_not_b32_e32 v6, v6
	v_add_u32_e32 v13, 20, v29
	v_and_b32_e32 v7, 0, v7
	v_and_b32_e32 v6, v50, v6
	v_lshlrev_b64 v[14:15], v13, 1
	v_cmp_eq_u64_e32 vcc, v[6:7], v[14:15]
	v_lshrrev_b64 v[6:7], v29, v[50:51]
	v_lshrrev_b32_e32 v13, 23, v6
	v_add3_u32 v15, v29, v28, v13
	v_bfe_u32 v13, v6, 21, 1
	v_add_u32_e32 v13, -1, v13
	v_cndmask_b32_e32 v13, 0, v13, vcc
	v_add_u32_e32 v13, v13, v6
	v_and_b32_e32 v13, 0x1fffff, v13
	v_add_co_u32_e32 v6, vcc, v13, v6
	v_add_u32_e32 v14, 14, v15
	v_addc_co_u32_e32 v7, vcc, 0, v7, vcc
	v_cmp_ne_u32_e32 vcc, 0, v14
                                        ; implicit-def: $vgpr13
	s_and_saveexec_b64 s[28:29], vcc
	s_xor_b64 s[28:29], exec, s[28:29]
; %bb.3808:                             ;   in Loop: Header=BB6_3768 Depth=3
	v_add_u32_e32 v13, 15, v15
	v_cmp_lt_u64_e32 vcc, s[56:57], v[6:7]
	v_cndmask_b32_e32 v13, v14, v13, vcc
	v_cndmask_b32_e64 v14, 0, 1, vcc
	v_lshrrev_b64 v[6:7], v14, v[6:7]
; %bb.3809:                             ;   in Loop: Header=BB6_3768 Depth=3
	s_andn2_saveexec_b64 s[28:29], s[28:29]
; %bb.3810:                             ;   in Loop: Header=BB6_3768 Depth=3
	v_bfe_u32 v13, v6, 23, 1
; %bb.3811:                             ;   in Loop: Header=BB6_3768 Depth=3
	s_or_b64 exec, exec, s[28:29]
	v_lshrrev_b64 v[6:7], 21, v[6:7]
	v_cmp_gt_i32_e32 vcc, 32, v13
	v_cndmask_b32_e32 v7, 0, v7, vcc
	v_cndmask_b32_e32 v6, 3, v6, vcc
	v_cmp_eq_u64_e64 s[28:29], 0, v[6:7]
	v_min_i32_e32 v7, 31, v13
	v_cmp_eq_u32_e32 vcc, 0, v13
	v_lshlrev_b32_e32 v7, 2, v7
	v_and_or_b32 v6, v6, 3, v7
	s_and_b64 s[28:29], vcc, s[28:29]
	v_cndmask_b32_e64 v6, v6, 0, s[28:29]
	v_or_b32_e32 v28, v6, v12
.LBB6_3812:                             ;   in Loop: Header=BB6_3768 Depth=3
	s_or_b64 exec, exec, s[70:71]
.LBB6_3813:                             ;   in Loop: Header=BB6_3768 Depth=3
	s_or_b64 exec, exec, s[68:69]
                                        ; implicit-def: $vgpr6
.LBB6_3814:                             ;   in Loop: Header=BB6_3768 Depth=3
	s_andn2_saveexec_b64 s[28:29], s[30:31]
; %bb.3815:                             ;   in Loop: Header=BB6_3768 Depth=3
	v_or_b32_sdwa v6, v6, s39 dst_sel:DWORD dst_unused:UNUSED_PAD src0_sel:BYTE_3 src1_sel:DWORD
	v_cmp_eq_u64_e32 vcc, 0, v[50:51]
	v_cndmask_b32_e32 v28, v6, v28, vcc
; %bb.3816:                             ;   in Loop: Header=BB6_3768 Depth=3
	s_or_b64 exec, exec, s[28:29]
	v_lshrrev_b16_e32 v50, 8, v20
	v_lshrrev_b16_e32 v6, 8, v16
	v_cmp_ne_u16_e64 s[28:29], 0, v50
	s_and_b64 vcc, exec, s[66:67]
	s_cbranch_vccz .LBB6_3834
; %bb.3817:                             ;   in Loop: Header=BB6_3768 Depth=3
	v_mov_b32_e32 v7, 0
	v_mov_b32_e32 v12, 0
	s_and_saveexec_b64 s[30:31], s[28:29]
	s_cbranch_execz .LBB6_3825
; %bb.3818:                             ;   in Loop: Header=BB6_3768 Depth=3
	v_cmp_ne_u16_e32 vcc, s97, v50
	v_bfrev_b32_e32 v12, 1
	s_and_saveexec_b64 s[68:69], vcc
	s_cbranch_execz .LBB6_3824
; %bb.3819:                             ;   in Loop: Header=BB6_3768 Depth=3
	v_and_b32_e32 v12, 0x7c, v50
	v_and_b32_e32 v13, 3, v50
	v_cmp_ne_u32_e32 vcc, s95, v12
                                        ; implicit-def: $vgpr12
	s_and_saveexec_b64 s[70:71], vcc
	s_xor_b64 s[70:71], exec, s[70:71]
	s_cbranch_execz .LBB6_3821
; %bb.3820:                             ;   in Loop: Header=BB6_3768 Depth=3
	v_ffbh_u32_e32 v14, v13
	v_min_u32_e32 v29, 32, v14
	v_subrev_u32_e32 v14, 29, v29
	v_bfe_u32 v12, v50, 2, 5
	v_lshlrev_b64 v[14:15], v14, v[50:51]
	v_sub_u32_e32 v15, 30, v29
	v_cmp_eq_u32_e32 vcc, 0, v12
	v_and_b32_e32 v14, 3, v14
	v_cndmask_b32_e32 v12, v12, v15, vcc
	v_bfrev_b32_e32 v15, 28
	v_cndmask_b32_e32 v13, v13, v14, vcc
	v_lshlrev_b32_e32 v14, 16, v20
	v_lshl_add_u32 v12, v12, 23, v15
	v_and_or_b32 v12, v14, s96, v12
	v_lshl_or_b32 v12, v13, 21, v12
                                        ; implicit-def: $vgpr13
.LBB6_3821:                             ;   in Loop: Header=BB6_3768 Depth=3
	s_andn2_saveexec_b64 s[70:71], s[70:71]
; %bb.3822:                             ;   in Loop: Header=BB6_3768 Depth=3
	v_cmp_lt_i16_e32 vcc, -1, v20
	v_mov_b32_e32 v12, 0xc7600000
	v_mov_b32_e32 v14, 0x47600000
	v_cndmask_b32_e32 v12, v12, v14, vcc
	v_cmp_eq_u32_e32 vcc, 0, v13
	v_mov_b32_e32 v13, 0x7f800001
	v_cndmask_b32_e32 v12, v13, v12, vcc
; %bb.3823:                             ;   in Loop: Header=BB6_3768 Depth=3
	s_or_b64 exec, exec, s[70:71]
.LBB6_3824:                             ;   in Loop: Header=BB6_3768 Depth=3
	s_or_b64 exec, exec, s[68:69]
.LBB6_3825:                             ;   in Loop: Header=BB6_3768 Depth=3
	s_or_b64 exec, exec, s[30:31]
	v_cmp_ne_u16_e32 vcc, 0, v6
	s_and_saveexec_b64 s[30:31], vcc
	s_cbranch_execz .LBB6_3833
; %bb.3826:                             ;   in Loop: Header=BB6_3768 Depth=3
	v_cmp_ne_u16_e32 vcc, s97, v6
	v_bfrev_b32_e32 v7, 1
	s_and_saveexec_b64 s[68:69], vcc
	s_cbranch_execz .LBB6_3832
; %bb.3827:                             ;   in Loop: Header=BB6_3768 Depth=3
	v_and_b32_e32 v7, 0x7c, v6
	v_and_b32_e32 v13, 3, v6
	v_cmp_ne_u32_e32 vcc, s95, v7
                                        ; implicit-def: $vgpr7
	s_and_saveexec_b64 s[70:71], vcc
	s_xor_b64 s[70:71], exec, s[70:71]
	s_cbranch_execz .LBB6_3829
; %bb.3828:                             ;   in Loop: Header=BB6_3768 Depth=3
	v_ffbh_u32_e32 v14, v13
	v_min_u32_e32 v30, 32, v14
	v_mov_b32_e32 v7, v51
	v_bfe_u32 v29, v6, 2, 5
	v_subrev_u32_e32 v14, 29, v30
	v_lshlrev_b64 v[14:15], v14, v[6:7]
	v_sub_u32_e32 v7, 30, v30
	v_cmp_eq_u32_e32 vcc, 0, v29
	v_and_b32_e32 v14, 3, v14
	v_cndmask_b32_e32 v7, v29, v7, vcc
	v_bfrev_b32_e32 v15, 28
	v_cndmask_b32_e32 v13, v13, v14, vcc
	v_lshlrev_b32_e32 v14, 16, v16
	v_lshl_add_u32 v7, v7, 23, v15
	v_and_or_b32 v7, v14, s96, v7
	v_lshl_or_b32 v7, v13, 21, v7
                                        ; implicit-def: $vgpr13
.LBB6_3829:                             ;   in Loop: Header=BB6_3768 Depth=3
	s_andn2_saveexec_b64 s[70:71], s[70:71]
; %bb.3830:                             ;   in Loop: Header=BB6_3768 Depth=3
	v_cmp_lt_i16_e32 vcc, -1, v16
	v_mov_b32_e32 v7, 0xc7600000
	v_mov_b32_e32 v14, 0x47600000
	v_cndmask_b32_e32 v7, v7, v14, vcc
	v_cmp_eq_u32_e32 vcc, 0, v13
	v_mov_b32_e32 v13, 0x7f800001
	v_cndmask_b32_e32 v7, v13, v7, vcc
; %bb.3831:                             ;   in Loop: Header=BB6_3768 Depth=3
	s_or_b64 exec, exec, s[70:71]
.LBB6_3832:                             ;   in Loop: Header=BB6_3768 Depth=3
	s_or_b64 exec, exec, s[68:69]
.LBB6_3833:                             ;   in Loop: Header=BB6_3768 Depth=3
	s_or_b64 exec, exec, s[30:31]
	v_max_f32_e32 v7, v7, v7
	v_max_f32_e32 v12, v12, v12
	;; [unrolled: 1-line block ×3, first 2 shown]
	s_branch .LBB6_3852
.LBB6_3834:                             ;   in Loop: Header=BB6_3768 Depth=3
                                        ; implicit-def: $vgpr7
	s_cbranch_execz .LBB6_3852
; %bb.3835:                             ;   in Loop: Header=BB6_3768 Depth=3
	v_mov_b32_e32 v7, 0
	v_mov_b32_e32 v12, 0
	s_and_saveexec_b64 s[30:31], s[28:29]
	s_cbranch_execz .LBB6_3843
; %bb.3836:                             ;   in Loop: Header=BB6_3768 Depth=3
	v_cmp_ne_u16_e32 vcc, s97, v50
	v_bfrev_b32_e32 v12, 1
	s_and_saveexec_b64 s[28:29], vcc
	s_cbranch_execz .LBB6_3842
; %bb.3837:                             ;   in Loop: Header=BB6_3768 Depth=3
	v_and_b32_e32 v12, 0x7c, v50
	v_and_b32_e32 v13, 3, v50
	v_cmp_ne_u32_e32 vcc, s95, v12
                                        ; implicit-def: $vgpr12
	s_and_saveexec_b64 s[68:69], vcc
	s_xor_b64 s[68:69], exec, s[68:69]
	s_cbranch_execz .LBB6_3839
; %bb.3838:                             ;   in Loop: Header=BB6_3768 Depth=3
	v_ffbh_u32_e32 v14, v13
	v_min_u32_e32 v29, 32, v14
	v_subrev_u32_e32 v14, 29, v29
	v_bfe_u32 v12, v50, 2, 5
	v_lshlrev_b64 v[14:15], v14, v[50:51]
	v_sub_u32_e32 v15, 30, v29
	v_cmp_eq_u32_e32 vcc, 0, v12
	v_and_b32_e32 v14, 3, v14
	v_cndmask_b32_e32 v12, v12, v15, vcc
	v_bfrev_b32_e32 v15, 28
	v_cndmask_b32_e32 v13, v13, v14, vcc
	v_lshlrev_b32_e32 v14, 16, v20
	v_lshl_add_u32 v12, v12, 23, v15
	v_and_or_b32 v12, v14, s96, v12
	v_lshl_or_b32 v12, v13, 21, v12
                                        ; implicit-def: $vgpr13
.LBB6_3839:                             ;   in Loop: Header=BB6_3768 Depth=3
	s_andn2_saveexec_b64 s[68:69], s[68:69]
; %bb.3840:                             ;   in Loop: Header=BB6_3768 Depth=3
	v_cmp_lt_i16_e32 vcc, -1, v20
	v_mov_b32_e32 v12, 0xc7600000
	v_mov_b32_e32 v14, 0x47600000
	v_cndmask_b32_e32 v12, v12, v14, vcc
	v_cmp_eq_u32_e32 vcc, 0, v13
	v_mov_b32_e32 v13, 0x7f800001
	v_cndmask_b32_e32 v12, v13, v12, vcc
; %bb.3841:                             ;   in Loop: Header=BB6_3768 Depth=3
	s_or_b64 exec, exec, s[68:69]
.LBB6_3842:                             ;   in Loop: Header=BB6_3768 Depth=3
	s_or_b64 exec, exec, s[28:29]
.LBB6_3843:                             ;   in Loop: Header=BB6_3768 Depth=3
	s_or_b64 exec, exec, s[30:31]
	v_cmp_ne_u16_e32 vcc, 0, v6
	s_and_saveexec_b64 s[28:29], vcc
	s_cbranch_execz .LBB6_3851
; %bb.3844:                             ;   in Loop: Header=BB6_3768 Depth=3
	v_cmp_ne_u16_e32 vcc, s97, v6
	v_bfrev_b32_e32 v7, 1
	s_and_saveexec_b64 s[30:31], vcc
	s_cbranch_execz .LBB6_3850
; %bb.3845:                             ;   in Loop: Header=BB6_3768 Depth=3
	v_and_b32_e32 v7, 0x7c, v6
	v_and_b32_e32 v13, 3, v6
	v_cmp_ne_u32_e32 vcc, s95, v7
                                        ; implicit-def: $vgpr7
	s_and_saveexec_b64 s[68:69], vcc
	s_xor_b64 s[68:69], exec, s[68:69]
	s_cbranch_execz .LBB6_3847
; %bb.3846:                             ;   in Loop: Header=BB6_3768 Depth=3
	v_ffbh_u32_e32 v15, v13
	v_min_u32_e32 v15, 32, v15
	v_mov_b32_e32 v7, v51
	v_subrev_u32_e32 v29, 29, v15
	v_bfe_u32 v14, v6, 2, 5
	v_lshlrev_b64 v[6:7], v29, v[6:7]
	v_sub_u32_e32 v7, 30, v15
	v_cmp_eq_u32_e32 vcc, 0, v14
	v_and_b32_e32 v6, 3, v6
	v_cndmask_b32_e32 v7, v14, v7, vcc
	v_bfrev_b32_e32 v14, 28
	v_cndmask_b32_e32 v6, v13, v6, vcc
	v_lshlrev_b32_e32 v13, 16, v16
	v_lshl_add_u32 v7, v7, 23, v14
	v_and_or_b32 v7, v13, s96, v7
	v_lshl_or_b32 v7, v6, 21, v7
                                        ; implicit-def: $vgpr13
.LBB6_3847:                             ;   in Loop: Header=BB6_3768 Depth=3
	s_andn2_saveexec_b64 s[68:69], s[68:69]
; %bb.3848:                             ;   in Loop: Header=BB6_3768 Depth=3
	v_cmp_lt_i16_e32 vcc, -1, v16
	v_mov_b32_e32 v6, 0xc7600000
	v_mov_b32_e32 v7, 0x47600000
	v_cndmask_b32_e32 v6, v6, v7, vcc
	v_cmp_eq_u32_e32 vcc, 0, v13
	v_mov_b32_e32 v7, 0x7f800001
	v_cndmask_b32_e32 v7, v7, v6, vcc
; %bb.3849:                             ;   in Loop: Header=BB6_3768 Depth=3
	s_or_b64 exec, exec, s[68:69]
.LBB6_3850:                             ;   in Loop: Header=BB6_3768 Depth=3
	s_or_b64 exec, exec, s[30:31]
.LBB6_3851:                             ;   in Loop: Header=BB6_3768 Depth=3
	s_or_b64 exec, exec, s[28:29]
	v_max_f32_e32 v6, v7, v7
	v_max_f32_e32 v7, v12, v12
	v_min_f32_e32 v7, v7, v6
.LBB6_3852:                             ;   in Loop: Header=BB6_3768 Depth=3
	v_and_b32_sdwa v12, v7, s97 dst_sel:DWORD dst_unused:UNUSED_PAD src0_sel:BYTE_3 src1_sel:DWORD
	v_and_b32_e32 v14, 0x7f800000, v7
	v_mov_b32_e32 v15, v51
	v_and_b32_e32 v50, 0x7fffff, v7
	v_or_b32_e32 v29, 0x7b, v12
	v_cmp_ne_u64_e32 vcc, s[52:53], v[14:15]
	s_and_saveexec_b64 s[28:29], vcc
	s_xor_b64 s[30:31], exec, s[28:29]
	s_cbranch_execz .LBB6_3862
; %bb.3853:                             ;   in Loop: Header=BB6_3768 Depth=3
	v_and_b32_e32 v14, 0x7fffffff, v7
	v_mov_b32_e32 v15, v51
	v_cmp_gt_u64_e32 vcc, s[54:55], v[14:15]
	s_and_saveexec_b64 s[68:69], vcc
	s_cbranch_execz .LBB6_3861
; %bb.3854:                             ;   in Loop: Header=BB6_3768 Depth=3
	v_cmp_ne_u32_e32 vcc, 0, v7
	v_mov_b32_e32 v29, 0
	s_and_saveexec_b64 s[70:71], vcc
	s_cbranch_execz .LBB6_3860
; %bb.3855:                             ;   in Loop: Header=BB6_3768 Depth=3
	v_bfe_u32 v6, v7, 23, 8
	v_cmp_eq_u32_e32 vcc, 0, v6
	v_add_u32_e32 v7, 0xffffff81, v6
	v_cmp_gt_u32_e64 s[28:29], s38, v6
	v_sub_u32_e32 v6, 0x71, v6
	v_mov_b32_e32 v14, 0xffffff82
	v_cndmask_b32_e64 v6, 0, v6, s[28:29]
	v_cndmask_b32_e32 v29, v7, v14, vcc
	v_mov_b32_e32 v7, 0x70
	v_cndmask_b32_e32 v30, v6, v7, vcc
	v_add_u32_e32 v6, 21, v30
	v_or_b32_e32 v13, 0x800000, v50
	v_lshlrev_b64 v[6:7], v6, -1
	v_cndmask_b32_e32 v50, v13, v50, vcc
	v_not_b32_e32 v7, v7
	v_not_b32_e32 v6, v6
	v_add_u32_e32 v13, 20, v30
	v_and_b32_e32 v7, 0, v7
	v_and_b32_e32 v6, v50, v6
	v_lshlrev_b64 v[14:15], v13, 1
	v_cmp_eq_u64_e32 vcc, v[6:7], v[14:15]
	v_lshrrev_b64 v[6:7], v30, v[50:51]
	v_lshrrev_b32_e32 v13, 23, v6
	v_add3_u32 v15, v30, v29, v13
	v_bfe_u32 v13, v6, 21, 1
	v_add_u32_e32 v13, -1, v13
	v_cndmask_b32_e32 v13, 0, v13, vcc
	v_add_u32_e32 v13, v13, v6
	v_and_b32_e32 v13, 0x1fffff, v13
	v_add_co_u32_e32 v6, vcc, v13, v6
	v_add_u32_e32 v14, 14, v15
	v_addc_co_u32_e32 v7, vcc, 0, v7, vcc
	v_cmp_ne_u32_e32 vcc, 0, v14
                                        ; implicit-def: $vgpr13
	s_and_saveexec_b64 s[28:29], vcc
	s_xor_b64 s[28:29], exec, s[28:29]
; %bb.3856:                             ;   in Loop: Header=BB6_3768 Depth=3
	v_add_u32_e32 v13, 15, v15
	v_cmp_lt_u64_e32 vcc, s[56:57], v[6:7]
	v_cndmask_b32_e32 v13, v14, v13, vcc
	v_cndmask_b32_e64 v14, 0, 1, vcc
	v_lshrrev_b64 v[6:7], v14, v[6:7]
; %bb.3857:                             ;   in Loop: Header=BB6_3768 Depth=3
	s_andn2_saveexec_b64 s[28:29], s[28:29]
; %bb.3858:                             ;   in Loop: Header=BB6_3768 Depth=3
	v_bfe_u32 v13, v6, 23, 1
; %bb.3859:                             ;   in Loop: Header=BB6_3768 Depth=3
	s_or_b64 exec, exec, s[28:29]
	v_lshrrev_b64 v[6:7], 21, v[6:7]
	v_cmp_gt_i32_e32 vcc, 32, v13
	v_cndmask_b32_e32 v7, 0, v7, vcc
	v_cndmask_b32_e32 v6, 3, v6, vcc
	v_cmp_eq_u64_e64 s[28:29], 0, v[6:7]
	v_min_i32_e32 v7, 31, v13
	v_cmp_eq_u32_e32 vcc, 0, v13
	v_lshlrev_b32_e32 v7, 2, v7
	v_and_or_b32 v6, v6, 3, v7
	s_and_b64 s[28:29], vcc, s[28:29]
	v_cndmask_b32_e64 v6, v6, 0, s[28:29]
	v_or_b32_e32 v29, v6, v12
.LBB6_3860:                             ;   in Loop: Header=BB6_3768 Depth=3
	s_or_b64 exec, exec, s[70:71]
.LBB6_3861:                             ;   in Loop: Header=BB6_3768 Depth=3
	s_or_b64 exec, exec, s[68:69]
                                        ; implicit-def: $vgpr7
.LBB6_3862:                             ;   in Loop: Header=BB6_3768 Depth=3
	s_andn2_saveexec_b64 s[28:29], s[30:31]
; %bb.3863:                             ;   in Loop: Header=BB6_3768 Depth=3
	v_or_b32_sdwa v6, v7, s39 dst_sel:DWORD dst_unused:UNUSED_PAD src0_sel:BYTE_3 src1_sel:DWORD
	v_cmp_eq_u64_e32 vcc, 0, v[50:51]
	v_cndmask_b32_e32 v29, v6, v29, vcc
; %bb.3864:                             ;   in Loop: Header=BB6_3768 Depth=3
	s_or_b64 exec, exec, s[28:29]
	v_lshrrev_b32_e32 v12, 16, v20
	v_lshrrev_b32_e32 v6, 16, v16
	v_cmp_ne_u16_sdwa s[28:29], v12, v51 src0_sel:BYTE_0 src1_sel:DWORD
	s_and_b64 vcc, exec, s[66:67]
	s_cbranch_vccz .LBB6_3882
; %bb.3865:                             ;   in Loop: Header=BB6_3768 Depth=3
	v_mov_b32_e32 v13, 0
	v_mov_b32_e32 v7, 0
	s_and_saveexec_b64 s[30:31], s[28:29]
	s_cbranch_execz .LBB6_3873
; %bb.3866:                             ;   in Loop: Header=BB6_3768 Depth=3
	v_cmp_ne_u16_sdwa vcc, v12, s97 src0_sel:BYTE_0 src1_sel:DWORD
	v_bfrev_b32_e32 v7, 1
	s_and_saveexec_b64 s[68:69], vcc
	s_cbranch_execz .LBB6_3872
; %bb.3867:                             ;   in Loop: Header=BB6_3768 Depth=3
	v_and_b32_e32 v7, 0x7c0000, v20
	v_bfe_u32 v14, v20, 16, 2
	v_cmp_ne_u32_e32 vcc, s36, v7
                                        ; implicit-def: $vgpr7
	s_and_saveexec_b64 s[70:71], vcc
	s_xor_b64 s[70:71], exec, s[70:71]
	s_cbranch_execz .LBB6_3869
; %bb.3868:                             ;   in Loop: Header=BB6_3768 Depth=3
	v_ffbh_u32_e32 v15, v14
	v_min_u32_e32 v15, 32, v15
	v_subrev_u32_e32 v30, 29, v15
	v_bfe_u32 v7, v20, 18, 5
	v_lshlrev_b64 v[30:31], v30, v[12:13]
	v_sub_u32_e32 v15, 30, v15
	v_and_b32_e32 v30, 3, v30
	v_cmp_eq_u32_e32 vcc, 0, v7
	v_cndmask_b32_e32 v7, v7, v15, vcc
	v_cndmask_b32_e32 v14, v14, v30, vcc
	v_bfrev_b32_e32 v30, 28
	v_lshlrev_b32_e32 v15, 24, v12
	v_lshl_add_u32 v7, v7, 23, v30
	v_and_or_b32 v7, v15, s96, v7
	v_lshl_or_b32 v7, v14, 21, v7
                                        ; implicit-def: $vgpr14
.LBB6_3869:                             ;   in Loop: Header=BB6_3768 Depth=3
	s_andn2_saveexec_b64 s[70:71], s[70:71]
; %bb.3870:                             ;   in Loop: Header=BB6_3768 Depth=3
	v_mov_b32_e32 v7, -1
	v_cmp_gt_i16_sdwa vcc, sext(v12), v7 src0_sel:BYTE_0 src1_sel:DWORD
	v_mov_b32_e32 v7, 0xc7600000
	v_mov_b32_e32 v15, 0x47600000
	v_cndmask_b32_e32 v7, v7, v15, vcc
	v_cmp_eq_u32_e32 vcc, 0, v14
	v_mov_b32_e32 v14, 0x7f800001
	v_cndmask_b32_e32 v7, v14, v7, vcc
; %bb.3871:                             ;   in Loop: Header=BB6_3768 Depth=3
	s_or_b64 exec, exec, s[70:71]
.LBB6_3872:                             ;   in Loop: Header=BB6_3768 Depth=3
	s_or_b64 exec, exec, s[68:69]
.LBB6_3873:                             ;   in Loop: Header=BB6_3768 Depth=3
	s_or_b64 exec, exec, s[30:31]
	v_cmp_ne_u16_sdwa vcc, v6, v51 src0_sel:BYTE_0 src1_sel:DWORD
	s_and_saveexec_b64 s[30:31], vcc
	s_cbranch_execz .LBB6_3881
; %bb.3874:                             ;   in Loop: Header=BB6_3768 Depth=3
	v_cmp_ne_u16_sdwa vcc, v6, s97 src0_sel:BYTE_0 src1_sel:DWORD
	v_bfrev_b32_e32 v13, 1
	s_and_saveexec_b64 s[68:69], vcc
	s_cbranch_execz .LBB6_3880
; %bb.3875:                             ;   in Loop: Header=BB6_3768 Depth=3
	v_and_b32_e32 v13, 0x7c0000, v16
	v_bfe_u32 v14, v16, 16, 2
	v_cmp_ne_u32_e32 vcc, s36, v13
                                        ; implicit-def: $vgpr13
	s_and_saveexec_b64 s[70:71], vcc
	s_xor_b64 s[70:71], exec, s[70:71]
	s_cbranch_execz .LBB6_3877
; %bb.3876:                             ;   in Loop: Header=BB6_3768 Depth=3
	v_ffbh_u32_e32 v15, v14
	v_min_u32_e32 v15, 32, v15
	v_subrev_u32_e32 v30, 29, v15
	v_bfe_u32 v13, v16, 18, 5
	v_lshlrev_b64 v[30:31], v30, v[6:7]
	v_sub_u32_e32 v15, 30, v15
	v_and_b32_e32 v30, 3, v30
	v_cmp_eq_u32_e32 vcc, 0, v13
	v_cndmask_b32_e32 v13, v13, v15, vcc
	v_cndmask_b32_e32 v14, v14, v30, vcc
	v_bfrev_b32_e32 v30, 28
	v_lshlrev_b32_e32 v15, 24, v6
	v_lshl_add_u32 v13, v13, 23, v30
	v_and_or_b32 v13, v15, s96, v13
	v_lshl_or_b32 v13, v14, 21, v13
                                        ; implicit-def: $vgpr14
.LBB6_3877:                             ;   in Loop: Header=BB6_3768 Depth=3
	s_andn2_saveexec_b64 s[70:71], s[70:71]
; %bb.3878:                             ;   in Loop: Header=BB6_3768 Depth=3
	v_mov_b32_e32 v13, -1
	v_cmp_gt_i16_sdwa vcc, sext(v6), v13 src0_sel:BYTE_0 src1_sel:DWORD
	v_mov_b32_e32 v13, 0xc7600000
	v_mov_b32_e32 v15, 0x47600000
	v_cndmask_b32_e32 v13, v13, v15, vcc
	v_cmp_eq_u32_e32 vcc, 0, v14
	v_mov_b32_e32 v14, 0x7f800001
	v_cndmask_b32_e32 v13, v14, v13, vcc
; %bb.3879:                             ;   in Loop: Header=BB6_3768 Depth=3
	s_or_b64 exec, exec, s[70:71]
.LBB6_3880:                             ;   in Loop: Header=BB6_3768 Depth=3
	s_or_b64 exec, exec, s[68:69]
.LBB6_3881:                             ;   in Loop: Header=BB6_3768 Depth=3
	s_or_b64 exec, exec, s[30:31]
	v_max_f32_e32 v13, v13, v13
	v_max_f32_e32 v7, v7, v7
	;; [unrolled: 1-line block ×3, first 2 shown]
	s_branch .LBB6_3900
.LBB6_3882:                             ;   in Loop: Header=BB6_3768 Depth=3
                                        ; implicit-def: $vgpr7
	s_cbranch_execz .LBB6_3900
; %bb.3883:                             ;   in Loop: Header=BB6_3768 Depth=3
	v_mov_b32_e32 v13, 0
	v_mov_b32_e32 v7, 0
	s_and_saveexec_b64 s[30:31], s[28:29]
	s_cbranch_execz .LBB6_3891
; %bb.3884:                             ;   in Loop: Header=BB6_3768 Depth=3
	v_cmp_ne_u16_sdwa vcc, v12, s97 src0_sel:BYTE_0 src1_sel:DWORD
	v_bfrev_b32_e32 v7, 1
	s_and_saveexec_b64 s[28:29], vcc
	s_cbranch_execz .LBB6_3890
; %bb.3885:                             ;   in Loop: Header=BB6_3768 Depth=3
	v_and_b32_e32 v7, 0x7c0000, v20
	v_bfe_u32 v14, v20, 16, 2
	v_cmp_ne_u32_e32 vcc, s36, v7
                                        ; implicit-def: $vgpr7
	s_and_saveexec_b64 s[68:69], vcc
	s_xor_b64 s[68:69], exec, s[68:69]
	s_cbranch_execz .LBB6_3887
; %bb.3886:                             ;   in Loop: Header=BB6_3768 Depth=3
	v_ffbh_u32_e32 v15, v14
	v_bfe_u32 v7, v20, 18, 5
	v_min_u32_e32 v15, 32, v15
	v_subrev_u32_e32 v30, 29, v15
	v_sub_u32_e32 v15, 30, v15
	v_cmp_eq_u32_e32 vcc, 0, v7
	v_lshlrev_b64 v[30:31], v30, v[12:13]
	v_cndmask_b32_e32 v7, v7, v15, vcc
	v_bfrev_b32_e32 v15, 28
	v_and_b32_e32 v30, 3, v30
	v_lshlrev_b32_e32 v12, 24, v12
	v_lshl_add_u32 v7, v7, 23, v15
	v_cndmask_b32_e32 v14, v14, v30, vcc
	v_and_or_b32 v7, v12, s96, v7
	v_lshl_or_b32 v7, v14, 21, v7
                                        ; implicit-def: $vgpr14
                                        ; implicit-def: $vgpr12
.LBB6_3887:                             ;   in Loop: Header=BB6_3768 Depth=3
	s_andn2_saveexec_b64 s[68:69], s[68:69]
; %bb.3888:                             ;   in Loop: Header=BB6_3768 Depth=3
	v_mov_b32_e32 v7, -1
	v_cmp_gt_i16_sdwa vcc, sext(v12), v7 src0_sel:BYTE_0 src1_sel:DWORD
	v_mov_b32_e32 v7, 0xc7600000
	v_mov_b32_e32 v12, 0x47600000
	v_cndmask_b32_e32 v7, v7, v12, vcc
	v_cmp_eq_u32_e32 vcc, 0, v14
	v_mov_b32_e32 v12, 0x7f800001
	v_cndmask_b32_e32 v7, v12, v7, vcc
; %bb.3889:                             ;   in Loop: Header=BB6_3768 Depth=3
	s_or_b64 exec, exec, s[68:69]
.LBB6_3890:                             ;   in Loop: Header=BB6_3768 Depth=3
	s_or_b64 exec, exec, s[28:29]
.LBB6_3891:                             ;   in Loop: Header=BB6_3768 Depth=3
	s_or_b64 exec, exec, s[30:31]
	v_cmp_ne_u16_sdwa vcc, v6, v51 src0_sel:BYTE_0 src1_sel:DWORD
	s_and_saveexec_b64 s[28:29], vcc
	s_cbranch_execz .LBB6_3899
; %bb.3892:                             ;   in Loop: Header=BB6_3768 Depth=3
	v_cmp_ne_u16_sdwa vcc, v6, s97 src0_sel:BYTE_0 src1_sel:DWORD
	v_bfrev_b32_e32 v13, 1
	s_and_saveexec_b64 s[30:31], vcc
	s_cbranch_execz .LBB6_3898
; %bb.3893:                             ;   in Loop: Header=BB6_3768 Depth=3
	v_and_b32_e32 v13, 0x7c0000, v16
	v_bfe_u32 v12, v16, 16, 2
	v_cmp_ne_u32_e32 vcc, s36, v13
                                        ; implicit-def: $vgpr13
	s_and_saveexec_b64 s[68:69], vcc
	s_xor_b64 s[68:69], exec, s[68:69]
	s_cbranch_execz .LBB6_3895
; %bb.3894:                             ;   in Loop: Header=BB6_3768 Depth=3
	v_ffbh_u32_e32 v14, v12
	v_min_u32_e32 v30, 32, v14
	v_subrev_u32_e32 v14, 29, v30
	v_bfe_u32 v13, v16, 18, 5
	v_lshlrev_b64 v[14:15], v14, v[6:7]
	v_sub_u32_e32 v15, 30, v30
	v_and_b32_e32 v14, 3, v14
	v_cmp_eq_u32_e32 vcc, 0, v13
	v_cndmask_b32_e32 v13, v13, v15, vcc
	v_cndmask_b32_e32 v12, v12, v14, vcc
	v_bfrev_b32_e32 v14, 28
	v_lshlrev_b32_e32 v6, 24, v6
	v_lshl_add_u32 v13, v13, 23, v14
	v_and_or_b32 v6, v6, s96, v13
	v_lshl_or_b32 v13, v12, 21, v6
                                        ; implicit-def: $vgpr12
                                        ; implicit-def: $vgpr6
.LBB6_3895:                             ;   in Loop: Header=BB6_3768 Depth=3
	s_andn2_saveexec_b64 s[68:69], s[68:69]
; %bb.3896:                             ;   in Loop: Header=BB6_3768 Depth=3
	v_mov_b32_e32 v13, -1
	v_cmp_gt_i16_sdwa vcc, sext(v6), v13 src0_sel:BYTE_0 src1_sel:DWORD
	v_mov_b32_e32 v6, 0xc7600000
	v_mov_b32_e32 v13, 0x47600000
	v_cndmask_b32_e32 v6, v6, v13, vcc
	v_cmp_eq_u32_e32 vcc, 0, v12
	v_mov_b32_e32 v12, 0x7f800001
	v_cndmask_b32_e32 v13, v12, v6, vcc
; %bb.3897:                             ;   in Loop: Header=BB6_3768 Depth=3
	s_or_b64 exec, exec, s[68:69]
.LBB6_3898:                             ;   in Loop: Header=BB6_3768 Depth=3
	s_or_b64 exec, exec, s[30:31]
.LBB6_3899:                             ;   in Loop: Header=BB6_3768 Depth=3
	s_or_b64 exec, exec, s[28:29]
	v_max_f32_e32 v6, v13, v13
	v_max_f32_e32 v7, v7, v7
	v_min_f32_e32 v7, v7, v6
.LBB6_3900:                             ;   in Loop: Header=BB6_3768 Depth=3
	v_and_b32_sdwa v12, v7, s97 dst_sel:DWORD dst_unused:UNUSED_PAD src0_sel:BYTE_3 src1_sel:DWORD
	v_and_b32_e32 v14, 0x7f800000, v7
	v_mov_b32_e32 v15, v51
	v_and_b32_e32 v50, 0x7fffff, v7
	v_or_b32_e32 v30, 0x7b, v12
	v_cmp_ne_u64_e32 vcc, s[52:53], v[14:15]
	s_and_saveexec_b64 s[28:29], vcc
	s_xor_b64 s[30:31], exec, s[28:29]
	s_cbranch_execz .LBB6_3910
; %bb.3901:                             ;   in Loop: Header=BB6_3768 Depth=3
	v_and_b32_e32 v14, 0x7fffffff, v7
	v_mov_b32_e32 v15, v51
	v_cmp_gt_u64_e32 vcc, s[54:55], v[14:15]
	s_and_saveexec_b64 s[68:69], vcc
	s_cbranch_execz .LBB6_3909
; %bb.3902:                             ;   in Loop: Header=BB6_3768 Depth=3
	v_cmp_ne_u32_e32 vcc, 0, v7
	v_mov_b32_e32 v30, 0
	s_and_saveexec_b64 s[70:71], vcc
	s_cbranch_execz .LBB6_3908
; %bb.3903:                             ;   in Loop: Header=BB6_3768 Depth=3
	v_bfe_u32 v6, v7, 23, 8
	v_cmp_eq_u32_e32 vcc, 0, v6
	v_add_u32_e32 v7, 0xffffff81, v6
	v_cmp_gt_u32_e64 s[28:29], s38, v6
	v_sub_u32_e32 v6, 0x71, v6
	v_mov_b32_e32 v14, 0xffffff82
	v_cndmask_b32_e64 v6, 0, v6, s[28:29]
	v_cndmask_b32_e32 v30, v7, v14, vcc
	v_mov_b32_e32 v7, 0x70
	v_cndmask_b32_e32 v31, v6, v7, vcc
	v_add_u32_e32 v6, 21, v31
	v_or_b32_e32 v13, 0x800000, v50
	v_lshlrev_b64 v[6:7], v6, -1
	v_cndmask_b32_e32 v50, v13, v50, vcc
	v_not_b32_e32 v7, v7
	v_not_b32_e32 v6, v6
	v_add_u32_e32 v13, 20, v31
	v_and_b32_e32 v7, 0, v7
	v_and_b32_e32 v6, v50, v6
	v_lshlrev_b64 v[14:15], v13, 1
	v_cmp_eq_u64_e32 vcc, v[6:7], v[14:15]
	v_lshrrev_b64 v[6:7], v31, v[50:51]
	v_lshrrev_b32_e32 v13, 23, v6
	v_add3_u32 v15, v31, v30, v13
	v_bfe_u32 v13, v6, 21, 1
	v_add_u32_e32 v13, -1, v13
	v_cndmask_b32_e32 v13, 0, v13, vcc
	v_add_u32_e32 v13, v13, v6
	v_and_b32_e32 v13, 0x1fffff, v13
	v_add_co_u32_e32 v6, vcc, v13, v6
	v_add_u32_e32 v14, 14, v15
	v_addc_co_u32_e32 v7, vcc, 0, v7, vcc
	v_cmp_ne_u32_e32 vcc, 0, v14
                                        ; implicit-def: $vgpr13
	s_and_saveexec_b64 s[28:29], vcc
	s_xor_b64 s[28:29], exec, s[28:29]
; %bb.3904:                             ;   in Loop: Header=BB6_3768 Depth=3
	v_add_u32_e32 v13, 15, v15
	v_cmp_lt_u64_e32 vcc, s[56:57], v[6:7]
	v_cndmask_b32_e32 v13, v14, v13, vcc
	v_cndmask_b32_e64 v14, 0, 1, vcc
	v_lshrrev_b64 v[6:7], v14, v[6:7]
; %bb.3905:                             ;   in Loop: Header=BB6_3768 Depth=3
	s_andn2_saveexec_b64 s[28:29], s[28:29]
; %bb.3906:                             ;   in Loop: Header=BB6_3768 Depth=3
	v_bfe_u32 v13, v6, 23, 1
; %bb.3907:                             ;   in Loop: Header=BB6_3768 Depth=3
	s_or_b64 exec, exec, s[28:29]
	v_lshrrev_b64 v[6:7], 21, v[6:7]
	v_cmp_gt_i32_e32 vcc, 32, v13
	v_cndmask_b32_e32 v7, 0, v7, vcc
	v_cndmask_b32_e32 v6, 3, v6, vcc
	v_cmp_eq_u64_e64 s[28:29], 0, v[6:7]
	v_min_i32_e32 v7, 31, v13
	v_cmp_eq_u32_e32 vcc, 0, v13
	v_lshlrev_b32_e32 v7, 2, v7
	v_and_or_b32 v6, v6, 3, v7
	s_and_b64 s[28:29], vcc, s[28:29]
	v_cndmask_b32_e64 v6, v6, 0, s[28:29]
	v_or_b32_e32 v30, v6, v12
.LBB6_3908:                             ;   in Loop: Header=BB6_3768 Depth=3
	s_or_b64 exec, exec, s[70:71]
.LBB6_3909:                             ;   in Loop: Header=BB6_3768 Depth=3
	s_or_b64 exec, exec, s[68:69]
                                        ; implicit-def: $vgpr7
.LBB6_3910:                             ;   in Loop: Header=BB6_3768 Depth=3
	s_andn2_saveexec_b64 s[28:29], s[30:31]
; %bb.3911:                             ;   in Loop: Header=BB6_3768 Depth=3
	v_or_b32_sdwa v6, v7, s39 dst_sel:DWORD dst_unused:UNUSED_PAD src0_sel:BYTE_3 src1_sel:DWORD
	v_cmp_eq_u64_e32 vcc, 0, v[50:51]
	v_cndmask_b32_e32 v30, v6, v30, vcc
; %bb.3912:                             ;   in Loop: Header=BB6_3768 Depth=3
	s_or_b64 exec, exec, s[28:29]
	v_lshrrev_b32_e32 v12, 24, v20
	v_lshrrev_b32_e32 v6, 24, v16
	v_cmp_lt_u32_e64 s[28:29], s43, v20
	s_and_b64 vcc, exec, s[66:67]
	s_cbranch_vccz .LBB6_3930
; %bb.3913:                             ;   in Loop: Header=BB6_3768 Depth=3
	v_mov_b32_e32 v13, 0
	v_mov_b32_e32 v7, 0
	s_and_saveexec_b64 s[30:31], s[28:29]
	s_cbranch_execz .LBB6_3921
; %bb.3914:                             ;   in Loop: Header=BB6_3768 Depth=3
	v_cmp_ne_u32_e32 vcc, s97, v12
	v_bfrev_b32_e32 v7, 1
	s_and_saveexec_b64 s[68:69], vcc
	s_cbranch_execz .LBB6_3920
; %bb.3915:                             ;   in Loop: Header=BB6_3768 Depth=3
	v_and_b32_e32 v7, 0x7c000000, v20
	v_bfe_u32 v14, v20, 24, 2
	v_cmp_ne_u32_e32 vcc, s37, v7
                                        ; implicit-def: $vgpr7
	s_and_saveexec_b64 s[70:71], vcc
	s_xor_b64 s[70:71], exec, s[70:71]
	s_cbranch_execz .LBB6_3917
; %bb.3916:                             ;   in Loop: Header=BB6_3768 Depth=3
	v_ffbh_u32_e32 v15, v14
	v_bfe_u32 v7, v20, 26, 5
	v_min_u32_e32 v15, 32, v15
	v_subrev_u32_e32 v31, 29, v15
	v_sub_u32_e32 v15, 30, v15
	v_cmp_eq_u32_e32 vcc, 0, v7
	v_lshlrev_b64 v[32:33], v31, v[12:13]
	v_cndmask_b32_e32 v7, v7, v15, vcc
	v_bfrev_b32_e32 v15, 28
	v_and_b32_e32 v31, 3, v32
	v_lshl_add_u32 v7, v7, 23, v15
	v_cndmask_b32_e32 v14, v14, v31, vcc
	v_and_or_b32 v7, v20, s96, v7
	v_lshl_or_b32 v7, v14, 21, v7
                                        ; implicit-def: $vgpr14
.LBB6_3917:                             ;   in Loop: Header=BB6_3768 Depth=3
	s_andn2_saveexec_b64 s[70:71], s[70:71]
; %bb.3918:                             ;   in Loop: Header=BB6_3768 Depth=3
	v_cmp_lt_i32_e32 vcc, -1, v20
	v_mov_b32_e32 v7, 0xc7600000
	v_mov_b32_e32 v15, 0x47600000
	v_cndmask_b32_e32 v7, v7, v15, vcc
	v_cmp_eq_u32_e32 vcc, 0, v14
	v_mov_b32_e32 v14, 0x7f800001
	v_cndmask_b32_e32 v7, v14, v7, vcc
; %bb.3919:                             ;   in Loop: Header=BB6_3768 Depth=3
	s_or_b64 exec, exec, s[70:71]
.LBB6_3920:                             ;   in Loop: Header=BB6_3768 Depth=3
	s_or_b64 exec, exec, s[68:69]
.LBB6_3921:                             ;   in Loop: Header=BB6_3768 Depth=3
	s_or_b64 exec, exec, s[30:31]
	v_cmp_lt_u32_e32 vcc, s43, v16
	s_and_saveexec_b64 s[30:31], vcc
	s_cbranch_execz .LBB6_3929
; %bb.3922:                             ;   in Loop: Header=BB6_3768 Depth=3
	v_cmp_ne_u32_e32 vcc, s97, v6
	v_bfrev_b32_e32 v13, 1
	s_and_saveexec_b64 s[68:69], vcc
	s_cbranch_execz .LBB6_3928
; %bb.3923:                             ;   in Loop: Header=BB6_3768 Depth=3
	v_and_b32_e32 v13, 0x7c000000, v16
	v_bfe_u32 v14, v16, 24, 2
	v_cmp_ne_u32_e32 vcc, s37, v13
                                        ; implicit-def: $vgpr13
	s_and_saveexec_b64 s[70:71], vcc
	s_xor_b64 s[70:71], exec, s[70:71]
	s_cbranch_execz .LBB6_3925
; %bb.3924:                             ;   in Loop: Header=BB6_3768 Depth=3
	v_ffbh_u32_e32 v15, v14
	v_bfe_u32 v13, v16, 26, 5
	v_min_u32_e32 v15, 32, v15
	v_subrev_u32_e32 v31, 29, v15
	v_sub_u32_e32 v15, 30, v15
	v_cmp_eq_u32_e32 vcc, 0, v13
	v_lshlrev_b64 v[32:33], v31, v[6:7]
	v_cndmask_b32_e32 v13, v13, v15, vcc
	v_bfrev_b32_e32 v15, 28
	v_and_b32_e32 v31, 3, v32
	v_lshl_add_u32 v13, v13, 23, v15
	v_cndmask_b32_e32 v14, v14, v31, vcc
	v_and_or_b32 v13, v16, s96, v13
	v_lshl_or_b32 v13, v14, 21, v13
                                        ; implicit-def: $vgpr14
.LBB6_3925:                             ;   in Loop: Header=BB6_3768 Depth=3
	s_andn2_saveexec_b64 s[70:71], s[70:71]
; %bb.3926:                             ;   in Loop: Header=BB6_3768 Depth=3
	v_cmp_lt_i32_e32 vcc, -1, v16
	v_mov_b32_e32 v13, 0xc7600000
	v_mov_b32_e32 v15, 0x47600000
	v_cndmask_b32_e32 v13, v13, v15, vcc
	v_cmp_eq_u32_e32 vcc, 0, v14
	v_mov_b32_e32 v14, 0x7f800001
	v_cndmask_b32_e32 v13, v14, v13, vcc
; %bb.3927:                             ;   in Loop: Header=BB6_3768 Depth=3
	s_or_b64 exec, exec, s[70:71]
.LBB6_3928:                             ;   in Loop: Header=BB6_3768 Depth=3
	s_or_b64 exec, exec, s[68:69]
.LBB6_3929:                             ;   in Loop: Header=BB6_3768 Depth=3
	s_or_b64 exec, exec, s[30:31]
	v_max_f32_e32 v13, v13, v13
	v_max_f32_e32 v7, v7, v7
	;; [unrolled: 1-line block ×3, first 2 shown]
	s_branch .LBB6_3948
.LBB6_3930:                             ;   in Loop: Header=BB6_3768 Depth=3
                                        ; implicit-def: $vgpr7
	s_cbranch_execz .LBB6_3948
; %bb.3931:                             ;   in Loop: Header=BB6_3768 Depth=3
	v_mov_b32_e32 v13, 0
	v_mov_b32_e32 v7, 0
	s_and_saveexec_b64 s[30:31], s[28:29]
	s_cbranch_execz .LBB6_3939
; %bb.3932:                             ;   in Loop: Header=BB6_3768 Depth=3
	v_cmp_ne_u32_e32 vcc, s97, v12
	v_bfrev_b32_e32 v7, 1
	s_and_saveexec_b64 s[28:29], vcc
	s_cbranch_execz .LBB6_3938
; %bb.3933:                             ;   in Loop: Header=BB6_3768 Depth=3
	v_and_b32_e32 v7, 0x7c000000, v20
	v_bfe_u32 v14, v20, 24, 2
	v_cmp_ne_u32_e32 vcc, s37, v7
                                        ; implicit-def: $vgpr7
	s_and_saveexec_b64 s[68:69], vcc
	s_xor_b64 s[68:69], exec, s[68:69]
	s_cbranch_execz .LBB6_3935
; %bb.3934:                             ;   in Loop: Header=BB6_3768 Depth=3
	v_ffbh_u32_e32 v15, v14
	v_min_u32_e32 v15, 32, v15
	v_subrev_u32_e32 v31, 29, v15
	v_bfe_u32 v7, v20, 26, 5
	v_lshlrev_b64 v[32:33], v31, v[12:13]
	v_sub_u32_e32 v12, 30, v15
	v_and_b32_e32 v15, 3, v32
	v_cmp_eq_u32_e32 vcc, 0, v7
	v_cndmask_b32_e32 v7, v7, v12, vcc
	v_cndmask_b32_e32 v12, v14, v15, vcc
	v_bfrev_b32_e32 v14, 28
	v_lshl_add_u32 v7, v7, 23, v14
	v_and_or_b32 v7, v20, s96, v7
	v_lshl_or_b32 v7, v12, 21, v7
                                        ; implicit-def: $vgpr14
.LBB6_3935:                             ;   in Loop: Header=BB6_3768 Depth=3
	s_andn2_saveexec_b64 s[68:69], s[68:69]
; %bb.3936:                             ;   in Loop: Header=BB6_3768 Depth=3
	v_cmp_lt_i32_e32 vcc, -1, v20
	v_mov_b32_e32 v7, 0xc7600000
	v_mov_b32_e32 v12, 0x47600000
	v_cndmask_b32_e32 v7, v7, v12, vcc
	v_cmp_eq_u32_e32 vcc, 0, v14
	v_mov_b32_e32 v12, 0x7f800001
	v_cndmask_b32_e32 v7, v12, v7, vcc
; %bb.3937:                             ;   in Loop: Header=BB6_3768 Depth=3
	s_or_b64 exec, exec, s[68:69]
.LBB6_3938:                             ;   in Loop: Header=BB6_3768 Depth=3
	s_or_b64 exec, exec, s[28:29]
.LBB6_3939:                             ;   in Loop: Header=BB6_3768 Depth=3
	s_or_b64 exec, exec, s[30:31]
	v_cmp_lt_u32_e32 vcc, s43, v16
	s_and_saveexec_b64 s[28:29], vcc
	s_cbranch_execz .LBB6_3947
; %bb.3940:                             ;   in Loop: Header=BB6_3768 Depth=3
	v_cmp_ne_u32_e32 vcc, s97, v6
	v_bfrev_b32_e32 v13, 1
	s_and_saveexec_b64 s[30:31], vcc
	s_cbranch_execz .LBB6_3946
; %bb.3941:                             ;   in Loop: Header=BB6_3768 Depth=3
	v_and_b32_e32 v13, 0x7c000000, v16
	v_bfe_u32 v12, v16, 24, 2
	v_cmp_ne_u32_e32 vcc, s37, v13
                                        ; implicit-def: $vgpr13
	s_and_saveexec_b64 s[68:69], vcc
	s_xor_b64 s[68:69], exec, s[68:69]
	s_cbranch_execz .LBB6_3943
; %bb.3942:                             ;   in Loop: Header=BB6_3768 Depth=3
	v_ffbh_u32_e32 v14, v12
	v_min_u32_e32 v31, 32, v14
	v_bfe_u32 v13, v16, 26, 5
	v_subrev_u32_e32 v14, 29, v31
	v_lshlrev_b64 v[14:15], v14, v[6:7]
	v_sub_u32_e32 v6, 30, v31
	v_cmp_eq_u32_e32 vcc, 0, v13
	v_cndmask_b32_e32 v6, v13, v6, vcc
	v_bfrev_b32_e32 v13, 28
	v_and_b32_e32 v14, 3, v14
	v_lshl_add_u32 v6, v6, 23, v13
	v_cndmask_b32_e32 v12, v12, v14, vcc
	v_and_or_b32 v6, v16, s96, v6
	v_lshl_or_b32 v13, v12, 21, v6
                                        ; implicit-def: $vgpr12
.LBB6_3943:                             ;   in Loop: Header=BB6_3768 Depth=3
	s_andn2_saveexec_b64 s[68:69], s[68:69]
; %bb.3944:                             ;   in Loop: Header=BB6_3768 Depth=3
	v_cmp_lt_i32_e32 vcc, -1, v16
	v_mov_b32_e32 v6, 0xc7600000
	v_mov_b32_e32 v13, 0x47600000
	v_cndmask_b32_e32 v6, v6, v13, vcc
	v_cmp_eq_u32_e32 vcc, 0, v12
	v_mov_b32_e32 v12, 0x7f800001
	v_cndmask_b32_e32 v13, v12, v6, vcc
; %bb.3945:                             ;   in Loop: Header=BB6_3768 Depth=3
	s_or_b64 exec, exec, s[68:69]
.LBB6_3946:                             ;   in Loop: Header=BB6_3768 Depth=3
	s_or_b64 exec, exec, s[30:31]
.LBB6_3947:                             ;   in Loop: Header=BB6_3768 Depth=3
	s_or_b64 exec, exec, s[28:29]
	v_max_f32_e32 v6, v13, v13
	v_max_f32_e32 v7, v7, v7
	v_min_f32_e32 v7, v7, v6
.LBB6_3948:                             ;   in Loop: Header=BB6_3768 Depth=3
	v_and_b32_sdwa v12, v7, s97 dst_sel:DWORD dst_unused:UNUSED_PAD src0_sel:BYTE_3 src1_sel:DWORD
	v_and_b32_e32 v14, 0x7f800000, v7
	v_mov_b32_e32 v15, v51
	v_and_b32_e32 v50, 0x7fffff, v7
	v_or_b32_e32 v31, 0x7b, v12
	v_cmp_ne_u64_e32 vcc, s[52:53], v[14:15]
	s_and_saveexec_b64 s[28:29], vcc
	s_xor_b64 s[30:31], exec, s[28:29]
	s_cbranch_execz .LBB6_3958
; %bb.3949:                             ;   in Loop: Header=BB6_3768 Depth=3
	v_and_b32_e32 v14, 0x7fffffff, v7
	v_mov_b32_e32 v15, v51
	v_cmp_gt_u64_e32 vcc, s[54:55], v[14:15]
	s_and_saveexec_b64 s[68:69], vcc
	s_cbranch_execz .LBB6_3957
; %bb.3950:                             ;   in Loop: Header=BB6_3768 Depth=3
	v_cmp_ne_u32_e32 vcc, 0, v7
	v_mov_b32_e32 v31, 0
	s_and_saveexec_b64 s[70:71], vcc
	s_cbranch_execz .LBB6_3956
; %bb.3951:                             ;   in Loop: Header=BB6_3768 Depth=3
	v_bfe_u32 v6, v7, 23, 8
	v_cmp_eq_u32_e32 vcc, 0, v6
	v_add_u32_e32 v7, 0xffffff81, v6
	v_cmp_gt_u32_e64 s[28:29], s38, v6
	v_sub_u32_e32 v6, 0x71, v6
	v_mov_b32_e32 v14, 0xffffff82
	v_cndmask_b32_e64 v6, 0, v6, s[28:29]
	v_cndmask_b32_e32 v31, v7, v14, vcc
	v_mov_b32_e32 v7, 0x70
	v_cndmask_b32_e32 v32, v6, v7, vcc
	v_add_u32_e32 v6, 21, v32
	v_or_b32_e32 v13, 0x800000, v50
	v_lshlrev_b64 v[6:7], v6, -1
	v_cndmask_b32_e32 v50, v13, v50, vcc
	v_not_b32_e32 v7, v7
	v_not_b32_e32 v6, v6
	v_add_u32_e32 v13, 20, v32
	v_and_b32_e32 v7, 0, v7
	v_and_b32_e32 v6, v50, v6
	v_lshlrev_b64 v[14:15], v13, 1
	v_cmp_eq_u64_e32 vcc, v[6:7], v[14:15]
	v_lshrrev_b64 v[6:7], v32, v[50:51]
	v_lshrrev_b32_e32 v13, 23, v6
	v_add3_u32 v15, v32, v31, v13
	v_bfe_u32 v13, v6, 21, 1
	v_add_u32_e32 v13, -1, v13
	v_cndmask_b32_e32 v13, 0, v13, vcc
	v_add_u32_e32 v13, v13, v6
	v_and_b32_e32 v13, 0x1fffff, v13
	v_add_co_u32_e32 v6, vcc, v13, v6
	v_add_u32_e32 v14, 14, v15
	v_addc_co_u32_e32 v7, vcc, 0, v7, vcc
	v_cmp_ne_u32_e32 vcc, 0, v14
                                        ; implicit-def: $vgpr13
	s_and_saveexec_b64 s[28:29], vcc
	s_xor_b64 s[28:29], exec, s[28:29]
; %bb.3952:                             ;   in Loop: Header=BB6_3768 Depth=3
	v_add_u32_e32 v13, 15, v15
	v_cmp_lt_u64_e32 vcc, s[56:57], v[6:7]
	v_cndmask_b32_e32 v13, v14, v13, vcc
	v_cndmask_b32_e64 v14, 0, 1, vcc
	v_lshrrev_b64 v[6:7], v14, v[6:7]
; %bb.3953:                             ;   in Loop: Header=BB6_3768 Depth=3
	s_andn2_saveexec_b64 s[28:29], s[28:29]
; %bb.3954:                             ;   in Loop: Header=BB6_3768 Depth=3
	v_bfe_u32 v13, v6, 23, 1
; %bb.3955:                             ;   in Loop: Header=BB6_3768 Depth=3
	s_or_b64 exec, exec, s[28:29]
	v_lshrrev_b64 v[6:7], 21, v[6:7]
	v_cmp_gt_i32_e32 vcc, 32, v13
	v_cndmask_b32_e32 v7, 0, v7, vcc
	v_cndmask_b32_e32 v6, 3, v6, vcc
	v_cmp_eq_u64_e64 s[28:29], 0, v[6:7]
	v_min_i32_e32 v7, 31, v13
	v_cmp_eq_u32_e32 vcc, 0, v13
	v_lshlrev_b32_e32 v7, 2, v7
	v_and_or_b32 v6, v6, 3, v7
	s_and_b64 s[28:29], vcc, s[28:29]
	v_cndmask_b32_e64 v6, v6, 0, s[28:29]
	v_or_b32_e32 v31, v6, v12
.LBB6_3956:                             ;   in Loop: Header=BB6_3768 Depth=3
	s_or_b64 exec, exec, s[70:71]
.LBB6_3957:                             ;   in Loop: Header=BB6_3768 Depth=3
	s_or_b64 exec, exec, s[68:69]
                                        ; implicit-def: $vgpr7
.LBB6_3958:                             ;   in Loop: Header=BB6_3768 Depth=3
	s_andn2_saveexec_b64 s[28:29], s[30:31]
; %bb.3959:                             ;   in Loop: Header=BB6_3768 Depth=3
	v_or_b32_sdwa v6, v7, s39 dst_sel:DWORD dst_unused:UNUSED_PAD src0_sel:BYTE_3 src1_sel:DWORD
	v_cmp_eq_u64_e32 vcc, 0, v[50:51]
	v_cndmask_b32_e32 v31, v6, v31, vcc
; %bb.3960:                             ;   in Loop: Header=BB6_3768 Depth=3
	s_or_b64 exec, exec, s[28:29]
	v_mov_b32_e32 v50, v21
	v_mov_b32_e32 v6, v17
	;; [unrolled: 1-line block ×3, first 2 shown]
	v_cmp_ne_u16_sdwa s[28:29], v21, v51 src0_sel:BYTE_0 src1_sel:DWORD
	s_and_b64 vcc, exec, s[66:67]
	s_cbranch_vccz .LBB6_3978
; %bb.3961:                             ;   in Loop: Header=BB6_3768 Depth=3
	v_mov_b32_e32 v13, 0
	v_mov_b32_e32 v12, 0
	s_and_saveexec_b64 s[30:31], s[28:29]
	s_cbranch_execz .LBB6_3969
; %bb.3962:                             ;   in Loop: Header=BB6_3768 Depth=3
	v_cmp_ne_u16_sdwa vcc, v21, s97 src0_sel:BYTE_0 src1_sel:DWORD
	v_bfrev_b32_e32 v12, 1
	s_and_saveexec_b64 s[68:69], vcc
	s_cbranch_execz .LBB6_3968
; %bb.3963:                             ;   in Loop: Header=BB6_3768 Depth=3
	v_and_b32_e32 v12, 0x7c, v21
	v_and_b32_e32 v14, 3, v21
	v_cmp_ne_u32_e32 vcc, s95, v12
                                        ; implicit-def: $vgpr12
	s_and_saveexec_b64 s[70:71], vcc
	s_xor_b64 s[70:71], exec, s[70:71]
	s_cbranch_execz .LBB6_3965
; %bb.3964:                             ;   in Loop: Header=BB6_3768 Depth=3
	v_ffbh_u32_e32 v15, v14
	v_min_u32_e32 v15, 32, v15
	v_subrev_u32_e32 v32, 29, v15
	v_bfe_u32 v12, v21, 2, 5
	v_lshlrev_b64 v[32:33], v32, v[50:51]
	v_sub_u32_e32 v15, 30, v15
	v_and_b32_e32 v32, 3, v32
	v_cmp_eq_u32_e32 vcc, 0, v12
	v_cndmask_b32_e32 v12, v12, v15, vcc
	v_cndmask_b32_e32 v14, v14, v32, vcc
	v_bfrev_b32_e32 v32, 28
	v_lshlrev_b32_e32 v15, 24, v21
	v_lshl_add_u32 v12, v12, 23, v32
	v_and_or_b32 v12, v15, s96, v12
	v_lshl_or_b32 v12, v14, 21, v12
                                        ; implicit-def: $vgpr14
.LBB6_3965:                             ;   in Loop: Header=BB6_3768 Depth=3
	s_andn2_saveexec_b64 s[70:71], s[70:71]
; %bb.3966:                             ;   in Loop: Header=BB6_3768 Depth=3
	v_mov_b32_e32 v12, -1
	v_cmp_gt_i16_sdwa vcc, sext(v21), v12 src0_sel:BYTE_0 src1_sel:DWORD
	v_mov_b32_e32 v12, 0xc7600000
	v_mov_b32_e32 v15, 0x47600000
	v_cndmask_b32_e32 v12, v12, v15, vcc
	v_cmp_eq_u32_e32 vcc, 0, v14
	v_mov_b32_e32 v14, 0x7f800001
	v_cndmask_b32_e32 v12, v14, v12, vcc
; %bb.3967:                             ;   in Loop: Header=BB6_3768 Depth=3
	s_or_b64 exec, exec, s[70:71]
.LBB6_3968:                             ;   in Loop: Header=BB6_3768 Depth=3
	s_or_b64 exec, exec, s[68:69]
.LBB6_3969:                             ;   in Loop: Header=BB6_3768 Depth=3
	s_or_b64 exec, exec, s[30:31]
	v_cmp_ne_u16_sdwa vcc, v17, v51 src0_sel:BYTE_0 src1_sel:DWORD
	s_and_saveexec_b64 s[30:31], vcc
	s_cbranch_execz .LBB6_3977
; %bb.3970:                             ;   in Loop: Header=BB6_3768 Depth=3
	v_cmp_ne_u16_sdwa vcc, v17, s97 src0_sel:BYTE_0 src1_sel:DWORD
	v_bfrev_b32_e32 v13, 1
	s_and_saveexec_b64 s[68:69], vcc
	s_cbranch_execz .LBB6_3976
; %bb.3971:                             ;   in Loop: Header=BB6_3768 Depth=3
	v_and_b32_e32 v13, 0x7c, v17
	v_and_b32_e32 v14, 3, v17
	v_cmp_ne_u32_e32 vcc, s95, v13
                                        ; implicit-def: $vgpr13
	s_and_saveexec_b64 s[70:71], vcc
	s_xor_b64 s[70:71], exec, s[70:71]
	s_cbranch_execz .LBB6_3973
; %bb.3972:                             ;   in Loop: Header=BB6_3768 Depth=3
	v_ffbh_u32_e32 v15, v14
	v_min_u32_e32 v15, 32, v15
	v_subrev_u32_e32 v32, 29, v15
	v_bfe_u32 v13, v17, 2, 5
	v_lshlrev_b64 v[32:33], v32, v[6:7]
	v_sub_u32_e32 v15, 30, v15
	v_and_b32_e32 v32, 3, v32
	v_cmp_eq_u32_e32 vcc, 0, v13
	v_cndmask_b32_e32 v13, v13, v15, vcc
	v_cndmask_b32_e32 v14, v14, v32, vcc
	v_bfrev_b32_e32 v32, 28
	v_lshlrev_b32_e32 v15, 24, v17
	v_lshl_add_u32 v13, v13, 23, v32
	v_and_or_b32 v13, v15, s96, v13
	v_lshl_or_b32 v13, v14, 21, v13
                                        ; implicit-def: $vgpr14
.LBB6_3973:                             ;   in Loop: Header=BB6_3768 Depth=3
	s_andn2_saveexec_b64 s[70:71], s[70:71]
; %bb.3974:                             ;   in Loop: Header=BB6_3768 Depth=3
	v_mov_b32_e32 v13, -1
	v_cmp_gt_i16_sdwa vcc, sext(v17), v13 src0_sel:BYTE_0 src1_sel:DWORD
	v_mov_b32_e32 v13, 0xc7600000
	v_mov_b32_e32 v15, 0x47600000
	v_cndmask_b32_e32 v13, v13, v15, vcc
	v_cmp_eq_u32_e32 vcc, 0, v14
	v_mov_b32_e32 v14, 0x7f800001
	v_cndmask_b32_e32 v13, v14, v13, vcc
; %bb.3975:                             ;   in Loop: Header=BB6_3768 Depth=3
	s_or_b64 exec, exec, s[70:71]
.LBB6_3976:                             ;   in Loop: Header=BB6_3768 Depth=3
	s_or_b64 exec, exec, s[68:69]
.LBB6_3977:                             ;   in Loop: Header=BB6_3768 Depth=3
	s_or_b64 exec, exec, s[30:31]
	v_max_f32_e32 v13, v13, v13
	v_max_f32_e32 v12, v12, v12
	;; [unrolled: 1-line block ×3, first 2 shown]
	s_branch .LBB6_3996
.LBB6_3978:                             ;   in Loop: Header=BB6_3768 Depth=3
                                        ; implicit-def: $vgpr14
	s_cbranch_execz .LBB6_3996
; %bb.3979:                             ;   in Loop: Header=BB6_3768 Depth=3
	v_mov_b32_e32 v13, 0
	v_mov_b32_e32 v12, 0
	s_and_saveexec_b64 s[30:31], s[28:29]
	s_cbranch_execz .LBB6_3987
; %bb.3980:                             ;   in Loop: Header=BB6_3768 Depth=3
	v_cmp_ne_u16_sdwa vcc, v21, s97 src0_sel:BYTE_0 src1_sel:DWORD
	v_bfrev_b32_e32 v12, 1
	s_and_saveexec_b64 s[28:29], vcc
	s_cbranch_execz .LBB6_3986
; %bb.3981:                             ;   in Loop: Header=BB6_3768 Depth=3
	v_and_b32_e32 v12, 0x7c, v21
	v_and_b32_e32 v14, 3, v21
	v_cmp_ne_u32_e32 vcc, s95, v12
                                        ; implicit-def: $vgpr12
	s_and_saveexec_b64 s[68:69], vcc
	s_xor_b64 s[68:69], exec, s[68:69]
	s_cbranch_execz .LBB6_3983
; %bb.3982:                             ;   in Loop: Header=BB6_3768 Depth=3
	v_ffbh_u32_e32 v15, v14
	v_min_u32_e32 v15, 32, v15
	v_subrev_u32_e32 v32, 29, v15
	v_bfe_u32 v12, v21, 2, 5
	v_lshlrev_b64 v[32:33], v32, v[50:51]
	v_sub_u32_e32 v15, 30, v15
	v_and_b32_e32 v32, 3, v32
	v_cmp_eq_u32_e32 vcc, 0, v12
	v_cndmask_b32_e32 v12, v12, v15, vcc
	v_cndmask_b32_e32 v14, v14, v32, vcc
	v_bfrev_b32_e32 v32, 28
	v_lshlrev_b32_e32 v15, 24, v21
	v_lshl_add_u32 v12, v12, 23, v32
	v_and_or_b32 v12, v15, s96, v12
	v_lshl_or_b32 v12, v14, 21, v12
                                        ; implicit-def: $vgpr14
.LBB6_3983:                             ;   in Loop: Header=BB6_3768 Depth=3
	s_andn2_saveexec_b64 s[68:69], s[68:69]
; %bb.3984:                             ;   in Loop: Header=BB6_3768 Depth=3
	v_mov_b32_e32 v12, -1
	v_cmp_gt_i16_sdwa vcc, sext(v21), v12 src0_sel:BYTE_0 src1_sel:DWORD
	v_mov_b32_e32 v12, 0xc7600000
	v_mov_b32_e32 v15, 0x47600000
	v_cndmask_b32_e32 v12, v12, v15, vcc
	v_cmp_eq_u32_e32 vcc, 0, v14
	v_mov_b32_e32 v14, 0x7f800001
	v_cndmask_b32_e32 v12, v14, v12, vcc
; %bb.3985:                             ;   in Loop: Header=BB6_3768 Depth=3
	s_or_b64 exec, exec, s[68:69]
.LBB6_3986:                             ;   in Loop: Header=BB6_3768 Depth=3
	s_or_b64 exec, exec, s[28:29]
.LBB6_3987:                             ;   in Loop: Header=BB6_3768 Depth=3
	s_or_b64 exec, exec, s[30:31]
	v_cmp_ne_u16_sdwa vcc, v17, v51 src0_sel:BYTE_0 src1_sel:DWORD
	s_and_saveexec_b64 s[28:29], vcc
	s_cbranch_execz .LBB6_3995
; %bb.3988:                             ;   in Loop: Header=BB6_3768 Depth=3
	v_cmp_ne_u16_sdwa vcc, v17, s97 src0_sel:BYTE_0 src1_sel:DWORD
	v_bfrev_b32_e32 v13, 1
	s_and_saveexec_b64 s[30:31], vcc
	s_cbranch_execz .LBB6_3994
; %bb.3989:                             ;   in Loop: Header=BB6_3768 Depth=3
	v_and_b32_e32 v13, 0x7c, v17
	v_and_b32_e32 v14, 3, v17
	v_cmp_ne_u32_e32 vcc, s95, v13
                                        ; implicit-def: $vgpr13
	s_and_saveexec_b64 s[68:69], vcc
	s_xor_b64 s[68:69], exec, s[68:69]
	s_cbranch_execz .LBB6_3991
; %bb.3990:                             ;   in Loop: Header=BB6_3768 Depth=3
	v_ffbh_u32_e32 v15, v14
	v_min_u32_e32 v15, 32, v15
	v_subrev_u32_e32 v32, 29, v15
	v_bfe_u32 v13, v17, 2, 5
	v_lshlrev_b64 v[32:33], v32, v[6:7]
	v_sub_u32_e32 v7, 30, v15
	v_and_b32_e32 v15, 3, v32
	v_cmp_eq_u32_e32 vcc, 0, v13
	v_cndmask_b32_e32 v7, v13, v7, vcc
	v_cndmask_b32_e32 v13, v14, v15, vcc
	v_bfrev_b32_e32 v15, 28
	v_lshlrev_b32_e32 v14, 24, v17
	v_lshl_add_u32 v7, v7, 23, v15
	v_and_or_b32 v7, v14, s96, v7
	v_lshl_or_b32 v13, v13, 21, v7
                                        ; implicit-def: $vgpr14
.LBB6_3991:                             ;   in Loop: Header=BB6_3768 Depth=3
	s_andn2_saveexec_b64 s[68:69], s[68:69]
; %bb.3992:                             ;   in Loop: Header=BB6_3768 Depth=3
	v_mov_b32_e32 v7, -1
	v_cmp_gt_i16_sdwa vcc, sext(v17), v7 src0_sel:BYTE_0 src1_sel:DWORD
	v_mov_b32_e32 v7, 0xc7600000
	v_mov_b32_e32 v13, 0x47600000
	v_cndmask_b32_e32 v7, v7, v13, vcc
	v_cmp_eq_u32_e32 vcc, 0, v14
	v_mov_b32_e32 v13, 0x7f800001
	v_cndmask_b32_e32 v13, v13, v7, vcc
; %bb.3993:                             ;   in Loop: Header=BB6_3768 Depth=3
	s_or_b64 exec, exec, s[68:69]
.LBB6_3994:                             ;   in Loop: Header=BB6_3768 Depth=3
	s_or_b64 exec, exec, s[30:31]
.LBB6_3995:                             ;   in Loop: Header=BB6_3768 Depth=3
	s_or_b64 exec, exec, s[28:29]
	v_max_f32_e32 v7, v13, v13
	v_max_f32_e32 v12, v12, v12
	v_min_f32_e32 v14, v12, v7
.LBB6_3996:                             ;   in Loop: Header=BB6_3768 Depth=3
	v_and_b32_sdwa v7, v14, s97 dst_sel:DWORD dst_unused:UNUSED_PAD src0_sel:BYTE_3 src1_sel:DWORD
	v_and_b32_e32 v34, 0x7f800000, v14
	v_mov_b32_e32 v35, v51
	v_and_b32_e32 v12, 0x7fffff, v14
	v_mov_b32_e32 v13, v51
	v_or_b32_e32 v32, 0x7b, v7
	v_cmp_ne_u64_e32 vcc, s[52:53], v[34:35]
	s_and_saveexec_b64 s[28:29], vcc
	s_xor_b64 s[30:31], exec, s[28:29]
	s_cbranch_execz .LBB6_4006
; %bb.3997:                             ;   in Loop: Header=BB6_3768 Depth=3
	v_and_b32_e32 v34, 0x7fffffff, v14
	v_mov_b32_e32 v35, v51
	v_cmp_gt_u64_e32 vcc, s[54:55], v[34:35]
	s_and_saveexec_b64 s[68:69], vcc
	s_cbranch_execz .LBB6_4005
; %bb.3998:                             ;   in Loop: Header=BB6_3768 Depth=3
	v_cmp_ne_u32_e32 vcc, 0, v14
	v_mov_b32_e32 v32, 0
	s_and_saveexec_b64 s[70:71], vcc
	s_cbranch_execz .LBB6_4004
; %bb.3999:                             ;   in Loop: Header=BB6_3768 Depth=3
	v_bfe_u32 v14, v14, 23, 8
	v_cmp_eq_u32_e32 vcc, 0, v14
	v_add_u32_e32 v15, 0xffffff81, v14
	v_cmp_gt_u32_e64 s[28:29], s38, v14
	v_sub_u32_e32 v14, 0x71, v14
	v_mov_b32_e32 v33, 0xffffff82
	v_cndmask_b32_e64 v14, 0, v14, s[28:29]
	v_cndmask_b32_e32 v34, v15, v33, vcc
	v_mov_b32_e32 v15, 0x70
	v_cndmask_b32_e32 v35, v14, v15, vcc
	v_add_u32_e32 v14, 21, v35
	v_or_b32_e32 v32, 0x800000, v12
	v_lshlrev_b64 v[14:15], v14, -1
	v_cndmask_b32_e32 v12, v32, v12, vcc
	v_not_b32_e32 v15, v15
	v_not_b32_e32 v14, v14
	v_add_u32_e32 v32, 20, v35
	v_and_b32_e32 v15, 0, v15
	v_and_b32_e32 v14, v12, v14
	v_lshlrev_b64 v[32:33], v32, 1
	v_lshrrev_b64 v[12:13], v35, v[12:13]
	v_cmp_eq_u64_e32 vcc, v[14:15], v[32:33]
	v_lshrrev_b32_e32 v14, 23, v12
	v_add3_u32 v32, v35, v34, v14
	v_bfe_u32 v14, v12, 21, 1
	v_add_u32_e32 v14, -1, v14
	v_cndmask_b32_e32 v14, 0, v14, vcc
	v_add_u32_e32 v14, v14, v12
	v_and_b32_e32 v14, 0x1fffff, v14
	v_add_co_u32_e32 v12, vcc, v14, v12
	v_add_u32_e32 v15, 14, v32
	v_addc_co_u32_e32 v13, vcc, 0, v13, vcc
	v_cmp_ne_u32_e32 vcc, 0, v15
                                        ; implicit-def: $vgpr14
	s_and_saveexec_b64 s[28:29], vcc
	s_xor_b64 s[28:29], exec, s[28:29]
; %bb.4000:                             ;   in Loop: Header=BB6_3768 Depth=3
	v_add_u32_e32 v14, 15, v32
	v_cmp_lt_u64_e32 vcc, s[56:57], v[12:13]
	v_cndmask_b32_e32 v14, v15, v14, vcc
	v_cndmask_b32_e64 v15, 0, 1, vcc
	v_lshrrev_b64 v[12:13], v15, v[12:13]
; %bb.4001:                             ;   in Loop: Header=BB6_3768 Depth=3
	s_andn2_saveexec_b64 s[28:29], s[28:29]
; %bb.4002:                             ;   in Loop: Header=BB6_3768 Depth=3
	v_bfe_u32 v14, v12, 23, 1
; %bb.4003:                             ;   in Loop: Header=BB6_3768 Depth=3
	s_or_b64 exec, exec, s[28:29]
	v_lshrrev_b64 v[12:13], 21, v[12:13]
	v_cmp_gt_i32_e32 vcc, 32, v14
	v_cndmask_b32_e32 v13, 0, v13, vcc
	v_cndmask_b32_e32 v12, 3, v12, vcc
	v_cmp_eq_u64_e64 s[28:29], 0, v[12:13]
	v_min_i32_e32 v13, 31, v14
	v_cmp_eq_u32_e32 vcc, 0, v14
	v_lshlrev_b32_e32 v13, 2, v13
	v_and_or_b32 v12, v12, 3, v13
	s_and_b64 s[28:29], vcc, s[28:29]
	v_cndmask_b32_e64 v12, v12, 0, s[28:29]
	v_or_b32_e32 v32, v12, v7
.LBB6_4004:                             ;   in Loop: Header=BB6_3768 Depth=3
	s_or_b64 exec, exec, s[70:71]
.LBB6_4005:                             ;   in Loop: Header=BB6_3768 Depth=3
	s_or_b64 exec, exec, s[68:69]
                                        ; implicit-def: $vgpr14
                                        ; implicit-def: $vgpr12_vgpr13
.LBB6_4006:                             ;   in Loop: Header=BB6_3768 Depth=3
	s_andn2_saveexec_b64 s[28:29], s[30:31]
; %bb.4007:                             ;   in Loop: Header=BB6_3768 Depth=3
	v_or_b32_sdwa v7, v14, s39 dst_sel:DWORD dst_unused:UNUSED_PAD src0_sel:BYTE_3 src1_sel:DWORD
	v_cmp_eq_u64_e32 vcc, 0, v[12:13]
	v_cndmask_b32_e32 v32, v7, v32, vcc
; %bb.4008:                             ;   in Loop: Header=BB6_3768 Depth=3
	s_or_b64 exec, exec, s[28:29]
	v_lshrrev_b16_e32 v14, 8, v50
	v_lshrrev_b16_e32 v12, 8, v6
	v_cmp_ne_u16_e64 s[28:29], 0, v14
	s_and_b64 vcc, exec, s[66:67]
	s_cbranch_vccz .LBB6_4026
; %bb.4009:                             ;   in Loop: Header=BB6_3768 Depth=3
	v_mov_b32_e32 v13, 0
	v_mov_b32_e32 v7, 0
	s_and_saveexec_b64 s[30:31], s[28:29]
	s_cbranch_execz .LBB6_4017
; %bb.4010:                             ;   in Loop: Header=BB6_3768 Depth=3
	v_cmp_ne_u16_e32 vcc, s97, v14
	v_bfrev_b32_e32 v7, 1
	s_and_saveexec_b64 s[68:69], vcc
	s_cbranch_execz .LBB6_4016
; %bb.4011:                             ;   in Loop: Header=BB6_3768 Depth=3
	v_and_b32_e32 v7, 0x7c, v14
	v_and_b32_e32 v33, 3, v14
	v_cmp_ne_u32_e32 vcc, s95, v7
                                        ; implicit-def: $vgpr7
	s_and_saveexec_b64 s[70:71], vcc
	s_xor_b64 s[70:71], exec, s[70:71]
	s_cbranch_execz .LBB6_4013
; %bb.4012:                             ;   in Loop: Header=BB6_3768 Depth=3
	v_ffbh_u32_e32 v34, v33
	v_min_u32_e32 v36, 32, v34
	v_mov_b32_e32 v15, v51
	v_subrev_u32_e32 v34, 29, v36
	v_bfe_u32 v7, v14, 2, 5
	v_lshlrev_b64 v[34:35], v34, v[14:15]
	v_sub_u32_e32 v15, 30, v36
	v_and_b32_e32 v34, 3, v34
	v_cmp_eq_u32_e32 vcc, 0, v7
	v_cndmask_b32_e32 v7, v7, v15, vcc
	v_cndmask_b32_e32 v15, v33, v34, vcc
	v_bfrev_b32_e32 v34, 28
	v_lshlrev_b32_e32 v33, 16, v50
	v_lshl_add_u32 v7, v7, 23, v34
	v_and_or_b32 v7, v33, s96, v7
	v_lshl_or_b32 v7, v15, 21, v7
                                        ; implicit-def: $vgpr33
.LBB6_4013:                             ;   in Loop: Header=BB6_3768 Depth=3
	s_andn2_saveexec_b64 s[70:71], s[70:71]
; %bb.4014:                             ;   in Loop: Header=BB6_3768 Depth=3
	v_cmp_lt_i16_e32 vcc, -1, v50
	v_mov_b32_e32 v7, 0xc7600000
	v_mov_b32_e32 v15, 0x47600000
	v_cndmask_b32_e32 v7, v7, v15, vcc
	v_cmp_eq_u32_e32 vcc, 0, v33
	v_mov_b32_e32 v15, 0x7f800001
	v_cndmask_b32_e32 v7, v15, v7, vcc
; %bb.4015:                             ;   in Loop: Header=BB6_3768 Depth=3
	s_or_b64 exec, exec, s[70:71]
.LBB6_4016:                             ;   in Loop: Header=BB6_3768 Depth=3
	s_or_b64 exec, exec, s[68:69]
.LBB6_4017:                             ;   in Loop: Header=BB6_3768 Depth=3
	s_or_b64 exec, exec, s[30:31]
	v_cmp_ne_u16_e32 vcc, 0, v12
	s_and_saveexec_b64 s[30:31], vcc
	s_cbranch_execz .LBB6_4025
; %bb.4018:                             ;   in Loop: Header=BB6_3768 Depth=3
	v_cmp_ne_u16_e32 vcc, s97, v12
	v_bfrev_b32_e32 v13, 1
	s_and_saveexec_b64 s[68:69], vcc
	s_cbranch_execz .LBB6_4024
; %bb.4019:                             ;   in Loop: Header=BB6_3768 Depth=3
	v_and_b32_e32 v13, 0x7c, v12
	v_and_b32_e32 v15, 3, v12
	v_cmp_ne_u32_e32 vcc, s95, v13
                                        ; implicit-def: $vgpr13
	s_and_saveexec_b64 s[70:71], vcc
	s_xor_b64 s[70:71], exec, s[70:71]
	s_cbranch_execz .LBB6_4021
; %bb.4020:                             ;   in Loop: Header=BB6_3768 Depth=3
	v_ffbh_u32_e32 v34, v15
	v_min_u32_e32 v36, 32, v34
	v_mov_b32_e32 v13, v51
	v_subrev_u32_e32 v34, 29, v36
	v_bfe_u32 v33, v12, 2, 5
	v_lshlrev_b64 v[34:35], v34, v[12:13]
	v_sub_u32_e32 v13, 30, v36
	v_and_b32_e32 v34, 3, v34
	v_cmp_eq_u32_e32 vcc, 0, v33
	v_cndmask_b32_e32 v13, v33, v13, vcc
	v_cndmask_b32_e32 v15, v15, v34, vcc
	v_bfrev_b32_e32 v34, 28
	v_lshlrev_b32_e32 v33, 16, v6
	v_lshl_add_u32 v13, v13, 23, v34
	v_and_or_b32 v13, v33, s96, v13
	v_lshl_or_b32 v13, v15, 21, v13
                                        ; implicit-def: $vgpr15
.LBB6_4021:                             ;   in Loop: Header=BB6_3768 Depth=3
	s_andn2_saveexec_b64 s[70:71], s[70:71]
; %bb.4022:                             ;   in Loop: Header=BB6_3768 Depth=3
	v_cmp_lt_i16_e32 vcc, -1, v6
	v_mov_b32_e32 v13, 0xc7600000
	v_mov_b32_e32 v33, 0x47600000
	v_cndmask_b32_e32 v13, v13, v33, vcc
	v_cmp_eq_u32_e32 vcc, 0, v15
	v_mov_b32_e32 v15, 0x7f800001
	v_cndmask_b32_e32 v13, v15, v13, vcc
; %bb.4023:                             ;   in Loop: Header=BB6_3768 Depth=3
	s_or_b64 exec, exec, s[70:71]
.LBB6_4024:                             ;   in Loop: Header=BB6_3768 Depth=3
	s_or_b64 exec, exec, s[68:69]
.LBB6_4025:                             ;   in Loop: Header=BB6_3768 Depth=3
	s_or_b64 exec, exec, s[30:31]
	v_max_f32_e32 v13, v13, v13
	v_max_f32_e32 v7, v7, v7
	;; [unrolled: 1-line block ×3, first 2 shown]
	s_branch .LBB6_4044
.LBB6_4026:                             ;   in Loop: Header=BB6_3768 Depth=3
                                        ; implicit-def: $vgpr7
	s_cbranch_execz .LBB6_4044
; %bb.4027:                             ;   in Loop: Header=BB6_3768 Depth=3
	v_mov_b32_e32 v13, 0
	v_mov_b32_e32 v15, 0
	s_and_saveexec_b64 s[30:31], s[28:29]
	s_cbranch_execz .LBB6_4035
; %bb.4028:                             ;   in Loop: Header=BB6_3768 Depth=3
	v_cmp_ne_u16_e32 vcc, s97, v14
	v_bfrev_b32_e32 v15, 1
	s_and_saveexec_b64 s[28:29], vcc
	s_cbranch_execz .LBB6_4034
; %bb.4029:                             ;   in Loop: Header=BB6_3768 Depth=3
	v_and_b32_e32 v15, 0x7c, v14
	v_and_b32_e32 v7, 3, v14
	v_cmp_ne_u32_e32 vcc, s95, v15
                                        ; implicit-def: $vgpr15
	s_and_saveexec_b64 s[68:69], vcc
	s_xor_b64 s[68:69], exec, s[68:69]
	s_cbranch_execz .LBB6_4031
; %bb.4030:                             ;   in Loop: Header=BB6_3768 Depth=3
	v_ffbh_u32_e32 v34, v7
	v_min_u32_e32 v34, 32, v34
	v_mov_b32_e32 v15, v51
	v_subrev_u32_e32 v35, 29, v34
	v_bfe_u32 v33, v14, 2, 5
	v_lshlrev_b64 v[14:15], v35, v[14:15]
	v_sub_u32_e32 v15, 30, v34
	v_cmp_eq_u32_e32 vcc, 0, v33
	v_and_b32_e32 v14, 3, v14
	v_cndmask_b32_e32 v15, v33, v15, vcc
	v_bfrev_b32_e32 v33, 28
	v_cndmask_b32_e32 v7, v7, v14, vcc
	v_lshlrev_b32_e32 v14, 16, v50
	v_lshl_add_u32 v15, v15, 23, v33
	v_and_or_b32 v14, v14, s96, v15
	v_lshl_or_b32 v15, v7, 21, v14
                                        ; implicit-def: $vgpr7
.LBB6_4031:                             ;   in Loop: Header=BB6_3768 Depth=3
	s_andn2_saveexec_b64 s[68:69], s[68:69]
; %bb.4032:                             ;   in Loop: Header=BB6_3768 Depth=3
	v_cmp_lt_i16_e32 vcc, -1, v50
	v_mov_b32_e32 v14, 0xc7600000
	v_mov_b32_e32 v15, 0x47600000
	v_cndmask_b32_e32 v14, v14, v15, vcc
	v_cmp_eq_u32_e32 vcc, 0, v7
	v_mov_b32_e32 v7, 0x7f800001
	v_cndmask_b32_e32 v15, v7, v14, vcc
; %bb.4033:                             ;   in Loop: Header=BB6_3768 Depth=3
	s_or_b64 exec, exec, s[68:69]
.LBB6_4034:                             ;   in Loop: Header=BB6_3768 Depth=3
	s_or_b64 exec, exec, s[28:29]
.LBB6_4035:                             ;   in Loop: Header=BB6_3768 Depth=3
	s_or_b64 exec, exec, s[30:31]
	v_cmp_ne_u16_e32 vcc, 0, v12
	s_and_saveexec_b64 s[28:29], vcc
	s_cbranch_execz .LBB6_4043
; %bb.4036:                             ;   in Loop: Header=BB6_3768 Depth=3
	v_cmp_ne_u16_e32 vcc, s97, v12
	v_bfrev_b32_e32 v13, 1
	s_and_saveexec_b64 s[30:31], vcc
	s_cbranch_execz .LBB6_4042
; %bb.4037:                             ;   in Loop: Header=BB6_3768 Depth=3
	v_and_b32_e32 v7, 0x7c, v12
	v_and_b32_e32 v14, 3, v12
	v_cmp_ne_u32_e32 vcc, s95, v7
                                        ; implicit-def: $vgpr13
	s_and_saveexec_b64 s[68:69], vcc
	s_xor_b64 s[68:69], exec, s[68:69]
	s_cbranch_execz .LBB6_4039
; %bb.4038:                             ;   in Loop: Header=BB6_3768 Depth=3
	v_ffbh_u32_e32 v33, v14
	v_min_u32_e32 v33, 32, v33
	v_mov_b32_e32 v13, v51
	v_subrev_u32_e32 v34, 29, v33
	v_bfe_u32 v7, v12, 2, 5
	v_lshlrev_b64 v[12:13], v34, v[12:13]
	v_sub_u32_e32 v13, 30, v33
	v_cmp_eq_u32_e32 vcc, 0, v7
	v_cndmask_b32_e32 v7, v7, v13, vcc
	v_bfrev_b32_e32 v13, 28
	v_and_b32_e32 v12, 3, v12
	v_lshlrev_b32_e32 v6, 16, v6
	v_lshl_add_u32 v7, v7, 23, v13
	v_cndmask_b32_e32 v12, v14, v12, vcc
	v_and_or_b32 v6, v6, s96, v7
	v_lshl_or_b32 v13, v12, 21, v6
                                        ; implicit-def: $vgpr14
                                        ; implicit-def: $vgpr6_vgpr7
.LBB6_4039:                             ;   in Loop: Header=BB6_3768 Depth=3
	s_andn2_saveexec_b64 s[68:69], s[68:69]
; %bb.4040:                             ;   in Loop: Header=BB6_3768 Depth=3
	v_cmp_lt_i16_e32 vcc, -1, v6
	v_mov_b32_e32 v6, 0xc7600000
	v_mov_b32_e32 v7, 0x47600000
	v_cndmask_b32_e32 v6, v6, v7, vcc
	v_cmp_eq_u32_e32 vcc, 0, v14
	v_mov_b32_e32 v7, 0x7f800001
	v_cndmask_b32_e32 v13, v7, v6, vcc
; %bb.4041:                             ;   in Loop: Header=BB6_3768 Depth=3
	s_or_b64 exec, exec, s[68:69]
.LBB6_4042:                             ;   in Loop: Header=BB6_3768 Depth=3
	s_or_b64 exec, exec, s[30:31]
.LBB6_4043:                             ;   in Loop: Header=BB6_3768 Depth=3
	s_or_b64 exec, exec, s[28:29]
	v_max_f32_e32 v6, v13, v13
	v_max_f32_e32 v7, v15, v15
	v_min_f32_e32 v7, v7, v6
.LBB6_4044:                             ;   in Loop: Header=BB6_3768 Depth=3
	v_and_b32_sdwa v12, v7, s97 dst_sel:DWORD dst_unused:UNUSED_PAD src0_sel:BYTE_3 src1_sel:DWORD
	v_and_b32_e32 v14, 0x7f800000, v7
	v_mov_b32_e32 v15, v51
	v_and_b32_e32 v50, 0x7fffff, v7
	v_or_b32_e32 v33, 0x7b, v12
	v_cmp_ne_u64_e32 vcc, s[52:53], v[14:15]
	s_and_saveexec_b64 s[28:29], vcc
	s_xor_b64 s[30:31], exec, s[28:29]
	s_cbranch_execz .LBB6_4054
; %bb.4045:                             ;   in Loop: Header=BB6_3768 Depth=3
	v_and_b32_e32 v14, 0x7fffffff, v7
	v_mov_b32_e32 v15, v51
	v_cmp_gt_u64_e32 vcc, s[54:55], v[14:15]
	s_and_saveexec_b64 s[68:69], vcc
	s_cbranch_execz .LBB6_4053
; %bb.4046:                             ;   in Loop: Header=BB6_3768 Depth=3
	v_cmp_ne_u32_e32 vcc, 0, v7
	v_mov_b32_e32 v33, 0
	s_and_saveexec_b64 s[70:71], vcc
	s_cbranch_execz .LBB6_4052
; %bb.4047:                             ;   in Loop: Header=BB6_3768 Depth=3
	v_bfe_u32 v6, v7, 23, 8
	v_cmp_eq_u32_e32 vcc, 0, v6
	v_add_u32_e32 v7, 0xffffff81, v6
	v_cmp_gt_u32_e64 s[28:29], s38, v6
	v_sub_u32_e32 v6, 0x71, v6
	v_mov_b32_e32 v14, 0xffffff82
	v_cndmask_b32_e64 v6, 0, v6, s[28:29]
	v_cndmask_b32_e32 v33, v7, v14, vcc
	v_mov_b32_e32 v7, 0x70
	v_cndmask_b32_e32 v34, v6, v7, vcc
	v_add_u32_e32 v6, 21, v34
	v_or_b32_e32 v13, 0x800000, v50
	v_lshlrev_b64 v[6:7], v6, -1
	v_cndmask_b32_e32 v50, v13, v50, vcc
	v_not_b32_e32 v7, v7
	v_not_b32_e32 v6, v6
	v_add_u32_e32 v13, 20, v34
	v_and_b32_e32 v7, 0, v7
	v_and_b32_e32 v6, v50, v6
	v_lshlrev_b64 v[14:15], v13, 1
	v_cmp_eq_u64_e32 vcc, v[6:7], v[14:15]
	v_lshrrev_b64 v[6:7], v34, v[50:51]
	v_lshrrev_b32_e32 v13, 23, v6
	v_add3_u32 v15, v34, v33, v13
	v_bfe_u32 v13, v6, 21, 1
	v_add_u32_e32 v13, -1, v13
	v_cndmask_b32_e32 v13, 0, v13, vcc
	v_add_u32_e32 v13, v13, v6
	v_and_b32_e32 v13, 0x1fffff, v13
	v_add_co_u32_e32 v6, vcc, v13, v6
	v_add_u32_e32 v14, 14, v15
	v_addc_co_u32_e32 v7, vcc, 0, v7, vcc
	v_cmp_ne_u32_e32 vcc, 0, v14
                                        ; implicit-def: $vgpr13
	s_and_saveexec_b64 s[28:29], vcc
	s_xor_b64 s[28:29], exec, s[28:29]
; %bb.4048:                             ;   in Loop: Header=BB6_3768 Depth=3
	v_add_u32_e32 v13, 15, v15
	v_cmp_lt_u64_e32 vcc, s[56:57], v[6:7]
	v_cndmask_b32_e32 v13, v14, v13, vcc
	v_cndmask_b32_e64 v14, 0, 1, vcc
	v_lshrrev_b64 v[6:7], v14, v[6:7]
; %bb.4049:                             ;   in Loop: Header=BB6_3768 Depth=3
	s_andn2_saveexec_b64 s[28:29], s[28:29]
; %bb.4050:                             ;   in Loop: Header=BB6_3768 Depth=3
	v_bfe_u32 v13, v6, 23, 1
; %bb.4051:                             ;   in Loop: Header=BB6_3768 Depth=3
	s_or_b64 exec, exec, s[28:29]
	v_lshrrev_b64 v[6:7], 21, v[6:7]
	v_cmp_gt_i32_e32 vcc, 32, v13
	v_cndmask_b32_e32 v7, 0, v7, vcc
	v_cndmask_b32_e32 v6, 3, v6, vcc
	v_cmp_eq_u64_e64 s[28:29], 0, v[6:7]
	v_min_i32_e32 v7, 31, v13
	v_cmp_eq_u32_e32 vcc, 0, v13
	v_lshlrev_b32_e32 v7, 2, v7
	v_and_or_b32 v6, v6, 3, v7
	s_and_b64 s[28:29], vcc, s[28:29]
	v_cndmask_b32_e64 v6, v6, 0, s[28:29]
	v_or_b32_e32 v33, v6, v12
.LBB6_4052:                             ;   in Loop: Header=BB6_3768 Depth=3
	s_or_b64 exec, exec, s[70:71]
.LBB6_4053:                             ;   in Loop: Header=BB6_3768 Depth=3
	s_or_b64 exec, exec, s[68:69]
                                        ; implicit-def: $vgpr7
.LBB6_4054:                             ;   in Loop: Header=BB6_3768 Depth=3
	s_andn2_saveexec_b64 s[28:29], s[30:31]
; %bb.4055:                             ;   in Loop: Header=BB6_3768 Depth=3
	v_or_b32_sdwa v6, v7, s39 dst_sel:DWORD dst_unused:UNUSED_PAD src0_sel:BYTE_3 src1_sel:DWORD
	v_cmp_eq_u64_e32 vcc, 0, v[50:51]
	v_cndmask_b32_e32 v33, v6, v33, vcc
; %bb.4056:                             ;   in Loop: Header=BB6_3768 Depth=3
	s_or_b64 exec, exec, s[28:29]
	v_lshrrev_b32_e32 v12, 16, v21
	v_lshrrev_b32_e32 v6, 16, v17
	v_cmp_ne_u16_sdwa s[28:29], v12, v51 src0_sel:BYTE_0 src1_sel:DWORD
	s_and_b64 vcc, exec, s[66:67]
	s_cbranch_vccz .LBB6_4074
; %bb.4057:                             ;   in Loop: Header=BB6_3768 Depth=3
	v_mov_b32_e32 v13, 0
	v_mov_b32_e32 v7, 0
	s_and_saveexec_b64 s[30:31], s[28:29]
	s_cbranch_execz .LBB6_4065
; %bb.4058:                             ;   in Loop: Header=BB6_3768 Depth=3
	v_cmp_ne_u16_sdwa vcc, v12, s97 src0_sel:BYTE_0 src1_sel:DWORD
	v_bfrev_b32_e32 v7, 1
	s_and_saveexec_b64 s[68:69], vcc
	s_cbranch_execz .LBB6_4064
; %bb.4059:                             ;   in Loop: Header=BB6_3768 Depth=3
	v_and_b32_e32 v7, 0x7c0000, v21
	v_bfe_u32 v14, v21, 16, 2
	v_cmp_ne_u32_e32 vcc, s36, v7
                                        ; implicit-def: $vgpr7
	s_and_saveexec_b64 s[70:71], vcc
	s_xor_b64 s[70:71], exec, s[70:71]
	s_cbranch_execz .LBB6_4061
; %bb.4060:                             ;   in Loop: Header=BB6_3768 Depth=3
	v_ffbh_u32_e32 v15, v14
	v_min_u32_e32 v15, 32, v15
	v_subrev_u32_e32 v34, 29, v15
	v_bfe_u32 v7, v21, 18, 5
	v_lshlrev_b64 v[34:35], v34, v[12:13]
	v_sub_u32_e32 v15, 30, v15
	v_and_b32_e32 v34, 3, v34
	v_cmp_eq_u32_e32 vcc, 0, v7
	v_cndmask_b32_e32 v7, v7, v15, vcc
	v_cndmask_b32_e32 v14, v14, v34, vcc
	v_bfrev_b32_e32 v34, 28
	v_lshlrev_b32_e32 v15, 24, v12
	v_lshl_add_u32 v7, v7, 23, v34
	v_and_or_b32 v7, v15, s96, v7
	v_lshl_or_b32 v7, v14, 21, v7
                                        ; implicit-def: $vgpr14
.LBB6_4061:                             ;   in Loop: Header=BB6_3768 Depth=3
	s_andn2_saveexec_b64 s[70:71], s[70:71]
; %bb.4062:                             ;   in Loop: Header=BB6_3768 Depth=3
	v_mov_b32_e32 v7, -1
	v_cmp_gt_i16_sdwa vcc, sext(v12), v7 src0_sel:BYTE_0 src1_sel:DWORD
	v_mov_b32_e32 v7, 0xc7600000
	v_mov_b32_e32 v15, 0x47600000
	v_cndmask_b32_e32 v7, v7, v15, vcc
	v_cmp_eq_u32_e32 vcc, 0, v14
	v_mov_b32_e32 v14, 0x7f800001
	v_cndmask_b32_e32 v7, v14, v7, vcc
; %bb.4063:                             ;   in Loop: Header=BB6_3768 Depth=3
	s_or_b64 exec, exec, s[70:71]
.LBB6_4064:                             ;   in Loop: Header=BB6_3768 Depth=3
	s_or_b64 exec, exec, s[68:69]
.LBB6_4065:                             ;   in Loop: Header=BB6_3768 Depth=3
	s_or_b64 exec, exec, s[30:31]
	v_cmp_ne_u16_sdwa vcc, v6, v51 src0_sel:BYTE_0 src1_sel:DWORD
	s_and_saveexec_b64 s[30:31], vcc
	s_cbranch_execz .LBB6_4073
; %bb.4066:                             ;   in Loop: Header=BB6_3768 Depth=3
	v_cmp_ne_u16_sdwa vcc, v6, s97 src0_sel:BYTE_0 src1_sel:DWORD
	v_bfrev_b32_e32 v13, 1
	s_and_saveexec_b64 s[68:69], vcc
	s_cbranch_execz .LBB6_4072
; %bb.4067:                             ;   in Loop: Header=BB6_3768 Depth=3
	v_and_b32_e32 v13, 0x7c0000, v17
	v_bfe_u32 v14, v17, 16, 2
	v_cmp_ne_u32_e32 vcc, s36, v13
                                        ; implicit-def: $vgpr13
	s_and_saveexec_b64 s[70:71], vcc
	s_xor_b64 s[70:71], exec, s[70:71]
	s_cbranch_execz .LBB6_4069
; %bb.4068:                             ;   in Loop: Header=BB6_3768 Depth=3
	v_ffbh_u32_e32 v15, v14
	v_min_u32_e32 v15, 32, v15
	v_subrev_u32_e32 v34, 29, v15
	v_bfe_u32 v13, v17, 18, 5
	v_lshlrev_b64 v[34:35], v34, v[6:7]
	v_sub_u32_e32 v15, 30, v15
	v_and_b32_e32 v34, 3, v34
	v_cmp_eq_u32_e32 vcc, 0, v13
	v_cndmask_b32_e32 v13, v13, v15, vcc
	v_cndmask_b32_e32 v14, v14, v34, vcc
	v_bfrev_b32_e32 v34, 28
	v_lshlrev_b32_e32 v15, 24, v6
	v_lshl_add_u32 v13, v13, 23, v34
	v_and_or_b32 v13, v15, s96, v13
	v_lshl_or_b32 v13, v14, 21, v13
                                        ; implicit-def: $vgpr14
.LBB6_4069:                             ;   in Loop: Header=BB6_3768 Depth=3
	s_andn2_saveexec_b64 s[70:71], s[70:71]
; %bb.4070:                             ;   in Loop: Header=BB6_3768 Depth=3
	v_mov_b32_e32 v13, -1
	v_cmp_gt_i16_sdwa vcc, sext(v6), v13 src0_sel:BYTE_0 src1_sel:DWORD
	v_mov_b32_e32 v13, 0xc7600000
	v_mov_b32_e32 v15, 0x47600000
	v_cndmask_b32_e32 v13, v13, v15, vcc
	v_cmp_eq_u32_e32 vcc, 0, v14
	v_mov_b32_e32 v14, 0x7f800001
	v_cndmask_b32_e32 v13, v14, v13, vcc
; %bb.4071:                             ;   in Loop: Header=BB6_3768 Depth=3
	s_or_b64 exec, exec, s[70:71]
.LBB6_4072:                             ;   in Loop: Header=BB6_3768 Depth=3
	s_or_b64 exec, exec, s[68:69]
.LBB6_4073:                             ;   in Loop: Header=BB6_3768 Depth=3
	s_or_b64 exec, exec, s[30:31]
	v_max_f32_e32 v13, v13, v13
	v_max_f32_e32 v7, v7, v7
	;; [unrolled: 1-line block ×3, first 2 shown]
	s_branch .LBB6_4092
.LBB6_4074:                             ;   in Loop: Header=BB6_3768 Depth=3
                                        ; implicit-def: $vgpr7
	s_cbranch_execz .LBB6_4092
; %bb.4075:                             ;   in Loop: Header=BB6_3768 Depth=3
	v_mov_b32_e32 v13, 0
	v_mov_b32_e32 v7, 0
	s_and_saveexec_b64 s[30:31], s[28:29]
	s_cbranch_execz .LBB6_4083
; %bb.4076:                             ;   in Loop: Header=BB6_3768 Depth=3
	v_cmp_ne_u16_sdwa vcc, v12, s97 src0_sel:BYTE_0 src1_sel:DWORD
	v_bfrev_b32_e32 v7, 1
	s_and_saveexec_b64 s[28:29], vcc
	s_cbranch_execz .LBB6_4082
; %bb.4077:                             ;   in Loop: Header=BB6_3768 Depth=3
	v_and_b32_e32 v7, 0x7c0000, v21
	v_bfe_u32 v14, v21, 16, 2
	v_cmp_ne_u32_e32 vcc, s36, v7
                                        ; implicit-def: $vgpr7
	s_and_saveexec_b64 s[68:69], vcc
	s_xor_b64 s[68:69], exec, s[68:69]
	s_cbranch_execz .LBB6_4079
; %bb.4078:                             ;   in Loop: Header=BB6_3768 Depth=3
	v_ffbh_u32_e32 v15, v14
	v_bfe_u32 v7, v21, 18, 5
	v_min_u32_e32 v15, 32, v15
	v_subrev_u32_e32 v34, 29, v15
	v_sub_u32_e32 v15, 30, v15
	v_cmp_eq_u32_e32 vcc, 0, v7
	v_lshlrev_b64 v[34:35], v34, v[12:13]
	v_cndmask_b32_e32 v7, v7, v15, vcc
	v_bfrev_b32_e32 v15, 28
	v_and_b32_e32 v34, 3, v34
	v_lshlrev_b32_e32 v12, 24, v12
	v_lshl_add_u32 v7, v7, 23, v15
	v_cndmask_b32_e32 v14, v14, v34, vcc
	v_and_or_b32 v7, v12, s96, v7
	v_lshl_or_b32 v7, v14, 21, v7
                                        ; implicit-def: $vgpr14
                                        ; implicit-def: $vgpr12
.LBB6_4079:                             ;   in Loop: Header=BB6_3768 Depth=3
	s_andn2_saveexec_b64 s[68:69], s[68:69]
; %bb.4080:                             ;   in Loop: Header=BB6_3768 Depth=3
	v_mov_b32_e32 v7, -1
	v_cmp_gt_i16_sdwa vcc, sext(v12), v7 src0_sel:BYTE_0 src1_sel:DWORD
	v_mov_b32_e32 v7, 0xc7600000
	v_mov_b32_e32 v12, 0x47600000
	v_cndmask_b32_e32 v7, v7, v12, vcc
	v_cmp_eq_u32_e32 vcc, 0, v14
	v_mov_b32_e32 v12, 0x7f800001
	v_cndmask_b32_e32 v7, v12, v7, vcc
; %bb.4081:                             ;   in Loop: Header=BB6_3768 Depth=3
	s_or_b64 exec, exec, s[68:69]
.LBB6_4082:                             ;   in Loop: Header=BB6_3768 Depth=3
	s_or_b64 exec, exec, s[28:29]
.LBB6_4083:                             ;   in Loop: Header=BB6_3768 Depth=3
	s_or_b64 exec, exec, s[30:31]
	v_cmp_ne_u16_sdwa vcc, v6, v51 src0_sel:BYTE_0 src1_sel:DWORD
	s_and_saveexec_b64 s[28:29], vcc
	s_cbranch_execz .LBB6_4091
; %bb.4084:                             ;   in Loop: Header=BB6_3768 Depth=3
	v_cmp_ne_u16_sdwa vcc, v6, s97 src0_sel:BYTE_0 src1_sel:DWORD
	v_bfrev_b32_e32 v13, 1
	s_and_saveexec_b64 s[30:31], vcc
	s_cbranch_execz .LBB6_4090
; %bb.4085:                             ;   in Loop: Header=BB6_3768 Depth=3
	v_and_b32_e32 v13, 0x7c0000, v17
	v_bfe_u32 v12, v17, 16, 2
	v_cmp_ne_u32_e32 vcc, s36, v13
                                        ; implicit-def: $vgpr13
	s_and_saveexec_b64 s[68:69], vcc
	s_xor_b64 s[68:69], exec, s[68:69]
	s_cbranch_execz .LBB6_4087
; %bb.4086:                             ;   in Loop: Header=BB6_3768 Depth=3
	v_ffbh_u32_e32 v14, v12
	v_min_u32_e32 v34, 32, v14
	v_subrev_u32_e32 v14, 29, v34
	v_bfe_u32 v13, v17, 18, 5
	v_lshlrev_b64 v[14:15], v14, v[6:7]
	v_sub_u32_e32 v15, 30, v34
	v_and_b32_e32 v14, 3, v14
	v_cmp_eq_u32_e32 vcc, 0, v13
	v_cndmask_b32_e32 v13, v13, v15, vcc
	v_cndmask_b32_e32 v12, v12, v14, vcc
	v_bfrev_b32_e32 v14, 28
	v_lshlrev_b32_e32 v6, 24, v6
	v_lshl_add_u32 v13, v13, 23, v14
	v_and_or_b32 v6, v6, s96, v13
	v_lshl_or_b32 v13, v12, 21, v6
                                        ; implicit-def: $vgpr12
                                        ; implicit-def: $vgpr6
.LBB6_4087:                             ;   in Loop: Header=BB6_3768 Depth=3
	s_andn2_saveexec_b64 s[68:69], s[68:69]
; %bb.4088:                             ;   in Loop: Header=BB6_3768 Depth=3
	v_mov_b32_e32 v13, -1
	v_cmp_gt_i16_sdwa vcc, sext(v6), v13 src0_sel:BYTE_0 src1_sel:DWORD
	v_mov_b32_e32 v6, 0xc7600000
	v_mov_b32_e32 v13, 0x47600000
	v_cndmask_b32_e32 v6, v6, v13, vcc
	v_cmp_eq_u32_e32 vcc, 0, v12
	v_mov_b32_e32 v12, 0x7f800001
	v_cndmask_b32_e32 v13, v12, v6, vcc
; %bb.4089:                             ;   in Loop: Header=BB6_3768 Depth=3
	s_or_b64 exec, exec, s[68:69]
.LBB6_4090:                             ;   in Loop: Header=BB6_3768 Depth=3
	s_or_b64 exec, exec, s[30:31]
.LBB6_4091:                             ;   in Loop: Header=BB6_3768 Depth=3
	s_or_b64 exec, exec, s[28:29]
	v_max_f32_e32 v6, v13, v13
	v_max_f32_e32 v7, v7, v7
	v_min_f32_e32 v7, v7, v6
.LBB6_4092:                             ;   in Loop: Header=BB6_3768 Depth=3
	v_and_b32_sdwa v12, v7, s97 dst_sel:DWORD dst_unused:UNUSED_PAD src0_sel:BYTE_3 src1_sel:DWORD
	v_and_b32_e32 v14, 0x7f800000, v7
	v_mov_b32_e32 v15, v51
	v_and_b32_e32 v50, 0x7fffff, v7
	v_or_b32_e32 v34, 0x7b, v12
	v_cmp_ne_u64_e32 vcc, s[52:53], v[14:15]
	s_and_saveexec_b64 s[28:29], vcc
	s_xor_b64 s[30:31], exec, s[28:29]
	s_cbranch_execz .LBB6_4102
; %bb.4093:                             ;   in Loop: Header=BB6_3768 Depth=3
	v_and_b32_e32 v14, 0x7fffffff, v7
	v_mov_b32_e32 v15, v51
	v_cmp_gt_u64_e32 vcc, s[54:55], v[14:15]
	s_and_saveexec_b64 s[68:69], vcc
	s_cbranch_execz .LBB6_4101
; %bb.4094:                             ;   in Loop: Header=BB6_3768 Depth=3
	v_cmp_ne_u32_e32 vcc, 0, v7
	v_mov_b32_e32 v34, 0
	s_and_saveexec_b64 s[70:71], vcc
	s_cbranch_execz .LBB6_4100
; %bb.4095:                             ;   in Loop: Header=BB6_3768 Depth=3
	v_bfe_u32 v6, v7, 23, 8
	v_cmp_eq_u32_e32 vcc, 0, v6
	v_add_u32_e32 v7, 0xffffff81, v6
	v_cmp_gt_u32_e64 s[28:29], s38, v6
	v_sub_u32_e32 v6, 0x71, v6
	v_mov_b32_e32 v14, 0xffffff82
	v_cndmask_b32_e64 v6, 0, v6, s[28:29]
	v_cndmask_b32_e32 v34, v7, v14, vcc
	v_mov_b32_e32 v7, 0x70
	v_cndmask_b32_e32 v35, v6, v7, vcc
	v_add_u32_e32 v6, 21, v35
	v_or_b32_e32 v13, 0x800000, v50
	v_lshlrev_b64 v[6:7], v6, -1
	v_cndmask_b32_e32 v50, v13, v50, vcc
	v_not_b32_e32 v7, v7
	v_not_b32_e32 v6, v6
	v_add_u32_e32 v13, 20, v35
	v_and_b32_e32 v7, 0, v7
	v_and_b32_e32 v6, v50, v6
	v_lshlrev_b64 v[14:15], v13, 1
	v_cmp_eq_u64_e32 vcc, v[6:7], v[14:15]
	v_lshrrev_b64 v[6:7], v35, v[50:51]
	v_lshrrev_b32_e32 v13, 23, v6
	v_add3_u32 v15, v35, v34, v13
	v_bfe_u32 v13, v6, 21, 1
	v_add_u32_e32 v13, -1, v13
	v_cndmask_b32_e32 v13, 0, v13, vcc
	v_add_u32_e32 v13, v13, v6
	v_and_b32_e32 v13, 0x1fffff, v13
	v_add_co_u32_e32 v6, vcc, v13, v6
	v_add_u32_e32 v14, 14, v15
	v_addc_co_u32_e32 v7, vcc, 0, v7, vcc
	v_cmp_ne_u32_e32 vcc, 0, v14
                                        ; implicit-def: $vgpr13
	s_and_saveexec_b64 s[28:29], vcc
	s_xor_b64 s[28:29], exec, s[28:29]
; %bb.4096:                             ;   in Loop: Header=BB6_3768 Depth=3
	v_add_u32_e32 v13, 15, v15
	v_cmp_lt_u64_e32 vcc, s[56:57], v[6:7]
	v_cndmask_b32_e32 v13, v14, v13, vcc
	v_cndmask_b32_e64 v14, 0, 1, vcc
	v_lshrrev_b64 v[6:7], v14, v[6:7]
; %bb.4097:                             ;   in Loop: Header=BB6_3768 Depth=3
	s_andn2_saveexec_b64 s[28:29], s[28:29]
; %bb.4098:                             ;   in Loop: Header=BB6_3768 Depth=3
	v_bfe_u32 v13, v6, 23, 1
; %bb.4099:                             ;   in Loop: Header=BB6_3768 Depth=3
	s_or_b64 exec, exec, s[28:29]
	v_lshrrev_b64 v[6:7], 21, v[6:7]
	v_cmp_gt_i32_e32 vcc, 32, v13
	v_cndmask_b32_e32 v7, 0, v7, vcc
	v_cndmask_b32_e32 v6, 3, v6, vcc
	v_cmp_eq_u64_e64 s[28:29], 0, v[6:7]
	v_min_i32_e32 v7, 31, v13
	v_cmp_eq_u32_e32 vcc, 0, v13
	v_lshlrev_b32_e32 v7, 2, v7
	v_and_or_b32 v6, v6, 3, v7
	s_and_b64 s[28:29], vcc, s[28:29]
	v_cndmask_b32_e64 v6, v6, 0, s[28:29]
	v_or_b32_e32 v34, v6, v12
.LBB6_4100:                             ;   in Loop: Header=BB6_3768 Depth=3
	s_or_b64 exec, exec, s[70:71]
.LBB6_4101:                             ;   in Loop: Header=BB6_3768 Depth=3
	s_or_b64 exec, exec, s[68:69]
                                        ; implicit-def: $vgpr7
.LBB6_4102:                             ;   in Loop: Header=BB6_3768 Depth=3
	s_andn2_saveexec_b64 s[28:29], s[30:31]
; %bb.4103:                             ;   in Loop: Header=BB6_3768 Depth=3
	v_or_b32_sdwa v6, v7, s39 dst_sel:DWORD dst_unused:UNUSED_PAD src0_sel:BYTE_3 src1_sel:DWORD
	v_cmp_eq_u64_e32 vcc, 0, v[50:51]
	v_cndmask_b32_e32 v34, v6, v34, vcc
; %bb.4104:                             ;   in Loop: Header=BB6_3768 Depth=3
	s_or_b64 exec, exec, s[28:29]
	v_lshrrev_b32_e32 v12, 24, v21
	v_lshrrev_b32_e32 v6, 24, v17
	v_cmp_lt_u64_e64 s[28:29], s[42:43], v[20:21]
	s_and_b64 vcc, exec, s[66:67]
	s_cbranch_vccz .LBB6_4122
; %bb.4105:                             ;   in Loop: Header=BB6_3768 Depth=3
	v_mov_b32_e32 v13, 0
	v_mov_b32_e32 v7, 0
	s_and_saveexec_b64 s[30:31], s[28:29]
	s_cbranch_execz .LBB6_4113
; %bb.4106:                             ;   in Loop: Header=BB6_3768 Depth=3
	v_cmp_ne_u32_e32 vcc, s97, v12
	v_bfrev_b32_e32 v7, 1
	s_and_saveexec_b64 s[68:69], vcc
	s_cbranch_execz .LBB6_4112
; %bb.4107:                             ;   in Loop: Header=BB6_3768 Depth=3
	v_and_b32_e32 v7, 0x7c000000, v21
	v_bfe_u32 v14, v21, 24, 2
	v_cmp_ne_u32_e32 vcc, s37, v7
                                        ; implicit-def: $vgpr7
	s_and_saveexec_b64 s[70:71], vcc
	s_xor_b64 s[70:71], exec, s[70:71]
	s_cbranch_execz .LBB6_4109
; %bb.4108:                             ;   in Loop: Header=BB6_3768 Depth=3
	v_ffbh_u32_e32 v15, v14
	v_bfe_u32 v7, v21, 26, 5
	v_min_u32_e32 v15, 32, v15
	v_subrev_u32_e32 v35, 29, v15
	v_sub_u32_e32 v15, 30, v15
	v_cmp_eq_u32_e32 vcc, 0, v7
	v_lshlrev_b64 v[36:37], v35, v[12:13]
	v_cndmask_b32_e32 v7, v7, v15, vcc
	v_bfrev_b32_e32 v15, 28
	v_and_b32_e32 v35, 3, v36
	v_lshl_add_u32 v7, v7, 23, v15
	v_cndmask_b32_e32 v14, v14, v35, vcc
	v_and_or_b32 v7, v21, s96, v7
	v_lshl_or_b32 v7, v14, 21, v7
                                        ; implicit-def: $vgpr14
.LBB6_4109:                             ;   in Loop: Header=BB6_3768 Depth=3
	s_andn2_saveexec_b64 s[70:71], s[70:71]
; %bb.4110:                             ;   in Loop: Header=BB6_3768 Depth=3
	v_cmp_lt_i64_e32 vcc, -1, v[20:21]
	v_mov_b32_e32 v7, 0xc7600000
	v_mov_b32_e32 v15, 0x47600000
	v_cndmask_b32_e32 v7, v7, v15, vcc
	v_cmp_eq_u32_e32 vcc, 0, v14
	v_mov_b32_e32 v14, 0x7f800001
	v_cndmask_b32_e32 v7, v14, v7, vcc
; %bb.4111:                             ;   in Loop: Header=BB6_3768 Depth=3
	s_or_b64 exec, exec, s[70:71]
.LBB6_4112:                             ;   in Loop: Header=BB6_3768 Depth=3
	s_or_b64 exec, exec, s[68:69]
.LBB6_4113:                             ;   in Loop: Header=BB6_3768 Depth=3
	s_or_b64 exec, exec, s[30:31]
	v_cmp_lt_u64_e32 vcc, s[42:43], v[16:17]
	s_and_saveexec_b64 s[30:31], vcc
	s_cbranch_execz .LBB6_4121
; %bb.4114:                             ;   in Loop: Header=BB6_3768 Depth=3
	v_cmp_ne_u32_e32 vcc, s97, v6
	v_bfrev_b32_e32 v13, 1
	s_and_saveexec_b64 s[68:69], vcc
	s_cbranch_execz .LBB6_4120
; %bb.4115:                             ;   in Loop: Header=BB6_3768 Depth=3
	v_and_b32_e32 v13, 0x7c000000, v17
	v_bfe_u32 v14, v17, 24, 2
	v_cmp_ne_u32_e32 vcc, s37, v13
                                        ; implicit-def: $vgpr13
	s_and_saveexec_b64 s[70:71], vcc
	s_xor_b64 s[70:71], exec, s[70:71]
	s_cbranch_execz .LBB6_4117
; %bb.4116:                             ;   in Loop: Header=BB6_3768 Depth=3
	v_ffbh_u32_e32 v15, v14
	v_bfe_u32 v13, v17, 26, 5
	v_min_u32_e32 v15, 32, v15
	v_subrev_u32_e32 v35, 29, v15
	v_sub_u32_e32 v15, 30, v15
	v_cmp_eq_u32_e32 vcc, 0, v13
	v_lshlrev_b64 v[36:37], v35, v[6:7]
	v_cndmask_b32_e32 v13, v13, v15, vcc
	v_bfrev_b32_e32 v15, 28
	v_and_b32_e32 v35, 3, v36
	v_lshl_add_u32 v13, v13, 23, v15
	v_cndmask_b32_e32 v14, v14, v35, vcc
	v_and_or_b32 v13, v17, s96, v13
	v_lshl_or_b32 v13, v14, 21, v13
                                        ; implicit-def: $vgpr14
.LBB6_4117:                             ;   in Loop: Header=BB6_3768 Depth=3
	s_andn2_saveexec_b64 s[70:71], s[70:71]
; %bb.4118:                             ;   in Loop: Header=BB6_3768 Depth=3
	v_cmp_lt_i64_e32 vcc, -1, v[16:17]
	v_mov_b32_e32 v13, 0xc7600000
	v_mov_b32_e32 v15, 0x47600000
	v_cndmask_b32_e32 v13, v13, v15, vcc
	v_cmp_eq_u32_e32 vcc, 0, v14
	v_mov_b32_e32 v14, 0x7f800001
	v_cndmask_b32_e32 v13, v14, v13, vcc
; %bb.4119:                             ;   in Loop: Header=BB6_3768 Depth=3
	s_or_b64 exec, exec, s[70:71]
.LBB6_4120:                             ;   in Loop: Header=BB6_3768 Depth=3
	s_or_b64 exec, exec, s[68:69]
.LBB6_4121:                             ;   in Loop: Header=BB6_3768 Depth=3
	s_or_b64 exec, exec, s[30:31]
	v_max_f32_e32 v13, v13, v13
	v_max_f32_e32 v7, v7, v7
	;; [unrolled: 1-line block ×3, first 2 shown]
	s_branch .LBB6_4140
.LBB6_4122:                             ;   in Loop: Header=BB6_3768 Depth=3
                                        ; implicit-def: $vgpr7
	s_cbranch_execz .LBB6_4140
; %bb.4123:                             ;   in Loop: Header=BB6_3768 Depth=3
	v_mov_b32_e32 v13, 0
	v_mov_b32_e32 v7, 0
	s_and_saveexec_b64 s[30:31], s[28:29]
	s_cbranch_execz .LBB6_4131
; %bb.4124:                             ;   in Loop: Header=BB6_3768 Depth=3
	v_cmp_ne_u32_e32 vcc, s97, v12
	v_bfrev_b32_e32 v7, 1
	s_and_saveexec_b64 s[28:29], vcc
	s_cbranch_execz .LBB6_4130
; %bb.4125:                             ;   in Loop: Header=BB6_3768 Depth=3
	v_and_b32_e32 v7, 0x7c000000, v21
	v_bfe_u32 v14, v21, 24, 2
	v_cmp_ne_u32_e32 vcc, s37, v7
                                        ; implicit-def: $vgpr7
	s_and_saveexec_b64 s[68:69], vcc
	s_xor_b64 s[68:69], exec, s[68:69]
	s_cbranch_execz .LBB6_4127
; %bb.4126:                             ;   in Loop: Header=BB6_3768 Depth=3
	v_ffbh_u32_e32 v15, v14
	v_min_u32_e32 v15, 32, v15
	v_subrev_u32_e32 v20, 29, v15
	v_bfe_u32 v7, v21, 26, 5
	v_lshlrev_b64 v[36:37], v20, v[12:13]
	v_sub_u32_e32 v12, 30, v15
	v_and_b32_e32 v15, 3, v36
	v_cmp_eq_u32_e32 vcc, 0, v7
	v_cndmask_b32_e32 v7, v7, v12, vcc
	v_cndmask_b32_e32 v12, v14, v15, vcc
	v_bfrev_b32_e32 v14, 28
	v_lshl_add_u32 v7, v7, 23, v14
	v_and_or_b32 v7, v21, s96, v7
	v_lshl_or_b32 v7, v12, 21, v7
                                        ; implicit-def: $vgpr14
.LBB6_4127:                             ;   in Loop: Header=BB6_3768 Depth=3
	s_andn2_saveexec_b64 s[68:69], s[68:69]
; %bb.4128:                             ;   in Loop: Header=BB6_3768 Depth=3
	v_cmp_lt_i64_e32 vcc, -1, v[20:21]
	v_mov_b32_e32 v7, 0xc7600000
	v_mov_b32_e32 v12, 0x47600000
	v_cndmask_b32_e32 v7, v7, v12, vcc
	v_cmp_eq_u32_e32 vcc, 0, v14
	v_mov_b32_e32 v12, 0x7f800001
	v_cndmask_b32_e32 v7, v12, v7, vcc
; %bb.4129:                             ;   in Loop: Header=BB6_3768 Depth=3
	s_or_b64 exec, exec, s[68:69]
.LBB6_4130:                             ;   in Loop: Header=BB6_3768 Depth=3
	s_or_b64 exec, exec, s[28:29]
.LBB6_4131:                             ;   in Loop: Header=BB6_3768 Depth=3
	s_or_b64 exec, exec, s[30:31]
	v_cmp_lt_u64_e32 vcc, s[42:43], v[16:17]
	s_and_saveexec_b64 s[28:29], vcc
	s_cbranch_execz .LBB6_4139
; %bb.4132:                             ;   in Loop: Header=BB6_3768 Depth=3
	v_cmp_ne_u32_e32 vcc, s97, v6
	v_bfrev_b32_e32 v13, 1
	s_and_saveexec_b64 s[30:31], vcc
	s_cbranch_execz .LBB6_4138
; %bb.4133:                             ;   in Loop: Header=BB6_3768 Depth=3
	v_and_b32_e32 v13, 0x7c000000, v17
	v_bfe_u32 v12, v17, 24, 2
	v_cmp_ne_u32_e32 vcc, s37, v13
                                        ; implicit-def: $vgpr13
	s_and_saveexec_b64 s[68:69], vcc
	s_xor_b64 s[68:69], exec, s[68:69]
	s_cbranch_execz .LBB6_4135
; %bb.4134:                             ;   in Loop: Header=BB6_3768 Depth=3
	v_ffbh_u32_e32 v14, v12
	v_min_u32_e32 v16, 32, v14
	v_bfe_u32 v13, v17, 26, 5
	v_subrev_u32_e32 v14, 29, v16
	v_lshlrev_b64 v[14:15], v14, v[6:7]
	v_sub_u32_e32 v6, 30, v16
	v_cmp_eq_u32_e32 vcc, 0, v13
	v_cndmask_b32_e32 v6, v13, v6, vcc
	v_bfrev_b32_e32 v13, 28
	v_and_b32_e32 v14, 3, v14
	v_lshl_add_u32 v6, v6, 23, v13
	v_cndmask_b32_e32 v12, v12, v14, vcc
	v_and_or_b32 v6, v17, s96, v6
	v_lshl_or_b32 v13, v12, 21, v6
                                        ; implicit-def: $vgpr12
.LBB6_4135:                             ;   in Loop: Header=BB6_3768 Depth=3
	s_andn2_saveexec_b64 s[68:69], s[68:69]
; %bb.4136:                             ;   in Loop: Header=BB6_3768 Depth=3
	v_cmp_lt_i64_e32 vcc, -1, v[16:17]
	v_mov_b32_e32 v6, 0xc7600000
	v_mov_b32_e32 v13, 0x47600000
	v_cndmask_b32_e32 v6, v6, v13, vcc
	v_cmp_eq_u32_e32 vcc, 0, v12
	v_mov_b32_e32 v12, 0x7f800001
	v_cndmask_b32_e32 v13, v12, v6, vcc
; %bb.4137:                             ;   in Loop: Header=BB6_3768 Depth=3
	s_or_b64 exec, exec, s[68:69]
.LBB6_4138:                             ;   in Loop: Header=BB6_3768 Depth=3
	s_or_b64 exec, exec, s[30:31]
.LBB6_4139:                             ;   in Loop: Header=BB6_3768 Depth=3
	s_or_b64 exec, exec, s[28:29]
	v_max_f32_e32 v6, v13, v13
	v_max_f32_e32 v7, v7, v7
	v_min_f32_e32 v7, v7, v6
.LBB6_4140:                             ;   in Loop: Header=BB6_3768 Depth=3
	v_and_b32_sdwa v12, v7, s97 dst_sel:DWORD dst_unused:UNUSED_PAD src0_sel:BYTE_3 src1_sel:DWORD
	v_and_b32_e32 v14, 0x7f800000, v7
	v_mov_b32_e32 v15, v51
	v_and_b32_e32 v50, 0x7fffff, v7
	v_or_b32_e32 v16, 0x7b, v12
	v_cmp_ne_u64_e32 vcc, s[52:53], v[14:15]
	s_and_saveexec_b64 s[28:29], vcc
	s_xor_b64 s[30:31], exec, s[28:29]
	s_cbranch_execz .LBB6_4168
; %bb.4141:                             ;   in Loop: Header=BB6_3768 Depth=3
	v_and_b32_e32 v14, 0x7fffffff, v7
	v_mov_b32_e32 v15, v51
	v_cmp_gt_u64_e32 vcc, s[54:55], v[14:15]
	s_and_saveexec_b64 s[68:69], vcc
	s_cbranch_execz .LBB6_4149
; %bb.4142:                             ;   in Loop: Header=BB6_3768 Depth=3
	v_cmp_ne_u32_e32 vcc, 0, v7
	v_mov_b32_e32 v16, 0
	s_and_saveexec_b64 s[70:71], vcc
	s_cbranch_execz .LBB6_4148
; %bb.4143:                             ;   in Loop: Header=BB6_3768 Depth=3
	v_bfe_u32 v6, v7, 23, 8
	v_cmp_eq_u32_e32 vcc, 0, v6
	v_add_u32_e32 v7, 0xffffff81, v6
	v_cmp_gt_u32_e64 s[28:29], s38, v6
	v_sub_u32_e32 v6, 0x71, v6
	v_mov_b32_e32 v14, 0xffffff82
	v_cndmask_b32_e64 v6, 0, v6, s[28:29]
	v_cndmask_b32_e32 v16, v7, v14, vcc
	v_mov_b32_e32 v7, 0x70
	v_cndmask_b32_e32 v17, v6, v7, vcc
	v_add_u32_e32 v6, 21, v17
	v_or_b32_e32 v13, 0x800000, v50
	v_lshlrev_b64 v[6:7], v6, -1
	v_cndmask_b32_e32 v50, v13, v50, vcc
	v_not_b32_e32 v7, v7
	v_not_b32_e32 v6, v6
	v_add_u32_e32 v13, 20, v17
	v_and_b32_e32 v7, 0, v7
	v_and_b32_e32 v6, v50, v6
	v_lshlrev_b64 v[14:15], v13, 1
	v_cmp_eq_u64_e32 vcc, v[6:7], v[14:15]
	v_lshrrev_b64 v[6:7], v17, v[50:51]
	v_lshrrev_b32_e32 v13, 23, v6
	v_add3_u32 v15, v17, v16, v13
	v_bfe_u32 v13, v6, 21, 1
	v_add_u32_e32 v13, -1, v13
	v_cndmask_b32_e32 v13, 0, v13, vcc
	v_add_u32_e32 v13, v13, v6
	v_and_b32_e32 v13, 0x1fffff, v13
	v_add_co_u32_e32 v6, vcc, v13, v6
	v_add_u32_e32 v14, 14, v15
	v_addc_co_u32_e32 v7, vcc, 0, v7, vcc
	v_cmp_ne_u32_e32 vcc, 0, v14
                                        ; implicit-def: $vgpr13
	s_and_saveexec_b64 s[28:29], vcc
	s_xor_b64 s[28:29], exec, s[28:29]
; %bb.4144:                             ;   in Loop: Header=BB6_3768 Depth=3
	v_add_u32_e32 v13, 15, v15
	v_cmp_lt_u64_e32 vcc, s[56:57], v[6:7]
	v_cndmask_b32_e32 v13, v14, v13, vcc
	v_cndmask_b32_e64 v14, 0, 1, vcc
	v_lshrrev_b64 v[6:7], v14, v[6:7]
; %bb.4145:                             ;   in Loop: Header=BB6_3768 Depth=3
	s_andn2_saveexec_b64 s[28:29], s[28:29]
; %bb.4146:                             ;   in Loop: Header=BB6_3768 Depth=3
	v_bfe_u32 v13, v6, 23, 1
; %bb.4147:                             ;   in Loop: Header=BB6_3768 Depth=3
	s_or_b64 exec, exec, s[28:29]
	v_lshrrev_b64 v[6:7], 21, v[6:7]
	v_cmp_gt_i32_e32 vcc, 32, v13
	v_cndmask_b32_e32 v7, 0, v7, vcc
	v_cndmask_b32_e32 v6, 3, v6, vcc
	v_cmp_eq_u64_e64 s[28:29], 0, v[6:7]
	v_min_i32_e32 v7, 31, v13
	v_lshlrev_b32_e32 v7, 2, v7
	v_cmp_eq_u32_e32 vcc, 0, v13
	v_and_b32_e32 v7, 0xfc, v7
	v_and_or_b32 v6, v6, 3, v7
	s_and_b64 s[28:29], vcc, s[28:29]
	v_cndmask_b32_e64 v6, v6, 0, s[28:29]
	v_or_b32_e32 v16, v6, v12
.LBB6_4148:                             ;   in Loop: Header=BB6_3768 Depth=3
	s_or_b64 exec, exec, s[70:71]
.LBB6_4149:                             ;   in Loop: Header=BB6_3768 Depth=3
	s_or_b64 exec, exec, s[68:69]
                                        ; implicit-def: $vgpr7
	s_andn2_saveexec_b64 s[28:29], s[30:31]
	s_cbranch_execnz .LBB6_4169
.LBB6_4150:                             ;   in Loop: Header=BB6_3768 Depth=3
	s_or_b64 exec, exec, s[28:29]
	v_cmp_ne_u16_sdwa s[28:29], v22, v51 src0_sel:BYTE_0 src1_sel:DWORD
	s_and_b64 vcc, exec, s[66:67]
	s_cbranch_vccz .LBB6_4170
.LBB6_4151:                             ;   in Loop: Header=BB6_3768 Depth=3
	v_mov_b32_e32 v7, 0
	v_mov_b32_e32 v6, 0
	s_and_saveexec_b64 s[30:31], s[28:29]
	s_cbranch_execz .LBB6_4159
; %bb.4152:                             ;   in Loop: Header=BB6_3768 Depth=3
	v_cmp_ne_u16_sdwa vcc, sext(v22), s94 src0_sel:BYTE_0 src1_sel:DWORD
	v_bfrev_b32_e32 v6, 1
	s_and_saveexec_b64 s[68:69], vcc
	s_cbranch_execz .LBB6_4158
; %bb.4153:                             ;   in Loop: Header=BB6_3768 Depth=3
	v_and_b32_e32 v6, 0x7c, v22
	v_and_b32_e32 v12, 3, v22
	v_cmp_ne_u32_e32 vcc, s95, v6
                                        ; implicit-def: $vgpr6
	s_and_saveexec_b64 s[70:71], vcc
	s_xor_b64 s[70:71], exec, s[70:71]
	s_cbranch_execz .LBB6_4155
; %bb.4154:                             ;   in Loop: Header=BB6_3768 Depth=3
	v_ffbh_u32_e32 v13, v12
	v_min_u32_e32 v13, 32, v13
	v_subrev_u32_e32 v14, 29, v13
	v_bfe_u32 v6, v22, 2, 5
	v_lshlrev_b64 v[14:15], v14, v[22:23]
	v_sub_u32_e32 v13, 30, v13
	v_and_b32_e32 v14, 3, v14
	v_cmp_eq_u32_e32 vcc, 0, v6
	v_cndmask_b32_e32 v6, v6, v13, vcc
	v_cndmask_b32_e32 v12, v12, v14, vcc
	v_bfrev_b32_e32 v14, 28
	v_lshlrev_b32_e32 v13, 24, v22
	v_lshl_add_u32 v6, v6, 23, v14
	v_and_or_b32 v6, v13, s96, v6
	v_lshl_or_b32 v6, v12, 21, v6
                                        ; implicit-def: $vgpr12
.LBB6_4155:                             ;   in Loop: Header=BB6_3768 Depth=3
	s_andn2_saveexec_b64 s[70:71], s[70:71]
; %bb.4156:                             ;   in Loop: Header=BB6_3768 Depth=3
	v_mov_b32_e32 v6, -1
	v_cmp_gt_i16_sdwa vcc, sext(v22), v6 src0_sel:BYTE_0 src1_sel:DWORD
	v_mov_b32_e32 v6, 0xc7600000
	v_mov_b32_e32 v13, 0x47600000
	v_cndmask_b32_e32 v6, v6, v13, vcc
	v_cmp_eq_u32_e32 vcc, 0, v12
	v_mov_b32_e32 v12, 0x7f800001
	v_cndmask_b32_e32 v6, v12, v6, vcc
; %bb.4157:                             ;   in Loop: Header=BB6_3768 Depth=3
	s_or_b64 exec, exec, s[70:71]
.LBB6_4158:                             ;   in Loop: Header=BB6_3768 Depth=3
	s_or_b64 exec, exec, s[68:69]
.LBB6_4159:                             ;   in Loop: Header=BB6_3768 Depth=3
	s_or_b64 exec, exec, s[30:31]
	v_cmp_ne_u16_sdwa vcc, sext(v18), v51 src0_sel:BYTE_0 src1_sel:DWORD
	s_and_saveexec_b64 s[30:31], vcc
	s_cbranch_execz .LBB6_4167
; %bb.4160:                             ;   in Loop: Header=BB6_3768 Depth=3
	v_cmp_ne_u16_sdwa vcc, sext(v18), s94 src0_sel:BYTE_0 src1_sel:DWORD
	v_bfrev_b32_e32 v7, 1
	s_and_saveexec_b64 s[68:69], vcc
	s_cbranch_execz .LBB6_4166
; %bb.4161:                             ;   in Loop: Header=BB6_3768 Depth=3
	v_and_b32_e32 v7, 0x7c, v18
	v_and_b32_e32 v12, 3, v18
	v_cmp_ne_u32_e32 vcc, s95, v7
                                        ; implicit-def: $vgpr7
	s_and_saveexec_b64 s[70:71], vcc
	s_xor_b64 s[70:71], exec, s[70:71]
	s_cbranch_execz .LBB6_4163
; %bb.4162:                             ;   in Loop: Header=BB6_3768 Depth=3
	v_ffbh_u32_e32 v13, v12
	v_min_u32_e32 v13, 32, v13
	v_subrev_u32_e32 v14, 29, v13
	v_bfe_u32 v7, v18, 2, 5
	v_lshlrev_b64 v[14:15], v14, v[18:19]
	v_sub_u32_e32 v13, 30, v13
	v_and_b32_e32 v14, 3, v14
	v_cmp_eq_u32_e32 vcc, 0, v7
	v_cndmask_b32_e32 v7, v7, v13, vcc
	v_cndmask_b32_e32 v12, v12, v14, vcc
	v_bfrev_b32_e32 v14, 28
	v_lshlrev_b32_e32 v13, 24, v18
	v_lshl_add_u32 v7, v7, 23, v14
	v_and_or_b32 v7, v13, s96, v7
	v_lshl_or_b32 v7, v12, 21, v7
                                        ; implicit-def: $vgpr12
.LBB6_4163:                             ;   in Loop: Header=BB6_3768 Depth=3
	s_andn2_saveexec_b64 s[70:71], s[70:71]
; %bb.4164:                             ;   in Loop: Header=BB6_3768 Depth=3
	v_mov_b32_e32 v7, -1
	v_cmp_gt_i16_sdwa vcc, sext(v18), v7 src0_sel:BYTE_0 src1_sel:DWORD
	v_mov_b32_e32 v7, 0xc7600000
	v_mov_b32_e32 v13, 0x47600000
	v_cndmask_b32_e32 v7, v7, v13, vcc
	v_cmp_eq_u32_e32 vcc, 0, v12
	v_mov_b32_e32 v12, 0x7f800001
	v_cndmask_b32_e32 v7, v12, v7, vcc
; %bb.4165:                             ;   in Loop: Header=BB6_3768 Depth=3
	s_or_b64 exec, exec, s[70:71]
.LBB6_4166:                             ;   in Loop: Header=BB6_3768 Depth=3
	s_or_b64 exec, exec, s[68:69]
.LBB6_4167:                             ;   in Loop: Header=BB6_3768 Depth=3
	s_or_b64 exec, exec, s[30:31]
	v_max_f32_e32 v7, v7, v7
	v_max_f32_e32 v6, v6, v6
	;; [unrolled: 1-line block ×3, first 2 shown]
	s_branch .LBB6_4188
.LBB6_4168:                             ;   in Loop: Header=BB6_3768 Depth=3
	s_andn2_saveexec_b64 s[28:29], s[30:31]
	s_cbranch_execz .LBB6_4150
.LBB6_4169:                             ;   in Loop: Header=BB6_3768 Depth=3
	v_or_b32_sdwa v6, v7, s39 dst_sel:DWORD dst_unused:UNUSED_PAD src0_sel:BYTE_3 src1_sel:DWORD
	v_cmp_eq_u64_e32 vcc, 0, v[50:51]
	v_cndmask_b32_e32 v16, v6, v16, vcc
	s_or_b64 exec, exec, s[28:29]
	v_cmp_ne_u16_sdwa s[28:29], v22, v51 src0_sel:BYTE_0 src1_sel:DWORD
	s_and_b64 vcc, exec, s[66:67]
	s_cbranch_vccnz .LBB6_4151
.LBB6_4170:                             ;   in Loop: Header=BB6_3768 Depth=3
                                        ; implicit-def: $vgpr6
	s_cbranch_execz .LBB6_4188
; %bb.4171:                             ;   in Loop: Header=BB6_3768 Depth=3
	v_mov_b32_e32 v7, 0
	v_mov_b32_e32 v6, 0
	s_and_saveexec_b64 s[30:31], s[28:29]
	s_cbranch_execz .LBB6_4179
; %bb.4172:                             ;   in Loop: Header=BB6_3768 Depth=3
	v_cmp_ne_u16_sdwa vcc, sext(v22), s94 src0_sel:BYTE_0 src1_sel:DWORD
	v_bfrev_b32_e32 v6, 1
	s_and_saveexec_b64 s[28:29], vcc
	s_cbranch_execz .LBB6_4178
; %bb.4173:                             ;   in Loop: Header=BB6_3768 Depth=3
	v_and_b32_e32 v6, 0x7c, v22
	v_and_b32_e32 v12, 3, v22
	v_cmp_ne_u32_e32 vcc, s95, v6
                                        ; implicit-def: $vgpr6
	s_and_saveexec_b64 s[68:69], vcc
	s_xor_b64 s[68:69], exec, s[68:69]
	s_cbranch_execz .LBB6_4175
; %bb.4174:                             ;   in Loop: Header=BB6_3768 Depth=3
	v_ffbh_u32_e32 v13, v12
	v_min_u32_e32 v13, 32, v13
	v_subrev_u32_e32 v14, 29, v13
	v_bfe_u32 v6, v22, 2, 5
	v_lshlrev_b64 v[14:15], v14, v[22:23]
	v_sub_u32_e32 v13, 30, v13
	v_and_b32_e32 v14, 3, v14
	v_cmp_eq_u32_e32 vcc, 0, v6
	v_cndmask_b32_e32 v6, v6, v13, vcc
	v_cndmask_b32_e32 v12, v12, v14, vcc
	v_bfrev_b32_e32 v14, 28
	v_lshlrev_b32_e32 v13, 24, v22
	v_lshl_add_u32 v6, v6, 23, v14
	v_and_or_b32 v6, v13, s96, v6
	v_lshl_or_b32 v6, v12, 21, v6
                                        ; implicit-def: $vgpr12
.LBB6_4175:                             ;   in Loop: Header=BB6_3768 Depth=3
	s_andn2_saveexec_b64 s[68:69], s[68:69]
; %bb.4176:                             ;   in Loop: Header=BB6_3768 Depth=3
	v_mov_b32_e32 v6, -1
	v_cmp_gt_i16_sdwa vcc, sext(v22), v6 src0_sel:BYTE_0 src1_sel:DWORD
	v_mov_b32_e32 v6, 0xc7600000
	v_mov_b32_e32 v13, 0x47600000
	v_cndmask_b32_e32 v6, v6, v13, vcc
	v_cmp_eq_u32_e32 vcc, 0, v12
	v_mov_b32_e32 v12, 0x7f800001
	v_cndmask_b32_e32 v6, v12, v6, vcc
; %bb.4177:                             ;   in Loop: Header=BB6_3768 Depth=3
	s_or_b64 exec, exec, s[68:69]
.LBB6_4178:                             ;   in Loop: Header=BB6_3768 Depth=3
	s_or_b64 exec, exec, s[28:29]
.LBB6_4179:                             ;   in Loop: Header=BB6_3768 Depth=3
	s_or_b64 exec, exec, s[30:31]
	v_cmp_ne_u16_sdwa vcc, sext(v18), v51 src0_sel:BYTE_0 src1_sel:DWORD
	s_and_saveexec_b64 s[28:29], vcc
	s_cbranch_execz .LBB6_4187
; %bb.4180:                             ;   in Loop: Header=BB6_3768 Depth=3
	v_cmp_ne_u16_sdwa vcc, sext(v18), s94 src0_sel:BYTE_0 src1_sel:DWORD
	v_bfrev_b32_e32 v7, 1
	s_and_saveexec_b64 s[30:31], vcc
	s_cbranch_execz .LBB6_4186
; %bb.4181:                             ;   in Loop: Header=BB6_3768 Depth=3
	v_and_b32_e32 v7, 0x7c, v18
	v_and_b32_e32 v12, 3, v18
	v_cmp_ne_u32_e32 vcc, s95, v7
                                        ; implicit-def: $vgpr7
	s_and_saveexec_b64 s[68:69], vcc
	s_xor_b64 s[68:69], exec, s[68:69]
	s_cbranch_execz .LBB6_4183
; %bb.4182:                             ;   in Loop: Header=BB6_3768 Depth=3
	v_ffbh_u32_e32 v13, v12
	v_min_u32_e32 v13, 32, v13
	v_subrev_u32_e32 v14, 29, v13
	v_bfe_u32 v7, v18, 2, 5
	v_lshlrev_b64 v[14:15], v14, v[18:19]
	v_sub_u32_e32 v13, 30, v13
	v_and_b32_e32 v14, 3, v14
	v_cmp_eq_u32_e32 vcc, 0, v7
	v_cndmask_b32_e32 v7, v7, v13, vcc
	v_cndmask_b32_e32 v12, v12, v14, vcc
	v_bfrev_b32_e32 v14, 28
	v_lshlrev_b32_e32 v13, 24, v18
	v_lshl_add_u32 v7, v7, 23, v14
	v_and_or_b32 v7, v13, s96, v7
	v_lshl_or_b32 v7, v12, 21, v7
                                        ; implicit-def: $vgpr12
.LBB6_4183:                             ;   in Loop: Header=BB6_3768 Depth=3
	s_andn2_saveexec_b64 s[68:69], s[68:69]
; %bb.4184:                             ;   in Loop: Header=BB6_3768 Depth=3
	v_mov_b32_e32 v7, -1
	v_cmp_gt_i16_sdwa vcc, sext(v18), v7 src0_sel:BYTE_0 src1_sel:DWORD
	v_mov_b32_e32 v7, 0xc7600000
	v_mov_b32_e32 v13, 0x47600000
	v_cndmask_b32_e32 v7, v7, v13, vcc
	v_cmp_eq_u32_e32 vcc, 0, v12
	v_mov_b32_e32 v12, 0x7f800001
	v_cndmask_b32_e32 v7, v12, v7, vcc
; %bb.4185:                             ;   in Loop: Header=BB6_3768 Depth=3
	s_or_b64 exec, exec, s[68:69]
.LBB6_4186:                             ;   in Loop: Header=BB6_3768 Depth=3
	s_or_b64 exec, exec, s[30:31]
.LBB6_4187:                             ;   in Loop: Header=BB6_3768 Depth=3
	s_or_b64 exec, exec, s[28:29]
	v_max_f32_e32 v7, v7, v7
	v_max_f32_e32 v6, v6, v6
	v_min_f32_e32 v6, v6, v7
.LBB6_4188:                             ;   in Loop: Header=BB6_3768 Depth=3
	v_and_b32_sdwa v12, v6, s97 dst_sel:DWORD dst_unused:UNUSED_PAD src0_sel:BYTE_3 src1_sel:DWORD
	v_and_b32_e32 v14, 0x7f800000, v6
	v_mov_b32_e32 v15, v51
	v_and_b32_e32 v50, 0x7fffff, v6
	v_or_b32_e32 v17, 0x7b, v12
	v_cmp_ne_u64_e32 vcc, s[52:53], v[14:15]
	s_and_saveexec_b64 s[28:29], vcc
	s_xor_b64 s[30:31], exec, s[28:29]
	s_cbranch_execz .LBB6_4198
; %bb.4189:                             ;   in Loop: Header=BB6_3768 Depth=3
	v_and_b32_e32 v14, 0x7fffffff, v6
	v_mov_b32_e32 v15, v51
	v_cmp_gt_u64_e32 vcc, s[54:55], v[14:15]
	s_and_saveexec_b64 s[68:69], vcc
	s_cbranch_execz .LBB6_4197
; %bb.4190:                             ;   in Loop: Header=BB6_3768 Depth=3
	v_cmp_ne_u32_e32 vcc, 0, v6
	v_mov_b32_e32 v17, 0
	s_and_saveexec_b64 s[70:71], vcc
	s_cbranch_execz .LBB6_4196
; %bb.4191:                             ;   in Loop: Header=BB6_3768 Depth=3
	v_bfe_u32 v6, v6, 23, 8
	v_cmp_eq_u32_e32 vcc, 0, v6
	v_add_u32_e32 v7, 0xffffff81, v6
	v_cmp_gt_u32_e64 s[28:29], s38, v6
	v_sub_u32_e32 v6, 0x71, v6
	v_mov_b32_e32 v14, 0xffffff82
	v_cndmask_b32_e64 v6, 0, v6, s[28:29]
	v_cndmask_b32_e32 v17, v7, v14, vcc
	v_mov_b32_e32 v7, 0x70
	v_cndmask_b32_e32 v20, v6, v7, vcc
	v_add_u32_e32 v6, 21, v20
	v_or_b32_e32 v13, 0x800000, v50
	v_lshlrev_b64 v[6:7], v6, -1
	v_cndmask_b32_e32 v50, v13, v50, vcc
	v_not_b32_e32 v7, v7
	v_not_b32_e32 v6, v6
	v_add_u32_e32 v13, 20, v20
	v_and_b32_e32 v7, 0, v7
	v_and_b32_e32 v6, v50, v6
	v_lshlrev_b64 v[14:15], v13, 1
	v_cmp_eq_u64_e32 vcc, v[6:7], v[14:15]
	v_lshrrev_b64 v[6:7], v20, v[50:51]
	v_lshrrev_b32_e32 v13, 23, v6
	v_add3_u32 v15, v20, v17, v13
	v_bfe_u32 v13, v6, 21, 1
	v_add_u32_e32 v13, -1, v13
	v_cndmask_b32_e32 v13, 0, v13, vcc
	v_add_u32_e32 v13, v13, v6
	v_and_b32_e32 v13, 0x1fffff, v13
	v_add_co_u32_e32 v6, vcc, v13, v6
	v_add_u32_e32 v14, 14, v15
	v_addc_co_u32_e32 v7, vcc, 0, v7, vcc
	v_cmp_ne_u32_e32 vcc, 0, v14
                                        ; implicit-def: $vgpr13
	s_and_saveexec_b64 s[28:29], vcc
	s_xor_b64 s[28:29], exec, s[28:29]
; %bb.4192:                             ;   in Loop: Header=BB6_3768 Depth=3
	v_add_u32_e32 v13, 15, v15
	v_cmp_lt_u64_e32 vcc, s[56:57], v[6:7]
	v_cndmask_b32_e32 v13, v14, v13, vcc
	v_cndmask_b32_e64 v14, 0, 1, vcc
	v_lshrrev_b64 v[6:7], v14, v[6:7]
; %bb.4193:                             ;   in Loop: Header=BB6_3768 Depth=3
	s_andn2_saveexec_b64 s[28:29], s[28:29]
; %bb.4194:                             ;   in Loop: Header=BB6_3768 Depth=3
	v_bfe_u32 v13, v6, 23, 1
; %bb.4195:                             ;   in Loop: Header=BB6_3768 Depth=3
	s_or_b64 exec, exec, s[28:29]
	v_lshrrev_b64 v[6:7], 21, v[6:7]
	v_cmp_gt_i32_e32 vcc, 32, v13
	v_cndmask_b32_e32 v7, 0, v7, vcc
	v_cndmask_b32_e32 v6, 3, v6, vcc
	v_cmp_eq_u64_e64 s[28:29], 0, v[6:7]
	v_min_i32_e32 v7, 31, v13
	v_cmp_eq_u32_e32 vcc, 0, v13
	v_lshlrev_b32_e32 v7, 2, v7
	v_and_or_b32 v6, v6, 3, v7
	s_and_b64 s[28:29], vcc, s[28:29]
	v_cndmask_b32_e64 v6, v6, 0, s[28:29]
	v_or_b32_e32 v17, v6, v12
.LBB6_4196:                             ;   in Loop: Header=BB6_3768 Depth=3
	s_or_b64 exec, exec, s[70:71]
.LBB6_4197:                             ;   in Loop: Header=BB6_3768 Depth=3
	s_or_b64 exec, exec, s[68:69]
                                        ; implicit-def: $vgpr6
.LBB6_4198:                             ;   in Loop: Header=BB6_3768 Depth=3
	s_andn2_saveexec_b64 s[28:29], s[30:31]
; %bb.4199:                             ;   in Loop: Header=BB6_3768 Depth=3
	v_or_b32_sdwa v6, v6, s39 dst_sel:DWORD dst_unused:UNUSED_PAD src0_sel:BYTE_3 src1_sel:DWORD
	v_cmp_eq_u64_e32 vcc, 0, v[50:51]
	v_cndmask_b32_e32 v17, v6, v17, vcc
; %bb.4200:                             ;   in Loop: Header=BB6_3768 Depth=3
	s_or_b64 exec, exec, s[28:29]
	v_lshrrev_b16_e32 v50, 8, v22
	v_lshrrev_b16_e32 v6, 8, v18
	v_cmp_ne_u16_e64 s[28:29], 0, v50
	s_and_b64 vcc, exec, s[66:67]
	s_cbranch_vccz .LBB6_4218
; %bb.4201:                             ;   in Loop: Header=BB6_3768 Depth=3
	v_mov_b32_e32 v7, 0
	v_mov_b32_e32 v12, 0
	s_and_saveexec_b64 s[30:31], s[28:29]
	s_cbranch_execz .LBB6_4209
; %bb.4202:                             ;   in Loop: Header=BB6_3768 Depth=3
	v_cmp_ne_u16_e32 vcc, s97, v50
	v_bfrev_b32_e32 v12, 1
	s_and_saveexec_b64 s[68:69], vcc
	s_cbranch_execz .LBB6_4208
; %bb.4203:                             ;   in Loop: Header=BB6_3768 Depth=3
	v_and_b32_e32 v12, 0x7c, v50
	v_and_b32_e32 v13, 3, v50
	v_cmp_ne_u32_e32 vcc, s95, v12
                                        ; implicit-def: $vgpr12
	s_and_saveexec_b64 s[70:71], vcc
	s_xor_b64 s[70:71], exec, s[70:71]
	s_cbranch_execz .LBB6_4205
; %bb.4204:                             ;   in Loop: Header=BB6_3768 Depth=3
	v_ffbh_u32_e32 v14, v13
	v_min_u32_e32 v20, 32, v14
	v_subrev_u32_e32 v14, 29, v20
	v_bfe_u32 v12, v50, 2, 5
	v_lshlrev_b64 v[14:15], v14, v[50:51]
	v_sub_u32_e32 v15, 30, v20
	v_cmp_eq_u32_e32 vcc, 0, v12
	v_and_b32_e32 v14, 3, v14
	v_cndmask_b32_e32 v12, v12, v15, vcc
	v_bfrev_b32_e32 v15, 28
	v_cndmask_b32_e32 v13, v13, v14, vcc
	v_lshlrev_b32_e32 v14, 16, v22
	v_lshl_add_u32 v12, v12, 23, v15
	v_and_or_b32 v12, v14, s96, v12
	v_lshl_or_b32 v12, v13, 21, v12
                                        ; implicit-def: $vgpr13
.LBB6_4205:                             ;   in Loop: Header=BB6_3768 Depth=3
	s_andn2_saveexec_b64 s[70:71], s[70:71]
; %bb.4206:                             ;   in Loop: Header=BB6_3768 Depth=3
	v_cmp_lt_i16_e32 vcc, -1, v22
	v_mov_b32_e32 v12, 0xc7600000
	v_mov_b32_e32 v14, 0x47600000
	v_cndmask_b32_e32 v12, v12, v14, vcc
	v_cmp_eq_u32_e32 vcc, 0, v13
	v_mov_b32_e32 v13, 0x7f800001
	v_cndmask_b32_e32 v12, v13, v12, vcc
; %bb.4207:                             ;   in Loop: Header=BB6_3768 Depth=3
	s_or_b64 exec, exec, s[70:71]
.LBB6_4208:                             ;   in Loop: Header=BB6_3768 Depth=3
	s_or_b64 exec, exec, s[68:69]
.LBB6_4209:                             ;   in Loop: Header=BB6_3768 Depth=3
	s_or_b64 exec, exec, s[30:31]
	v_cmp_ne_u16_e32 vcc, 0, v6
	s_and_saveexec_b64 s[30:31], vcc
	s_cbranch_execz .LBB6_4217
; %bb.4210:                             ;   in Loop: Header=BB6_3768 Depth=3
	v_cmp_ne_u16_e32 vcc, s97, v6
	v_bfrev_b32_e32 v7, 1
	s_and_saveexec_b64 s[68:69], vcc
	s_cbranch_execz .LBB6_4216
; %bb.4211:                             ;   in Loop: Header=BB6_3768 Depth=3
	v_and_b32_e32 v7, 0x7c, v6
	v_and_b32_e32 v13, 3, v6
	v_cmp_ne_u32_e32 vcc, s95, v7
                                        ; implicit-def: $vgpr7
	s_and_saveexec_b64 s[70:71], vcc
	s_xor_b64 s[70:71], exec, s[70:71]
	s_cbranch_execz .LBB6_4213
; %bb.4212:                             ;   in Loop: Header=BB6_3768 Depth=3
	v_ffbh_u32_e32 v14, v13
	v_min_u32_e32 v21, 32, v14
	v_mov_b32_e32 v7, v51
	v_bfe_u32 v20, v6, 2, 5
	v_subrev_u32_e32 v14, 29, v21
	v_lshlrev_b64 v[14:15], v14, v[6:7]
	v_sub_u32_e32 v7, 30, v21
	v_cmp_eq_u32_e32 vcc, 0, v20
	v_and_b32_e32 v14, 3, v14
	v_cndmask_b32_e32 v7, v20, v7, vcc
	v_bfrev_b32_e32 v15, 28
	v_cndmask_b32_e32 v13, v13, v14, vcc
	v_lshlrev_b32_e32 v14, 16, v18
	v_lshl_add_u32 v7, v7, 23, v15
	v_and_or_b32 v7, v14, s96, v7
	v_lshl_or_b32 v7, v13, 21, v7
                                        ; implicit-def: $vgpr13
.LBB6_4213:                             ;   in Loop: Header=BB6_3768 Depth=3
	s_andn2_saveexec_b64 s[70:71], s[70:71]
; %bb.4214:                             ;   in Loop: Header=BB6_3768 Depth=3
	v_cmp_lt_i16_e32 vcc, -1, v18
	v_mov_b32_e32 v7, 0xc7600000
	v_mov_b32_e32 v14, 0x47600000
	v_cndmask_b32_e32 v7, v7, v14, vcc
	v_cmp_eq_u32_e32 vcc, 0, v13
	v_mov_b32_e32 v13, 0x7f800001
	v_cndmask_b32_e32 v7, v13, v7, vcc
; %bb.4215:                             ;   in Loop: Header=BB6_3768 Depth=3
	s_or_b64 exec, exec, s[70:71]
.LBB6_4216:                             ;   in Loop: Header=BB6_3768 Depth=3
	s_or_b64 exec, exec, s[68:69]
.LBB6_4217:                             ;   in Loop: Header=BB6_3768 Depth=3
	s_or_b64 exec, exec, s[30:31]
	v_max_f32_e32 v7, v7, v7
	v_max_f32_e32 v12, v12, v12
	;; [unrolled: 1-line block ×3, first 2 shown]
	s_branch .LBB6_4236
.LBB6_4218:                             ;   in Loop: Header=BB6_3768 Depth=3
                                        ; implicit-def: $vgpr7
	s_cbranch_execz .LBB6_4236
; %bb.4219:                             ;   in Loop: Header=BB6_3768 Depth=3
	v_mov_b32_e32 v7, 0
	v_mov_b32_e32 v12, 0
	s_and_saveexec_b64 s[30:31], s[28:29]
	s_cbranch_execz .LBB6_4227
; %bb.4220:                             ;   in Loop: Header=BB6_3768 Depth=3
	v_cmp_ne_u16_e32 vcc, s97, v50
	v_bfrev_b32_e32 v12, 1
	s_and_saveexec_b64 s[28:29], vcc
	s_cbranch_execz .LBB6_4226
; %bb.4221:                             ;   in Loop: Header=BB6_3768 Depth=3
	v_and_b32_e32 v12, 0x7c, v50
	v_and_b32_e32 v13, 3, v50
	v_cmp_ne_u32_e32 vcc, s95, v12
                                        ; implicit-def: $vgpr12
	s_and_saveexec_b64 s[68:69], vcc
	s_xor_b64 s[68:69], exec, s[68:69]
	s_cbranch_execz .LBB6_4223
; %bb.4222:                             ;   in Loop: Header=BB6_3768 Depth=3
	v_ffbh_u32_e32 v14, v13
	v_min_u32_e32 v20, 32, v14
	v_subrev_u32_e32 v14, 29, v20
	v_bfe_u32 v12, v50, 2, 5
	v_lshlrev_b64 v[14:15], v14, v[50:51]
	v_sub_u32_e32 v15, 30, v20
	v_cmp_eq_u32_e32 vcc, 0, v12
	v_and_b32_e32 v14, 3, v14
	v_cndmask_b32_e32 v12, v12, v15, vcc
	v_bfrev_b32_e32 v15, 28
	v_cndmask_b32_e32 v13, v13, v14, vcc
	v_lshlrev_b32_e32 v14, 16, v22
	v_lshl_add_u32 v12, v12, 23, v15
	v_and_or_b32 v12, v14, s96, v12
	v_lshl_or_b32 v12, v13, 21, v12
                                        ; implicit-def: $vgpr13
.LBB6_4223:                             ;   in Loop: Header=BB6_3768 Depth=3
	s_andn2_saveexec_b64 s[68:69], s[68:69]
; %bb.4224:                             ;   in Loop: Header=BB6_3768 Depth=3
	v_cmp_lt_i16_e32 vcc, -1, v22
	v_mov_b32_e32 v12, 0xc7600000
	v_mov_b32_e32 v14, 0x47600000
	v_cndmask_b32_e32 v12, v12, v14, vcc
	v_cmp_eq_u32_e32 vcc, 0, v13
	v_mov_b32_e32 v13, 0x7f800001
	v_cndmask_b32_e32 v12, v13, v12, vcc
; %bb.4225:                             ;   in Loop: Header=BB6_3768 Depth=3
	s_or_b64 exec, exec, s[68:69]
.LBB6_4226:                             ;   in Loop: Header=BB6_3768 Depth=3
	s_or_b64 exec, exec, s[28:29]
.LBB6_4227:                             ;   in Loop: Header=BB6_3768 Depth=3
	s_or_b64 exec, exec, s[30:31]
	v_cmp_ne_u16_e32 vcc, 0, v6
	s_and_saveexec_b64 s[28:29], vcc
	s_cbranch_execz .LBB6_4235
; %bb.4228:                             ;   in Loop: Header=BB6_3768 Depth=3
	v_cmp_ne_u16_e32 vcc, s97, v6
	v_bfrev_b32_e32 v7, 1
	s_and_saveexec_b64 s[30:31], vcc
	s_cbranch_execz .LBB6_4234
; %bb.4229:                             ;   in Loop: Header=BB6_3768 Depth=3
	v_and_b32_e32 v7, 0x7c, v6
	v_and_b32_e32 v13, 3, v6
	v_cmp_ne_u32_e32 vcc, s95, v7
                                        ; implicit-def: $vgpr7
	s_and_saveexec_b64 s[68:69], vcc
	s_xor_b64 s[68:69], exec, s[68:69]
	s_cbranch_execz .LBB6_4231
; %bb.4230:                             ;   in Loop: Header=BB6_3768 Depth=3
	v_ffbh_u32_e32 v15, v13
	v_min_u32_e32 v15, 32, v15
	v_mov_b32_e32 v7, v51
	v_subrev_u32_e32 v20, 29, v15
	v_bfe_u32 v14, v6, 2, 5
	v_lshlrev_b64 v[6:7], v20, v[6:7]
	v_sub_u32_e32 v7, 30, v15
	v_cmp_eq_u32_e32 vcc, 0, v14
	v_and_b32_e32 v6, 3, v6
	v_cndmask_b32_e32 v7, v14, v7, vcc
	v_bfrev_b32_e32 v14, 28
	v_cndmask_b32_e32 v6, v13, v6, vcc
	v_lshlrev_b32_e32 v13, 16, v18
	v_lshl_add_u32 v7, v7, 23, v14
	v_and_or_b32 v7, v13, s96, v7
	v_lshl_or_b32 v7, v6, 21, v7
                                        ; implicit-def: $vgpr13
.LBB6_4231:                             ;   in Loop: Header=BB6_3768 Depth=3
	s_andn2_saveexec_b64 s[68:69], s[68:69]
; %bb.4232:                             ;   in Loop: Header=BB6_3768 Depth=3
	v_cmp_lt_i16_e32 vcc, -1, v18
	v_mov_b32_e32 v6, 0xc7600000
	v_mov_b32_e32 v7, 0x47600000
	v_cndmask_b32_e32 v6, v6, v7, vcc
	v_cmp_eq_u32_e32 vcc, 0, v13
	v_mov_b32_e32 v7, 0x7f800001
	v_cndmask_b32_e32 v7, v7, v6, vcc
; %bb.4233:                             ;   in Loop: Header=BB6_3768 Depth=3
	s_or_b64 exec, exec, s[68:69]
.LBB6_4234:                             ;   in Loop: Header=BB6_3768 Depth=3
	s_or_b64 exec, exec, s[30:31]
.LBB6_4235:                             ;   in Loop: Header=BB6_3768 Depth=3
	s_or_b64 exec, exec, s[28:29]
	v_max_f32_e32 v6, v7, v7
	v_max_f32_e32 v7, v12, v12
	v_min_f32_e32 v7, v7, v6
.LBB6_4236:                             ;   in Loop: Header=BB6_3768 Depth=3
	v_and_b32_sdwa v12, v7, s97 dst_sel:DWORD dst_unused:UNUSED_PAD src0_sel:BYTE_3 src1_sel:DWORD
	v_and_b32_e32 v14, 0x7f800000, v7
	v_mov_b32_e32 v15, v51
	v_and_b32_e32 v50, 0x7fffff, v7
	v_or_b32_e32 v20, 0x7b, v12
	v_cmp_ne_u64_e32 vcc, s[52:53], v[14:15]
	s_and_saveexec_b64 s[28:29], vcc
	s_xor_b64 s[30:31], exec, s[28:29]
	s_cbranch_execz .LBB6_4246
; %bb.4237:                             ;   in Loop: Header=BB6_3768 Depth=3
	v_and_b32_e32 v14, 0x7fffffff, v7
	v_mov_b32_e32 v15, v51
	v_cmp_gt_u64_e32 vcc, s[54:55], v[14:15]
	s_and_saveexec_b64 s[68:69], vcc
	s_cbranch_execz .LBB6_4245
; %bb.4238:                             ;   in Loop: Header=BB6_3768 Depth=3
	v_cmp_ne_u32_e32 vcc, 0, v7
	v_mov_b32_e32 v20, 0
	s_and_saveexec_b64 s[70:71], vcc
	s_cbranch_execz .LBB6_4244
; %bb.4239:                             ;   in Loop: Header=BB6_3768 Depth=3
	v_bfe_u32 v6, v7, 23, 8
	v_cmp_eq_u32_e32 vcc, 0, v6
	v_add_u32_e32 v7, 0xffffff81, v6
	v_cmp_gt_u32_e64 s[28:29], s38, v6
	v_sub_u32_e32 v6, 0x71, v6
	v_mov_b32_e32 v14, 0xffffff82
	v_cndmask_b32_e64 v6, 0, v6, s[28:29]
	v_cndmask_b32_e32 v20, v7, v14, vcc
	v_mov_b32_e32 v7, 0x70
	v_cndmask_b32_e32 v21, v6, v7, vcc
	v_add_u32_e32 v6, 21, v21
	v_or_b32_e32 v13, 0x800000, v50
	v_lshlrev_b64 v[6:7], v6, -1
	v_cndmask_b32_e32 v50, v13, v50, vcc
	v_not_b32_e32 v7, v7
	v_not_b32_e32 v6, v6
	v_add_u32_e32 v13, 20, v21
	v_and_b32_e32 v7, 0, v7
	v_and_b32_e32 v6, v50, v6
	v_lshlrev_b64 v[14:15], v13, 1
	v_cmp_eq_u64_e32 vcc, v[6:7], v[14:15]
	v_lshrrev_b64 v[6:7], v21, v[50:51]
	v_lshrrev_b32_e32 v13, 23, v6
	v_add3_u32 v15, v21, v20, v13
	v_bfe_u32 v13, v6, 21, 1
	v_add_u32_e32 v13, -1, v13
	v_cndmask_b32_e32 v13, 0, v13, vcc
	v_add_u32_e32 v13, v13, v6
	v_and_b32_e32 v13, 0x1fffff, v13
	v_add_co_u32_e32 v6, vcc, v13, v6
	v_add_u32_e32 v14, 14, v15
	v_addc_co_u32_e32 v7, vcc, 0, v7, vcc
	v_cmp_ne_u32_e32 vcc, 0, v14
                                        ; implicit-def: $vgpr13
	s_and_saveexec_b64 s[28:29], vcc
	s_xor_b64 s[28:29], exec, s[28:29]
; %bb.4240:                             ;   in Loop: Header=BB6_3768 Depth=3
	v_add_u32_e32 v13, 15, v15
	v_cmp_lt_u64_e32 vcc, s[56:57], v[6:7]
	v_cndmask_b32_e32 v13, v14, v13, vcc
	v_cndmask_b32_e64 v14, 0, 1, vcc
	v_lshrrev_b64 v[6:7], v14, v[6:7]
; %bb.4241:                             ;   in Loop: Header=BB6_3768 Depth=3
	s_andn2_saveexec_b64 s[28:29], s[28:29]
; %bb.4242:                             ;   in Loop: Header=BB6_3768 Depth=3
	v_bfe_u32 v13, v6, 23, 1
; %bb.4243:                             ;   in Loop: Header=BB6_3768 Depth=3
	s_or_b64 exec, exec, s[28:29]
	v_lshrrev_b64 v[6:7], 21, v[6:7]
	v_cmp_gt_i32_e32 vcc, 32, v13
	v_cndmask_b32_e32 v7, 0, v7, vcc
	v_cndmask_b32_e32 v6, 3, v6, vcc
	v_cmp_eq_u64_e64 s[28:29], 0, v[6:7]
	v_min_i32_e32 v7, 31, v13
	v_cmp_eq_u32_e32 vcc, 0, v13
	v_lshlrev_b32_e32 v7, 2, v7
	v_and_or_b32 v6, v6, 3, v7
	s_and_b64 s[28:29], vcc, s[28:29]
	v_cndmask_b32_e64 v6, v6, 0, s[28:29]
	v_or_b32_e32 v20, v6, v12
.LBB6_4244:                             ;   in Loop: Header=BB6_3768 Depth=3
	s_or_b64 exec, exec, s[70:71]
.LBB6_4245:                             ;   in Loop: Header=BB6_3768 Depth=3
	s_or_b64 exec, exec, s[68:69]
                                        ; implicit-def: $vgpr7
.LBB6_4246:                             ;   in Loop: Header=BB6_3768 Depth=3
	s_andn2_saveexec_b64 s[28:29], s[30:31]
; %bb.4247:                             ;   in Loop: Header=BB6_3768 Depth=3
	v_or_b32_sdwa v6, v7, s39 dst_sel:DWORD dst_unused:UNUSED_PAD src0_sel:BYTE_3 src1_sel:DWORD
	v_cmp_eq_u64_e32 vcc, 0, v[50:51]
	v_cndmask_b32_e32 v20, v6, v20, vcc
; %bb.4248:                             ;   in Loop: Header=BB6_3768 Depth=3
	s_or_b64 exec, exec, s[28:29]
	v_lshrrev_b32_e32 v12, 16, v22
	v_lshrrev_b32_e32 v6, 16, v18
	v_cmp_ne_u16_sdwa s[28:29], v12, v51 src0_sel:BYTE_0 src1_sel:DWORD
	s_and_b64 vcc, exec, s[66:67]
	s_cbranch_vccz .LBB6_4266
; %bb.4249:                             ;   in Loop: Header=BB6_3768 Depth=3
	v_mov_b32_e32 v13, 0
	v_mov_b32_e32 v7, 0
	s_and_saveexec_b64 s[30:31], s[28:29]
	s_cbranch_execz .LBB6_4257
; %bb.4250:                             ;   in Loop: Header=BB6_3768 Depth=3
	v_cmp_ne_u16_sdwa vcc, v12, s97 src0_sel:BYTE_0 src1_sel:DWORD
	v_bfrev_b32_e32 v7, 1
	s_and_saveexec_b64 s[68:69], vcc
	s_cbranch_execz .LBB6_4256
; %bb.4251:                             ;   in Loop: Header=BB6_3768 Depth=3
	v_and_b32_e32 v7, 0x7c0000, v22
	v_bfe_u32 v14, v22, 16, 2
	v_cmp_ne_u32_e32 vcc, s36, v7
                                        ; implicit-def: $vgpr7
	s_and_saveexec_b64 s[70:71], vcc
	s_xor_b64 s[70:71], exec, s[70:71]
	s_cbranch_execz .LBB6_4253
; %bb.4252:                             ;   in Loop: Header=BB6_3768 Depth=3
	v_ffbh_u32_e32 v15, v14
	v_min_u32_e32 v15, 32, v15
	v_subrev_u32_e32 v21, 29, v15
	v_bfe_u32 v7, v22, 18, 5
	v_lshlrev_b64 v[36:37], v21, v[12:13]
	v_sub_u32_e32 v15, 30, v15
	v_and_b32_e32 v21, 3, v36
	v_cmp_eq_u32_e32 vcc, 0, v7
	v_cndmask_b32_e32 v7, v7, v15, vcc
	v_cndmask_b32_e32 v14, v14, v21, vcc
	v_bfrev_b32_e32 v21, 28
	v_lshlrev_b32_e32 v15, 24, v12
	v_lshl_add_u32 v7, v7, 23, v21
	v_and_or_b32 v7, v15, s96, v7
	v_lshl_or_b32 v7, v14, 21, v7
                                        ; implicit-def: $vgpr14
.LBB6_4253:                             ;   in Loop: Header=BB6_3768 Depth=3
	s_andn2_saveexec_b64 s[70:71], s[70:71]
; %bb.4254:                             ;   in Loop: Header=BB6_3768 Depth=3
	v_mov_b32_e32 v7, -1
	v_cmp_gt_i16_sdwa vcc, sext(v12), v7 src0_sel:BYTE_0 src1_sel:DWORD
	v_mov_b32_e32 v7, 0xc7600000
	v_mov_b32_e32 v15, 0x47600000
	v_cndmask_b32_e32 v7, v7, v15, vcc
	v_cmp_eq_u32_e32 vcc, 0, v14
	v_mov_b32_e32 v14, 0x7f800001
	v_cndmask_b32_e32 v7, v14, v7, vcc
; %bb.4255:                             ;   in Loop: Header=BB6_3768 Depth=3
	s_or_b64 exec, exec, s[70:71]
.LBB6_4256:                             ;   in Loop: Header=BB6_3768 Depth=3
	s_or_b64 exec, exec, s[68:69]
.LBB6_4257:                             ;   in Loop: Header=BB6_3768 Depth=3
	s_or_b64 exec, exec, s[30:31]
	v_cmp_ne_u16_sdwa vcc, v6, v51 src0_sel:BYTE_0 src1_sel:DWORD
	s_and_saveexec_b64 s[30:31], vcc
	s_cbranch_execz .LBB6_4265
; %bb.4258:                             ;   in Loop: Header=BB6_3768 Depth=3
	v_cmp_ne_u16_sdwa vcc, v6, s97 src0_sel:BYTE_0 src1_sel:DWORD
	v_bfrev_b32_e32 v13, 1
	s_and_saveexec_b64 s[68:69], vcc
	s_cbranch_execz .LBB6_4264
; %bb.4259:                             ;   in Loop: Header=BB6_3768 Depth=3
	v_and_b32_e32 v13, 0x7c0000, v18
	v_bfe_u32 v14, v18, 16, 2
	v_cmp_ne_u32_e32 vcc, s36, v13
                                        ; implicit-def: $vgpr13
	s_and_saveexec_b64 s[70:71], vcc
	s_xor_b64 s[70:71], exec, s[70:71]
	s_cbranch_execz .LBB6_4261
; %bb.4260:                             ;   in Loop: Header=BB6_3768 Depth=3
	v_ffbh_u32_e32 v15, v14
	v_min_u32_e32 v15, 32, v15
	v_subrev_u32_e32 v21, 29, v15
	v_bfe_u32 v13, v18, 18, 5
	v_lshlrev_b64 v[36:37], v21, v[6:7]
	v_sub_u32_e32 v15, 30, v15
	v_and_b32_e32 v21, 3, v36
	v_cmp_eq_u32_e32 vcc, 0, v13
	v_cndmask_b32_e32 v13, v13, v15, vcc
	v_cndmask_b32_e32 v14, v14, v21, vcc
	v_bfrev_b32_e32 v21, 28
	v_lshlrev_b32_e32 v15, 24, v6
	v_lshl_add_u32 v13, v13, 23, v21
	v_and_or_b32 v13, v15, s96, v13
	v_lshl_or_b32 v13, v14, 21, v13
                                        ; implicit-def: $vgpr14
.LBB6_4261:                             ;   in Loop: Header=BB6_3768 Depth=3
	s_andn2_saveexec_b64 s[70:71], s[70:71]
; %bb.4262:                             ;   in Loop: Header=BB6_3768 Depth=3
	v_mov_b32_e32 v13, -1
	v_cmp_gt_i16_sdwa vcc, sext(v6), v13 src0_sel:BYTE_0 src1_sel:DWORD
	v_mov_b32_e32 v13, 0xc7600000
	v_mov_b32_e32 v15, 0x47600000
	v_cndmask_b32_e32 v13, v13, v15, vcc
	v_cmp_eq_u32_e32 vcc, 0, v14
	v_mov_b32_e32 v14, 0x7f800001
	v_cndmask_b32_e32 v13, v14, v13, vcc
; %bb.4263:                             ;   in Loop: Header=BB6_3768 Depth=3
	s_or_b64 exec, exec, s[70:71]
.LBB6_4264:                             ;   in Loop: Header=BB6_3768 Depth=3
	s_or_b64 exec, exec, s[68:69]
.LBB6_4265:                             ;   in Loop: Header=BB6_3768 Depth=3
	s_or_b64 exec, exec, s[30:31]
	v_max_f32_e32 v13, v13, v13
	v_max_f32_e32 v7, v7, v7
	;; [unrolled: 1-line block ×3, first 2 shown]
	s_branch .LBB6_4284
.LBB6_4266:                             ;   in Loop: Header=BB6_3768 Depth=3
                                        ; implicit-def: $vgpr7
	s_cbranch_execz .LBB6_4284
; %bb.4267:                             ;   in Loop: Header=BB6_3768 Depth=3
	v_mov_b32_e32 v13, 0
	v_mov_b32_e32 v7, 0
	s_and_saveexec_b64 s[30:31], s[28:29]
	s_cbranch_execz .LBB6_4275
; %bb.4268:                             ;   in Loop: Header=BB6_3768 Depth=3
	v_cmp_ne_u16_sdwa vcc, v12, s97 src0_sel:BYTE_0 src1_sel:DWORD
	v_bfrev_b32_e32 v7, 1
	s_and_saveexec_b64 s[28:29], vcc
	s_cbranch_execz .LBB6_4274
; %bb.4269:                             ;   in Loop: Header=BB6_3768 Depth=3
	v_and_b32_e32 v7, 0x7c0000, v22
	v_bfe_u32 v14, v22, 16, 2
	v_cmp_ne_u32_e32 vcc, s36, v7
                                        ; implicit-def: $vgpr7
	s_and_saveexec_b64 s[68:69], vcc
	s_xor_b64 s[68:69], exec, s[68:69]
	s_cbranch_execz .LBB6_4271
; %bb.4270:                             ;   in Loop: Header=BB6_3768 Depth=3
	v_ffbh_u32_e32 v15, v14
	v_bfe_u32 v7, v22, 18, 5
	v_min_u32_e32 v15, 32, v15
	v_subrev_u32_e32 v21, 29, v15
	v_sub_u32_e32 v15, 30, v15
	v_cmp_eq_u32_e32 vcc, 0, v7
	v_lshlrev_b64 v[36:37], v21, v[12:13]
	v_cndmask_b32_e32 v7, v7, v15, vcc
	v_bfrev_b32_e32 v15, 28
	v_and_b32_e32 v21, 3, v36
	v_lshlrev_b32_e32 v12, 24, v12
	v_lshl_add_u32 v7, v7, 23, v15
	v_cndmask_b32_e32 v14, v14, v21, vcc
	v_and_or_b32 v7, v12, s96, v7
	v_lshl_or_b32 v7, v14, 21, v7
                                        ; implicit-def: $vgpr14
                                        ; implicit-def: $vgpr12
.LBB6_4271:                             ;   in Loop: Header=BB6_3768 Depth=3
	s_andn2_saveexec_b64 s[68:69], s[68:69]
; %bb.4272:                             ;   in Loop: Header=BB6_3768 Depth=3
	v_mov_b32_e32 v7, -1
	v_cmp_gt_i16_sdwa vcc, sext(v12), v7 src0_sel:BYTE_0 src1_sel:DWORD
	v_mov_b32_e32 v7, 0xc7600000
	v_mov_b32_e32 v12, 0x47600000
	v_cndmask_b32_e32 v7, v7, v12, vcc
	v_cmp_eq_u32_e32 vcc, 0, v14
	v_mov_b32_e32 v12, 0x7f800001
	v_cndmask_b32_e32 v7, v12, v7, vcc
; %bb.4273:                             ;   in Loop: Header=BB6_3768 Depth=3
	s_or_b64 exec, exec, s[68:69]
.LBB6_4274:                             ;   in Loop: Header=BB6_3768 Depth=3
	s_or_b64 exec, exec, s[28:29]
.LBB6_4275:                             ;   in Loop: Header=BB6_3768 Depth=3
	s_or_b64 exec, exec, s[30:31]
	v_cmp_ne_u16_sdwa vcc, v6, v51 src0_sel:BYTE_0 src1_sel:DWORD
	s_and_saveexec_b64 s[28:29], vcc
	s_cbranch_execz .LBB6_4283
; %bb.4276:                             ;   in Loop: Header=BB6_3768 Depth=3
	v_cmp_ne_u16_sdwa vcc, v6, s97 src0_sel:BYTE_0 src1_sel:DWORD
	v_bfrev_b32_e32 v13, 1
	s_and_saveexec_b64 s[30:31], vcc
	s_cbranch_execz .LBB6_4282
; %bb.4277:                             ;   in Loop: Header=BB6_3768 Depth=3
	v_and_b32_e32 v13, 0x7c0000, v18
	v_bfe_u32 v12, v18, 16, 2
	v_cmp_ne_u32_e32 vcc, s36, v13
                                        ; implicit-def: $vgpr13
	s_and_saveexec_b64 s[68:69], vcc
	s_xor_b64 s[68:69], exec, s[68:69]
	s_cbranch_execz .LBB6_4279
; %bb.4278:                             ;   in Loop: Header=BB6_3768 Depth=3
	v_ffbh_u32_e32 v14, v12
	v_min_u32_e32 v21, 32, v14
	v_subrev_u32_e32 v14, 29, v21
	v_bfe_u32 v13, v18, 18, 5
	v_lshlrev_b64 v[14:15], v14, v[6:7]
	v_sub_u32_e32 v15, 30, v21
	v_and_b32_e32 v14, 3, v14
	v_cmp_eq_u32_e32 vcc, 0, v13
	v_cndmask_b32_e32 v13, v13, v15, vcc
	v_cndmask_b32_e32 v12, v12, v14, vcc
	v_bfrev_b32_e32 v14, 28
	v_lshlrev_b32_e32 v6, 24, v6
	v_lshl_add_u32 v13, v13, 23, v14
	v_and_or_b32 v6, v6, s96, v13
	v_lshl_or_b32 v13, v12, 21, v6
                                        ; implicit-def: $vgpr12
                                        ; implicit-def: $vgpr6
.LBB6_4279:                             ;   in Loop: Header=BB6_3768 Depth=3
	s_andn2_saveexec_b64 s[68:69], s[68:69]
; %bb.4280:                             ;   in Loop: Header=BB6_3768 Depth=3
	v_mov_b32_e32 v13, -1
	v_cmp_gt_i16_sdwa vcc, sext(v6), v13 src0_sel:BYTE_0 src1_sel:DWORD
	v_mov_b32_e32 v6, 0xc7600000
	v_mov_b32_e32 v13, 0x47600000
	v_cndmask_b32_e32 v6, v6, v13, vcc
	v_cmp_eq_u32_e32 vcc, 0, v12
	v_mov_b32_e32 v12, 0x7f800001
	v_cndmask_b32_e32 v13, v12, v6, vcc
; %bb.4281:                             ;   in Loop: Header=BB6_3768 Depth=3
	s_or_b64 exec, exec, s[68:69]
.LBB6_4282:                             ;   in Loop: Header=BB6_3768 Depth=3
	s_or_b64 exec, exec, s[30:31]
.LBB6_4283:                             ;   in Loop: Header=BB6_3768 Depth=3
	s_or_b64 exec, exec, s[28:29]
	v_max_f32_e32 v6, v13, v13
	v_max_f32_e32 v7, v7, v7
	v_min_f32_e32 v7, v7, v6
.LBB6_4284:                             ;   in Loop: Header=BB6_3768 Depth=3
	v_and_b32_sdwa v12, v7, s97 dst_sel:DWORD dst_unused:UNUSED_PAD src0_sel:BYTE_3 src1_sel:DWORD
	v_and_b32_e32 v14, 0x7f800000, v7
	v_mov_b32_e32 v15, v51
	v_and_b32_e32 v50, 0x7fffff, v7
	v_or_b32_e32 v21, 0x7b, v12
	v_cmp_ne_u64_e32 vcc, s[52:53], v[14:15]
	s_and_saveexec_b64 s[28:29], vcc
	s_xor_b64 s[30:31], exec, s[28:29]
	s_cbranch_execz .LBB6_4294
; %bb.4285:                             ;   in Loop: Header=BB6_3768 Depth=3
	v_and_b32_e32 v14, 0x7fffffff, v7
	v_mov_b32_e32 v15, v51
	v_cmp_gt_u64_e32 vcc, s[54:55], v[14:15]
	s_and_saveexec_b64 s[68:69], vcc
	s_cbranch_execz .LBB6_4293
; %bb.4286:                             ;   in Loop: Header=BB6_3768 Depth=3
	v_cmp_ne_u32_e32 vcc, 0, v7
	v_mov_b32_e32 v21, 0
	s_and_saveexec_b64 s[70:71], vcc
	s_cbranch_execz .LBB6_4292
; %bb.4287:                             ;   in Loop: Header=BB6_3768 Depth=3
	v_bfe_u32 v6, v7, 23, 8
	v_cmp_eq_u32_e32 vcc, 0, v6
	v_add_u32_e32 v7, 0xffffff81, v6
	v_cmp_gt_u32_e64 s[28:29], s38, v6
	v_sub_u32_e32 v6, 0x71, v6
	v_mov_b32_e32 v14, 0xffffff82
	v_cndmask_b32_e64 v6, 0, v6, s[28:29]
	v_cndmask_b32_e32 v21, v7, v14, vcc
	v_mov_b32_e32 v7, 0x70
	v_cndmask_b32_e32 v35, v6, v7, vcc
	v_add_u32_e32 v6, 21, v35
	v_or_b32_e32 v13, 0x800000, v50
	v_lshlrev_b64 v[6:7], v6, -1
	v_cndmask_b32_e32 v50, v13, v50, vcc
	v_not_b32_e32 v7, v7
	v_not_b32_e32 v6, v6
	v_add_u32_e32 v13, 20, v35
	v_and_b32_e32 v7, 0, v7
	v_and_b32_e32 v6, v50, v6
	v_lshlrev_b64 v[14:15], v13, 1
	v_cmp_eq_u64_e32 vcc, v[6:7], v[14:15]
	v_lshrrev_b64 v[6:7], v35, v[50:51]
	v_lshrrev_b32_e32 v13, 23, v6
	v_add3_u32 v15, v35, v21, v13
	v_bfe_u32 v13, v6, 21, 1
	v_add_u32_e32 v13, -1, v13
	v_cndmask_b32_e32 v13, 0, v13, vcc
	v_add_u32_e32 v13, v13, v6
	v_and_b32_e32 v13, 0x1fffff, v13
	v_add_co_u32_e32 v6, vcc, v13, v6
	v_add_u32_e32 v14, 14, v15
	v_addc_co_u32_e32 v7, vcc, 0, v7, vcc
	v_cmp_ne_u32_e32 vcc, 0, v14
                                        ; implicit-def: $vgpr13
	s_and_saveexec_b64 s[28:29], vcc
	s_xor_b64 s[28:29], exec, s[28:29]
; %bb.4288:                             ;   in Loop: Header=BB6_3768 Depth=3
	v_add_u32_e32 v13, 15, v15
	v_cmp_lt_u64_e32 vcc, s[56:57], v[6:7]
	v_cndmask_b32_e32 v13, v14, v13, vcc
	v_cndmask_b32_e64 v14, 0, 1, vcc
	v_lshrrev_b64 v[6:7], v14, v[6:7]
; %bb.4289:                             ;   in Loop: Header=BB6_3768 Depth=3
	s_andn2_saveexec_b64 s[28:29], s[28:29]
; %bb.4290:                             ;   in Loop: Header=BB6_3768 Depth=3
	v_bfe_u32 v13, v6, 23, 1
; %bb.4291:                             ;   in Loop: Header=BB6_3768 Depth=3
	s_or_b64 exec, exec, s[28:29]
	v_lshrrev_b64 v[6:7], 21, v[6:7]
	v_cmp_gt_i32_e32 vcc, 32, v13
	v_cndmask_b32_e32 v7, 0, v7, vcc
	v_cndmask_b32_e32 v6, 3, v6, vcc
	v_cmp_eq_u64_e64 s[28:29], 0, v[6:7]
	v_min_i32_e32 v7, 31, v13
	v_cmp_eq_u32_e32 vcc, 0, v13
	v_lshlrev_b32_e32 v7, 2, v7
	v_and_or_b32 v6, v6, 3, v7
	s_and_b64 s[28:29], vcc, s[28:29]
	v_cndmask_b32_e64 v6, v6, 0, s[28:29]
	v_or_b32_e32 v21, v6, v12
.LBB6_4292:                             ;   in Loop: Header=BB6_3768 Depth=3
	s_or_b64 exec, exec, s[70:71]
.LBB6_4293:                             ;   in Loop: Header=BB6_3768 Depth=3
	s_or_b64 exec, exec, s[68:69]
                                        ; implicit-def: $vgpr7
.LBB6_4294:                             ;   in Loop: Header=BB6_3768 Depth=3
	s_andn2_saveexec_b64 s[28:29], s[30:31]
; %bb.4295:                             ;   in Loop: Header=BB6_3768 Depth=3
	v_or_b32_sdwa v6, v7, s39 dst_sel:DWORD dst_unused:UNUSED_PAD src0_sel:BYTE_3 src1_sel:DWORD
	v_cmp_eq_u64_e32 vcc, 0, v[50:51]
	v_cndmask_b32_e32 v21, v6, v21, vcc
; %bb.4296:                             ;   in Loop: Header=BB6_3768 Depth=3
	s_or_b64 exec, exec, s[28:29]
	v_lshrrev_b32_e32 v12, 24, v22
	v_lshrrev_b32_e32 v6, 24, v18
	v_cmp_lt_u32_e64 s[28:29], s43, v22
	s_and_b64 vcc, exec, s[66:67]
	s_cbranch_vccz .LBB6_4314
; %bb.4297:                             ;   in Loop: Header=BB6_3768 Depth=3
	v_mov_b32_e32 v13, 0
	v_mov_b32_e32 v7, 0
	s_and_saveexec_b64 s[30:31], s[28:29]
	s_cbranch_execz .LBB6_4305
; %bb.4298:                             ;   in Loop: Header=BB6_3768 Depth=3
	v_cmp_ne_u32_e32 vcc, s97, v12
	v_bfrev_b32_e32 v7, 1
	s_and_saveexec_b64 s[68:69], vcc
	s_cbranch_execz .LBB6_4304
; %bb.4299:                             ;   in Loop: Header=BB6_3768 Depth=3
	v_and_b32_e32 v7, 0x7c000000, v22
	v_bfe_u32 v14, v22, 24, 2
	v_cmp_ne_u32_e32 vcc, s37, v7
                                        ; implicit-def: $vgpr7
	s_and_saveexec_b64 s[70:71], vcc
	s_xor_b64 s[70:71], exec, s[70:71]
	s_cbranch_execz .LBB6_4301
; %bb.4300:                             ;   in Loop: Header=BB6_3768 Depth=3
	v_ffbh_u32_e32 v15, v14
	v_bfe_u32 v7, v22, 26, 5
	v_min_u32_e32 v15, 32, v15
	v_subrev_u32_e32 v35, 29, v15
	v_sub_u32_e32 v15, 30, v15
	v_cmp_eq_u32_e32 vcc, 0, v7
	v_lshlrev_b64 v[36:37], v35, v[12:13]
	v_cndmask_b32_e32 v7, v7, v15, vcc
	v_bfrev_b32_e32 v15, 28
	v_and_b32_e32 v35, 3, v36
	v_lshl_add_u32 v7, v7, 23, v15
	v_cndmask_b32_e32 v14, v14, v35, vcc
	v_and_or_b32 v7, v22, s96, v7
	v_lshl_or_b32 v7, v14, 21, v7
                                        ; implicit-def: $vgpr14
.LBB6_4301:                             ;   in Loop: Header=BB6_3768 Depth=3
	s_andn2_saveexec_b64 s[70:71], s[70:71]
; %bb.4302:                             ;   in Loop: Header=BB6_3768 Depth=3
	v_cmp_lt_i32_e32 vcc, -1, v22
	v_mov_b32_e32 v7, 0xc7600000
	v_mov_b32_e32 v15, 0x47600000
	v_cndmask_b32_e32 v7, v7, v15, vcc
	v_cmp_eq_u32_e32 vcc, 0, v14
	v_mov_b32_e32 v14, 0x7f800001
	v_cndmask_b32_e32 v7, v14, v7, vcc
; %bb.4303:                             ;   in Loop: Header=BB6_3768 Depth=3
	s_or_b64 exec, exec, s[70:71]
.LBB6_4304:                             ;   in Loop: Header=BB6_3768 Depth=3
	s_or_b64 exec, exec, s[68:69]
.LBB6_4305:                             ;   in Loop: Header=BB6_3768 Depth=3
	s_or_b64 exec, exec, s[30:31]
	v_cmp_lt_u32_e32 vcc, s43, v18
	s_and_saveexec_b64 s[30:31], vcc
	s_cbranch_execz .LBB6_4313
; %bb.4306:                             ;   in Loop: Header=BB6_3768 Depth=3
	v_cmp_ne_u32_e32 vcc, s97, v6
	v_bfrev_b32_e32 v13, 1
	s_and_saveexec_b64 s[68:69], vcc
	s_cbranch_execz .LBB6_4312
; %bb.4307:                             ;   in Loop: Header=BB6_3768 Depth=3
	v_and_b32_e32 v13, 0x7c000000, v18
	v_bfe_u32 v14, v18, 24, 2
	v_cmp_ne_u32_e32 vcc, s37, v13
                                        ; implicit-def: $vgpr13
	s_and_saveexec_b64 s[70:71], vcc
	s_xor_b64 s[70:71], exec, s[70:71]
	s_cbranch_execz .LBB6_4309
; %bb.4308:                             ;   in Loop: Header=BB6_3768 Depth=3
	v_ffbh_u32_e32 v15, v14
	v_bfe_u32 v13, v18, 26, 5
	v_min_u32_e32 v15, 32, v15
	v_subrev_u32_e32 v35, 29, v15
	v_sub_u32_e32 v15, 30, v15
	v_cmp_eq_u32_e32 vcc, 0, v13
	v_lshlrev_b64 v[36:37], v35, v[6:7]
	v_cndmask_b32_e32 v13, v13, v15, vcc
	v_bfrev_b32_e32 v15, 28
	v_and_b32_e32 v35, 3, v36
	v_lshl_add_u32 v13, v13, 23, v15
	v_cndmask_b32_e32 v14, v14, v35, vcc
	v_and_or_b32 v13, v18, s96, v13
	v_lshl_or_b32 v13, v14, 21, v13
                                        ; implicit-def: $vgpr14
.LBB6_4309:                             ;   in Loop: Header=BB6_3768 Depth=3
	s_andn2_saveexec_b64 s[70:71], s[70:71]
; %bb.4310:                             ;   in Loop: Header=BB6_3768 Depth=3
	v_cmp_lt_i32_e32 vcc, -1, v18
	v_mov_b32_e32 v13, 0xc7600000
	v_mov_b32_e32 v15, 0x47600000
	v_cndmask_b32_e32 v13, v13, v15, vcc
	v_cmp_eq_u32_e32 vcc, 0, v14
	v_mov_b32_e32 v14, 0x7f800001
	v_cndmask_b32_e32 v13, v14, v13, vcc
; %bb.4311:                             ;   in Loop: Header=BB6_3768 Depth=3
	s_or_b64 exec, exec, s[70:71]
.LBB6_4312:                             ;   in Loop: Header=BB6_3768 Depth=3
	s_or_b64 exec, exec, s[68:69]
.LBB6_4313:                             ;   in Loop: Header=BB6_3768 Depth=3
	s_or_b64 exec, exec, s[30:31]
	v_max_f32_e32 v13, v13, v13
	v_max_f32_e32 v7, v7, v7
	;; [unrolled: 1-line block ×3, first 2 shown]
	s_branch .LBB6_4332
.LBB6_4314:                             ;   in Loop: Header=BB6_3768 Depth=3
                                        ; implicit-def: $vgpr7
	s_cbranch_execz .LBB6_4332
; %bb.4315:                             ;   in Loop: Header=BB6_3768 Depth=3
	v_mov_b32_e32 v13, 0
	v_mov_b32_e32 v7, 0
	s_and_saveexec_b64 s[30:31], s[28:29]
	s_cbranch_execz .LBB6_4323
; %bb.4316:                             ;   in Loop: Header=BB6_3768 Depth=3
	v_cmp_ne_u32_e32 vcc, s97, v12
	v_bfrev_b32_e32 v7, 1
	s_and_saveexec_b64 s[28:29], vcc
	s_cbranch_execz .LBB6_4322
; %bb.4317:                             ;   in Loop: Header=BB6_3768 Depth=3
	v_and_b32_e32 v7, 0x7c000000, v22
	v_bfe_u32 v14, v22, 24, 2
	v_cmp_ne_u32_e32 vcc, s37, v7
                                        ; implicit-def: $vgpr7
	s_and_saveexec_b64 s[68:69], vcc
	s_xor_b64 s[68:69], exec, s[68:69]
	s_cbranch_execz .LBB6_4319
; %bb.4318:                             ;   in Loop: Header=BB6_3768 Depth=3
	v_ffbh_u32_e32 v15, v14
	v_min_u32_e32 v15, 32, v15
	v_subrev_u32_e32 v35, 29, v15
	v_bfe_u32 v7, v22, 26, 5
	v_lshlrev_b64 v[36:37], v35, v[12:13]
	v_sub_u32_e32 v12, 30, v15
	v_and_b32_e32 v15, 3, v36
	v_cmp_eq_u32_e32 vcc, 0, v7
	v_cndmask_b32_e32 v7, v7, v12, vcc
	v_cndmask_b32_e32 v12, v14, v15, vcc
	v_bfrev_b32_e32 v14, 28
	v_lshl_add_u32 v7, v7, 23, v14
	v_and_or_b32 v7, v22, s96, v7
	v_lshl_or_b32 v7, v12, 21, v7
                                        ; implicit-def: $vgpr14
.LBB6_4319:                             ;   in Loop: Header=BB6_3768 Depth=3
	s_andn2_saveexec_b64 s[68:69], s[68:69]
; %bb.4320:                             ;   in Loop: Header=BB6_3768 Depth=3
	v_cmp_lt_i32_e32 vcc, -1, v22
	v_mov_b32_e32 v7, 0xc7600000
	v_mov_b32_e32 v12, 0x47600000
	v_cndmask_b32_e32 v7, v7, v12, vcc
	v_cmp_eq_u32_e32 vcc, 0, v14
	v_mov_b32_e32 v12, 0x7f800001
	v_cndmask_b32_e32 v7, v12, v7, vcc
; %bb.4321:                             ;   in Loop: Header=BB6_3768 Depth=3
	s_or_b64 exec, exec, s[68:69]
.LBB6_4322:                             ;   in Loop: Header=BB6_3768 Depth=3
	s_or_b64 exec, exec, s[28:29]
.LBB6_4323:                             ;   in Loop: Header=BB6_3768 Depth=3
	s_or_b64 exec, exec, s[30:31]
	v_cmp_lt_u32_e32 vcc, s43, v18
	s_and_saveexec_b64 s[28:29], vcc
	s_cbranch_execz .LBB6_4331
; %bb.4324:                             ;   in Loop: Header=BB6_3768 Depth=3
	v_cmp_ne_u32_e32 vcc, s97, v6
	v_bfrev_b32_e32 v13, 1
	s_and_saveexec_b64 s[30:31], vcc
	s_cbranch_execz .LBB6_4330
; %bb.4325:                             ;   in Loop: Header=BB6_3768 Depth=3
	v_and_b32_e32 v13, 0x7c000000, v18
	v_bfe_u32 v12, v18, 24, 2
	v_cmp_ne_u32_e32 vcc, s37, v13
                                        ; implicit-def: $vgpr13
	s_and_saveexec_b64 s[68:69], vcc
	s_xor_b64 s[68:69], exec, s[68:69]
	s_cbranch_execz .LBB6_4327
; %bb.4326:                             ;   in Loop: Header=BB6_3768 Depth=3
	v_ffbh_u32_e32 v14, v12
	v_min_u32_e32 v35, 32, v14
	v_bfe_u32 v13, v18, 26, 5
	v_subrev_u32_e32 v14, 29, v35
	v_lshlrev_b64 v[14:15], v14, v[6:7]
	v_sub_u32_e32 v6, 30, v35
	v_cmp_eq_u32_e32 vcc, 0, v13
	v_cndmask_b32_e32 v6, v13, v6, vcc
	v_bfrev_b32_e32 v13, 28
	v_and_b32_e32 v14, 3, v14
	v_lshl_add_u32 v6, v6, 23, v13
	v_cndmask_b32_e32 v12, v12, v14, vcc
	v_and_or_b32 v6, v18, s96, v6
	v_lshl_or_b32 v13, v12, 21, v6
                                        ; implicit-def: $vgpr12
.LBB6_4327:                             ;   in Loop: Header=BB6_3768 Depth=3
	s_andn2_saveexec_b64 s[68:69], s[68:69]
; %bb.4328:                             ;   in Loop: Header=BB6_3768 Depth=3
	v_cmp_lt_i32_e32 vcc, -1, v18
	v_mov_b32_e32 v6, 0xc7600000
	v_mov_b32_e32 v13, 0x47600000
	v_cndmask_b32_e32 v6, v6, v13, vcc
	v_cmp_eq_u32_e32 vcc, 0, v12
	v_mov_b32_e32 v12, 0x7f800001
	v_cndmask_b32_e32 v13, v12, v6, vcc
; %bb.4329:                             ;   in Loop: Header=BB6_3768 Depth=3
	s_or_b64 exec, exec, s[68:69]
.LBB6_4330:                             ;   in Loop: Header=BB6_3768 Depth=3
	s_or_b64 exec, exec, s[30:31]
.LBB6_4331:                             ;   in Loop: Header=BB6_3768 Depth=3
	s_or_b64 exec, exec, s[28:29]
	v_max_f32_e32 v6, v13, v13
	v_max_f32_e32 v7, v7, v7
	v_min_f32_e32 v7, v7, v6
.LBB6_4332:                             ;   in Loop: Header=BB6_3768 Depth=3
	v_and_b32_sdwa v12, v7, s97 dst_sel:DWORD dst_unused:UNUSED_PAD src0_sel:BYTE_3 src1_sel:DWORD
	v_and_b32_e32 v14, 0x7f800000, v7
	v_mov_b32_e32 v15, v51
	v_and_b32_e32 v50, 0x7fffff, v7
	v_or_b32_e32 v35, 0x7b, v12
	v_cmp_ne_u64_e32 vcc, s[52:53], v[14:15]
	s_and_saveexec_b64 s[28:29], vcc
	s_xor_b64 s[30:31], exec, s[28:29]
	s_cbranch_execz .LBB6_4342
; %bb.4333:                             ;   in Loop: Header=BB6_3768 Depth=3
	v_and_b32_e32 v14, 0x7fffffff, v7
	v_mov_b32_e32 v15, v51
	v_cmp_gt_u64_e32 vcc, s[54:55], v[14:15]
	s_and_saveexec_b64 s[68:69], vcc
	s_cbranch_execz .LBB6_4341
; %bb.4334:                             ;   in Loop: Header=BB6_3768 Depth=3
	v_cmp_ne_u32_e32 vcc, 0, v7
	v_mov_b32_e32 v35, 0
	s_and_saveexec_b64 s[70:71], vcc
	s_cbranch_execz .LBB6_4340
; %bb.4335:                             ;   in Loop: Header=BB6_3768 Depth=3
	v_bfe_u32 v6, v7, 23, 8
	v_cmp_eq_u32_e32 vcc, 0, v6
	v_add_u32_e32 v7, 0xffffff81, v6
	v_cmp_gt_u32_e64 s[28:29], s38, v6
	v_sub_u32_e32 v6, 0x71, v6
	v_mov_b32_e32 v14, 0xffffff82
	v_cndmask_b32_e64 v6, 0, v6, s[28:29]
	v_cndmask_b32_e32 v35, v7, v14, vcc
	v_mov_b32_e32 v7, 0x70
	v_cndmask_b32_e32 v36, v6, v7, vcc
	v_add_u32_e32 v6, 21, v36
	v_or_b32_e32 v13, 0x800000, v50
	v_lshlrev_b64 v[6:7], v6, -1
	v_cndmask_b32_e32 v50, v13, v50, vcc
	v_not_b32_e32 v7, v7
	v_not_b32_e32 v6, v6
	v_add_u32_e32 v13, 20, v36
	v_and_b32_e32 v7, 0, v7
	v_and_b32_e32 v6, v50, v6
	v_lshlrev_b64 v[14:15], v13, 1
	v_cmp_eq_u64_e32 vcc, v[6:7], v[14:15]
	v_lshrrev_b64 v[6:7], v36, v[50:51]
	v_lshrrev_b32_e32 v13, 23, v6
	v_add3_u32 v15, v36, v35, v13
	v_bfe_u32 v13, v6, 21, 1
	v_add_u32_e32 v13, -1, v13
	v_cndmask_b32_e32 v13, 0, v13, vcc
	v_add_u32_e32 v13, v13, v6
	v_and_b32_e32 v13, 0x1fffff, v13
	v_add_co_u32_e32 v6, vcc, v13, v6
	v_add_u32_e32 v14, 14, v15
	v_addc_co_u32_e32 v7, vcc, 0, v7, vcc
	v_cmp_ne_u32_e32 vcc, 0, v14
                                        ; implicit-def: $vgpr13
	s_and_saveexec_b64 s[28:29], vcc
	s_xor_b64 s[28:29], exec, s[28:29]
; %bb.4336:                             ;   in Loop: Header=BB6_3768 Depth=3
	v_add_u32_e32 v13, 15, v15
	v_cmp_lt_u64_e32 vcc, s[56:57], v[6:7]
	v_cndmask_b32_e32 v13, v14, v13, vcc
	v_cndmask_b32_e64 v14, 0, 1, vcc
	v_lshrrev_b64 v[6:7], v14, v[6:7]
; %bb.4337:                             ;   in Loop: Header=BB6_3768 Depth=3
	s_andn2_saveexec_b64 s[28:29], s[28:29]
; %bb.4338:                             ;   in Loop: Header=BB6_3768 Depth=3
	v_bfe_u32 v13, v6, 23, 1
; %bb.4339:                             ;   in Loop: Header=BB6_3768 Depth=3
	s_or_b64 exec, exec, s[28:29]
	v_lshrrev_b64 v[6:7], 21, v[6:7]
	v_cmp_gt_i32_e32 vcc, 32, v13
	v_cndmask_b32_e32 v7, 0, v7, vcc
	v_cndmask_b32_e32 v6, 3, v6, vcc
	v_cmp_eq_u64_e64 s[28:29], 0, v[6:7]
	v_min_i32_e32 v7, 31, v13
	v_cmp_eq_u32_e32 vcc, 0, v13
	v_lshlrev_b32_e32 v7, 2, v7
	v_and_or_b32 v6, v6, 3, v7
	s_and_b64 s[28:29], vcc, s[28:29]
	v_cndmask_b32_e64 v6, v6, 0, s[28:29]
	v_or_b32_e32 v35, v6, v12
.LBB6_4340:                             ;   in Loop: Header=BB6_3768 Depth=3
	s_or_b64 exec, exec, s[70:71]
.LBB6_4341:                             ;   in Loop: Header=BB6_3768 Depth=3
	s_or_b64 exec, exec, s[68:69]
                                        ; implicit-def: $vgpr7
.LBB6_4342:                             ;   in Loop: Header=BB6_3768 Depth=3
	s_andn2_saveexec_b64 s[28:29], s[30:31]
; %bb.4343:                             ;   in Loop: Header=BB6_3768 Depth=3
	v_or_b32_sdwa v6, v7, s39 dst_sel:DWORD dst_unused:UNUSED_PAD src0_sel:BYTE_3 src1_sel:DWORD
	v_cmp_eq_u64_e32 vcc, 0, v[50:51]
	v_cndmask_b32_e32 v35, v6, v35, vcc
; %bb.4344:                             ;   in Loop: Header=BB6_3768 Depth=3
	s_or_b64 exec, exec, s[28:29]
	v_mov_b32_e32 v50, v23
	v_mov_b32_e32 v6, v19
	;; [unrolled: 1-line block ×3, first 2 shown]
	v_cmp_ne_u16_sdwa s[28:29], v23, v51 src0_sel:BYTE_0 src1_sel:DWORD
	s_and_b64 vcc, exec, s[66:67]
	s_cbranch_vccz .LBB6_4362
; %bb.4345:                             ;   in Loop: Header=BB6_3768 Depth=3
	v_mov_b32_e32 v13, 0
	v_mov_b32_e32 v12, 0
	s_and_saveexec_b64 s[30:31], s[28:29]
	s_cbranch_execz .LBB6_4353
; %bb.4346:                             ;   in Loop: Header=BB6_3768 Depth=3
	v_cmp_ne_u16_sdwa vcc, v23, s97 src0_sel:BYTE_0 src1_sel:DWORD
	v_bfrev_b32_e32 v12, 1
	s_and_saveexec_b64 s[68:69], vcc
	s_cbranch_execz .LBB6_4352
; %bb.4347:                             ;   in Loop: Header=BB6_3768 Depth=3
	v_and_b32_e32 v12, 0x7c, v23
	v_and_b32_e32 v14, 3, v23
	v_cmp_ne_u32_e32 vcc, s95, v12
                                        ; implicit-def: $vgpr12
	s_and_saveexec_b64 s[70:71], vcc
	s_xor_b64 s[70:71], exec, s[70:71]
	s_cbranch_execz .LBB6_4349
; %bb.4348:                             ;   in Loop: Header=BB6_3768 Depth=3
	v_ffbh_u32_e32 v15, v14
	v_min_u32_e32 v15, 32, v15
	v_subrev_u32_e32 v36, 29, v15
	v_bfe_u32 v12, v23, 2, 5
	v_lshlrev_b64 v[36:37], v36, v[50:51]
	v_sub_u32_e32 v15, 30, v15
	v_and_b32_e32 v36, 3, v36
	v_cmp_eq_u32_e32 vcc, 0, v12
	v_cndmask_b32_e32 v12, v12, v15, vcc
	v_cndmask_b32_e32 v14, v14, v36, vcc
	v_bfrev_b32_e32 v36, 28
	v_lshlrev_b32_e32 v15, 24, v23
	v_lshl_add_u32 v12, v12, 23, v36
	v_and_or_b32 v12, v15, s96, v12
	v_lshl_or_b32 v12, v14, 21, v12
                                        ; implicit-def: $vgpr14
.LBB6_4349:                             ;   in Loop: Header=BB6_3768 Depth=3
	s_andn2_saveexec_b64 s[70:71], s[70:71]
; %bb.4350:                             ;   in Loop: Header=BB6_3768 Depth=3
	v_mov_b32_e32 v12, -1
	v_cmp_gt_i16_sdwa vcc, sext(v23), v12 src0_sel:BYTE_0 src1_sel:DWORD
	v_mov_b32_e32 v12, 0xc7600000
	v_mov_b32_e32 v15, 0x47600000
	v_cndmask_b32_e32 v12, v12, v15, vcc
	v_cmp_eq_u32_e32 vcc, 0, v14
	v_mov_b32_e32 v14, 0x7f800001
	v_cndmask_b32_e32 v12, v14, v12, vcc
; %bb.4351:                             ;   in Loop: Header=BB6_3768 Depth=3
	s_or_b64 exec, exec, s[70:71]
.LBB6_4352:                             ;   in Loop: Header=BB6_3768 Depth=3
	s_or_b64 exec, exec, s[68:69]
.LBB6_4353:                             ;   in Loop: Header=BB6_3768 Depth=3
	s_or_b64 exec, exec, s[30:31]
	v_cmp_ne_u16_sdwa vcc, v19, v51 src0_sel:BYTE_0 src1_sel:DWORD
	s_and_saveexec_b64 s[30:31], vcc
	s_cbranch_execz .LBB6_4361
; %bb.4354:                             ;   in Loop: Header=BB6_3768 Depth=3
	v_cmp_ne_u16_sdwa vcc, v19, s97 src0_sel:BYTE_0 src1_sel:DWORD
	v_bfrev_b32_e32 v13, 1
	s_and_saveexec_b64 s[68:69], vcc
	s_cbranch_execz .LBB6_4360
; %bb.4355:                             ;   in Loop: Header=BB6_3768 Depth=3
	v_and_b32_e32 v13, 0x7c, v19
	v_and_b32_e32 v14, 3, v19
	v_cmp_ne_u32_e32 vcc, s95, v13
                                        ; implicit-def: $vgpr13
	s_and_saveexec_b64 s[70:71], vcc
	s_xor_b64 s[70:71], exec, s[70:71]
	s_cbranch_execz .LBB6_4357
; %bb.4356:                             ;   in Loop: Header=BB6_3768 Depth=3
	v_ffbh_u32_e32 v15, v14
	v_min_u32_e32 v15, 32, v15
	v_subrev_u32_e32 v36, 29, v15
	v_bfe_u32 v13, v19, 2, 5
	v_lshlrev_b64 v[36:37], v36, v[6:7]
	v_sub_u32_e32 v15, 30, v15
	v_and_b32_e32 v36, 3, v36
	v_cmp_eq_u32_e32 vcc, 0, v13
	v_cndmask_b32_e32 v13, v13, v15, vcc
	v_cndmask_b32_e32 v14, v14, v36, vcc
	v_bfrev_b32_e32 v36, 28
	v_lshlrev_b32_e32 v15, 24, v19
	v_lshl_add_u32 v13, v13, 23, v36
	v_and_or_b32 v13, v15, s96, v13
	v_lshl_or_b32 v13, v14, 21, v13
                                        ; implicit-def: $vgpr14
.LBB6_4357:                             ;   in Loop: Header=BB6_3768 Depth=3
	s_andn2_saveexec_b64 s[70:71], s[70:71]
; %bb.4358:                             ;   in Loop: Header=BB6_3768 Depth=3
	v_mov_b32_e32 v13, -1
	v_cmp_gt_i16_sdwa vcc, sext(v19), v13 src0_sel:BYTE_0 src1_sel:DWORD
	v_mov_b32_e32 v13, 0xc7600000
	v_mov_b32_e32 v15, 0x47600000
	v_cndmask_b32_e32 v13, v13, v15, vcc
	v_cmp_eq_u32_e32 vcc, 0, v14
	v_mov_b32_e32 v14, 0x7f800001
	v_cndmask_b32_e32 v13, v14, v13, vcc
; %bb.4359:                             ;   in Loop: Header=BB6_3768 Depth=3
	s_or_b64 exec, exec, s[70:71]
.LBB6_4360:                             ;   in Loop: Header=BB6_3768 Depth=3
	s_or_b64 exec, exec, s[68:69]
.LBB6_4361:                             ;   in Loop: Header=BB6_3768 Depth=3
	s_or_b64 exec, exec, s[30:31]
	v_max_f32_e32 v13, v13, v13
	v_max_f32_e32 v12, v12, v12
	;; [unrolled: 1-line block ×3, first 2 shown]
	s_branch .LBB6_4380
.LBB6_4362:                             ;   in Loop: Header=BB6_3768 Depth=3
                                        ; implicit-def: $vgpr14
	s_cbranch_execz .LBB6_4380
; %bb.4363:                             ;   in Loop: Header=BB6_3768 Depth=3
	v_mov_b32_e32 v13, 0
	v_mov_b32_e32 v12, 0
	s_and_saveexec_b64 s[30:31], s[28:29]
	s_cbranch_execz .LBB6_4371
; %bb.4364:                             ;   in Loop: Header=BB6_3768 Depth=3
	v_cmp_ne_u16_sdwa vcc, v23, s97 src0_sel:BYTE_0 src1_sel:DWORD
	v_bfrev_b32_e32 v12, 1
	s_and_saveexec_b64 s[28:29], vcc
	s_cbranch_execz .LBB6_4370
; %bb.4365:                             ;   in Loop: Header=BB6_3768 Depth=3
	v_and_b32_e32 v12, 0x7c, v23
	v_and_b32_e32 v14, 3, v23
	v_cmp_ne_u32_e32 vcc, s95, v12
                                        ; implicit-def: $vgpr12
	s_and_saveexec_b64 s[68:69], vcc
	s_xor_b64 s[68:69], exec, s[68:69]
	s_cbranch_execz .LBB6_4367
; %bb.4366:                             ;   in Loop: Header=BB6_3768 Depth=3
	v_ffbh_u32_e32 v15, v14
	v_min_u32_e32 v15, 32, v15
	v_subrev_u32_e32 v36, 29, v15
	v_bfe_u32 v12, v23, 2, 5
	v_lshlrev_b64 v[36:37], v36, v[50:51]
	v_sub_u32_e32 v15, 30, v15
	v_and_b32_e32 v36, 3, v36
	v_cmp_eq_u32_e32 vcc, 0, v12
	v_cndmask_b32_e32 v12, v12, v15, vcc
	v_cndmask_b32_e32 v14, v14, v36, vcc
	v_bfrev_b32_e32 v36, 28
	v_lshlrev_b32_e32 v15, 24, v23
	v_lshl_add_u32 v12, v12, 23, v36
	v_and_or_b32 v12, v15, s96, v12
	v_lshl_or_b32 v12, v14, 21, v12
                                        ; implicit-def: $vgpr14
.LBB6_4367:                             ;   in Loop: Header=BB6_3768 Depth=3
	s_andn2_saveexec_b64 s[68:69], s[68:69]
; %bb.4368:                             ;   in Loop: Header=BB6_3768 Depth=3
	v_mov_b32_e32 v12, -1
	v_cmp_gt_i16_sdwa vcc, sext(v23), v12 src0_sel:BYTE_0 src1_sel:DWORD
	v_mov_b32_e32 v12, 0xc7600000
	v_mov_b32_e32 v15, 0x47600000
	v_cndmask_b32_e32 v12, v12, v15, vcc
	v_cmp_eq_u32_e32 vcc, 0, v14
	v_mov_b32_e32 v14, 0x7f800001
	v_cndmask_b32_e32 v12, v14, v12, vcc
; %bb.4369:                             ;   in Loop: Header=BB6_3768 Depth=3
	s_or_b64 exec, exec, s[68:69]
.LBB6_4370:                             ;   in Loop: Header=BB6_3768 Depth=3
	s_or_b64 exec, exec, s[28:29]
.LBB6_4371:                             ;   in Loop: Header=BB6_3768 Depth=3
	s_or_b64 exec, exec, s[30:31]
	v_cmp_ne_u16_sdwa vcc, v19, v51 src0_sel:BYTE_0 src1_sel:DWORD
	s_and_saveexec_b64 s[28:29], vcc
	s_cbranch_execz .LBB6_4379
; %bb.4372:                             ;   in Loop: Header=BB6_3768 Depth=3
	v_cmp_ne_u16_sdwa vcc, v19, s97 src0_sel:BYTE_0 src1_sel:DWORD
	v_bfrev_b32_e32 v13, 1
	s_and_saveexec_b64 s[30:31], vcc
	s_cbranch_execz .LBB6_4378
; %bb.4373:                             ;   in Loop: Header=BB6_3768 Depth=3
	v_and_b32_e32 v13, 0x7c, v19
	v_and_b32_e32 v14, 3, v19
	v_cmp_ne_u32_e32 vcc, s95, v13
                                        ; implicit-def: $vgpr13
	s_and_saveexec_b64 s[68:69], vcc
	s_xor_b64 s[68:69], exec, s[68:69]
	s_cbranch_execz .LBB6_4375
; %bb.4374:                             ;   in Loop: Header=BB6_3768 Depth=3
	v_ffbh_u32_e32 v15, v14
	v_min_u32_e32 v15, 32, v15
	v_subrev_u32_e32 v36, 29, v15
	v_bfe_u32 v13, v19, 2, 5
	v_lshlrev_b64 v[36:37], v36, v[6:7]
	v_sub_u32_e32 v7, 30, v15
	v_and_b32_e32 v15, 3, v36
	v_cmp_eq_u32_e32 vcc, 0, v13
	v_cndmask_b32_e32 v7, v13, v7, vcc
	v_cndmask_b32_e32 v13, v14, v15, vcc
	v_bfrev_b32_e32 v15, 28
	v_lshlrev_b32_e32 v14, 24, v19
	v_lshl_add_u32 v7, v7, 23, v15
	v_and_or_b32 v7, v14, s96, v7
	v_lshl_or_b32 v13, v13, 21, v7
                                        ; implicit-def: $vgpr14
.LBB6_4375:                             ;   in Loop: Header=BB6_3768 Depth=3
	s_andn2_saveexec_b64 s[68:69], s[68:69]
; %bb.4376:                             ;   in Loop: Header=BB6_3768 Depth=3
	v_mov_b32_e32 v7, -1
	v_cmp_gt_i16_sdwa vcc, sext(v19), v7 src0_sel:BYTE_0 src1_sel:DWORD
	v_mov_b32_e32 v7, 0xc7600000
	v_mov_b32_e32 v13, 0x47600000
	v_cndmask_b32_e32 v7, v7, v13, vcc
	v_cmp_eq_u32_e32 vcc, 0, v14
	v_mov_b32_e32 v13, 0x7f800001
	v_cndmask_b32_e32 v13, v13, v7, vcc
; %bb.4377:                             ;   in Loop: Header=BB6_3768 Depth=3
	s_or_b64 exec, exec, s[68:69]
.LBB6_4378:                             ;   in Loop: Header=BB6_3768 Depth=3
	s_or_b64 exec, exec, s[30:31]
.LBB6_4379:                             ;   in Loop: Header=BB6_3768 Depth=3
	s_or_b64 exec, exec, s[28:29]
	v_max_f32_e32 v7, v13, v13
	v_max_f32_e32 v12, v12, v12
	v_min_f32_e32 v14, v12, v7
.LBB6_4380:                             ;   in Loop: Header=BB6_3768 Depth=3
	v_and_b32_sdwa v7, v14, s97 dst_sel:DWORD dst_unused:UNUSED_PAD src0_sel:BYTE_3 src1_sel:DWORD
	v_and_b32_e32 v38, 0x7f800000, v14
	v_mov_b32_e32 v39, v51
	v_and_b32_e32 v12, 0x7fffff, v14
	v_mov_b32_e32 v13, v51
	v_or_b32_e32 v36, 0x7b, v7
	v_cmp_ne_u64_e32 vcc, s[52:53], v[38:39]
	s_and_saveexec_b64 s[28:29], vcc
	s_xor_b64 s[30:31], exec, s[28:29]
	s_cbranch_execz .LBB6_4390
; %bb.4381:                             ;   in Loop: Header=BB6_3768 Depth=3
	v_and_b32_e32 v38, 0x7fffffff, v14
	v_mov_b32_e32 v39, v51
	v_cmp_gt_u64_e32 vcc, s[54:55], v[38:39]
	s_and_saveexec_b64 s[68:69], vcc
	s_cbranch_execz .LBB6_4389
; %bb.4382:                             ;   in Loop: Header=BB6_3768 Depth=3
	v_cmp_ne_u32_e32 vcc, 0, v14
	v_mov_b32_e32 v36, 0
	s_and_saveexec_b64 s[70:71], vcc
	s_cbranch_execz .LBB6_4388
; %bb.4383:                             ;   in Loop: Header=BB6_3768 Depth=3
	v_bfe_u32 v14, v14, 23, 8
	v_cmp_eq_u32_e32 vcc, 0, v14
	v_add_u32_e32 v15, 0xffffff81, v14
	v_cmp_gt_u32_e64 s[28:29], s38, v14
	v_sub_u32_e32 v14, 0x71, v14
	v_mov_b32_e32 v37, 0xffffff82
	v_cndmask_b32_e64 v14, 0, v14, s[28:29]
	v_cndmask_b32_e32 v38, v15, v37, vcc
	v_mov_b32_e32 v15, 0x70
	v_cndmask_b32_e32 v39, v14, v15, vcc
	v_add_u32_e32 v14, 21, v39
	v_or_b32_e32 v36, 0x800000, v12
	v_lshlrev_b64 v[14:15], v14, -1
	v_cndmask_b32_e32 v12, v36, v12, vcc
	v_not_b32_e32 v15, v15
	v_not_b32_e32 v14, v14
	v_add_u32_e32 v36, 20, v39
	v_and_b32_e32 v15, 0, v15
	v_and_b32_e32 v14, v12, v14
	v_lshlrev_b64 v[36:37], v36, 1
	v_lshrrev_b64 v[12:13], v39, v[12:13]
	v_cmp_eq_u64_e32 vcc, v[14:15], v[36:37]
	v_lshrrev_b32_e32 v14, 23, v12
	v_add3_u32 v36, v39, v38, v14
	v_bfe_u32 v14, v12, 21, 1
	v_add_u32_e32 v14, -1, v14
	v_cndmask_b32_e32 v14, 0, v14, vcc
	v_add_u32_e32 v14, v14, v12
	v_and_b32_e32 v14, 0x1fffff, v14
	v_add_co_u32_e32 v12, vcc, v14, v12
	v_add_u32_e32 v15, 14, v36
	v_addc_co_u32_e32 v13, vcc, 0, v13, vcc
	v_cmp_ne_u32_e32 vcc, 0, v15
                                        ; implicit-def: $vgpr14
	s_and_saveexec_b64 s[28:29], vcc
	s_xor_b64 s[28:29], exec, s[28:29]
; %bb.4384:                             ;   in Loop: Header=BB6_3768 Depth=3
	v_add_u32_e32 v14, 15, v36
	v_cmp_lt_u64_e32 vcc, s[56:57], v[12:13]
	v_cndmask_b32_e32 v14, v15, v14, vcc
	v_cndmask_b32_e64 v15, 0, 1, vcc
	v_lshrrev_b64 v[12:13], v15, v[12:13]
; %bb.4385:                             ;   in Loop: Header=BB6_3768 Depth=3
	s_andn2_saveexec_b64 s[28:29], s[28:29]
; %bb.4386:                             ;   in Loop: Header=BB6_3768 Depth=3
	v_bfe_u32 v14, v12, 23, 1
; %bb.4387:                             ;   in Loop: Header=BB6_3768 Depth=3
	s_or_b64 exec, exec, s[28:29]
	v_lshrrev_b64 v[12:13], 21, v[12:13]
	v_cmp_gt_i32_e32 vcc, 32, v14
	v_cndmask_b32_e32 v13, 0, v13, vcc
	v_cndmask_b32_e32 v12, 3, v12, vcc
	v_cmp_eq_u64_e64 s[28:29], 0, v[12:13]
	v_min_i32_e32 v13, 31, v14
	v_cmp_eq_u32_e32 vcc, 0, v14
	v_lshlrev_b32_e32 v13, 2, v13
	v_and_or_b32 v12, v12, 3, v13
	s_and_b64 s[28:29], vcc, s[28:29]
	v_cndmask_b32_e64 v12, v12, 0, s[28:29]
	v_or_b32_e32 v36, v12, v7
.LBB6_4388:                             ;   in Loop: Header=BB6_3768 Depth=3
	s_or_b64 exec, exec, s[70:71]
.LBB6_4389:                             ;   in Loop: Header=BB6_3768 Depth=3
	s_or_b64 exec, exec, s[68:69]
                                        ; implicit-def: $vgpr14
                                        ; implicit-def: $vgpr12_vgpr13
.LBB6_4390:                             ;   in Loop: Header=BB6_3768 Depth=3
	s_andn2_saveexec_b64 s[28:29], s[30:31]
; %bb.4391:                             ;   in Loop: Header=BB6_3768 Depth=3
	v_or_b32_sdwa v7, v14, s39 dst_sel:DWORD dst_unused:UNUSED_PAD src0_sel:BYTE_3 src1_sel:DWORD
	v_cmp_eq_u64_e32 vcc, 0, v[12:13]
	v_cndmask_b32_e32 v36, v7, v36, vcc
; %bb.4392:                             ;   in Loop: Header=BB6_3768 Depth=3
	s_or_b64 exec, exec, s[28:29]
	v_lshrrev_b16_e32 v14, 8, v50
	v_lshrrev_b16_e32 v12, 8, v6
	v_cmp_ne_u16_e64 s[28:29], 0, v14
	s_and_b64 vcc, exec, s[66:67]
	s_cbranch_vccz .LBB6_4410
; %bb.4393:                             ;   in Loop: Header=BB6_3768 Depth=3
	v_mov_b32_e32 v13, 0
	v_mov_b32_e32 v7, 0
	s_and_saveexec_b64 s[30:31], s[28:29]
	s_cbranch_execz .LBB6_4401
; %bb.4394:                             ;   in Loop: Header=BB6_3768 Depth=3
	v_cmp_ne_u16_e32 vcc, s97, v14
	v_bfrev_b32_e32 v7, 1
	s_and_saveexec_b64 s[68:69], vcc
	s_cbranch_execz .LBB6_4400
; %bb.4395:                             ;   in Loop: Header=BB6_3768 Depth=3
	v_and_b32_e32 v7, 0x7c, v14
	v_and_b32_e32 v37, 3, v14
	v_cmp_ne_u32_e32 vcc, s95, v7
                                        ; implicit-def: $vgpr7
	s_and_saveexec_b64 s[70:71], vcc
	s_xor_b64 s[70:71], exec, s[70:71]
	s_cbranch_execz .LBB6_4397
; %bb.4396:                             ;   in Loop: Header=BB6_3768 Depth=3
	v_ffbh_u32_e32 v38, v37
	v_min_u32_e32 v48, 32, v38
	v_mov_b32_e32 v15, v51
	v_subrev_u32_e32 v38, 29, v48
	v_bfe_u32 v7, v14, 2, 5
	v_lshlrev_b64 v[38:39], v38, v[14:15]
	v_sub_u32_e32 v15, 30, v48
	v_and_b32_e32 v38, 3, v38
	v_cmp_eq_u32_e32 vcc, 0, v7
	v_cndmask_b32_e32 v7, v7, v15, vcc
	v_cndmask_b32_e32 v15, v37, v38, vcc
	v_bfrev_b32_e32 v38, 28
	v_lshlrev_b32_e32 v37, 16, v50
	v_lshl_add_u32 v7, v7, 23, v38
	v_and_or_b32 v7, v37, s96, v7
	v_lshl_or_b32 v7, v15, 21, v7
                                        ; implicit-def: $vgpr37
.LBB6_4397:                             ;   in Loop: Header=BB6_3768 Depth=3
	s_andn2_saveexec_b64 s[70:71], s[70:71]
; %bb.4398:                             ;   in Loop: Header=BB6_3768 Depth=3
	v_cmp_lt_i16_e32 vcc, -1, v50
	v_mov_b32_e32 v7, 0xc7600000
	v_mov_b32_e32 v15, 0x47600000
	v_cndmask_b32_e32 v7, v7, v15, vcc
	v_cmp_eq_u32_e32 vcc, 0, v37
	v_mov_b32_e32 v15, 0x7f800001
	v_cndmask_b32_e32 v7, v15, v7, vcc
; %bb.4399:                             ;   in Loop: Header=BB6_3768 Depth=3
	s_or_b64 exec, exec, s[70:71]
.LBB6_4400:                             ;   in Loop: Header=BB6_3768 Depth=3
	s_or_b64 exec, exec, s[68:69]
.LBB6_4401:                             ;   in Loop: Header=BB6_3768 Depth=3
	s_or_b64 exec, exec, s[30:31]
	v_cmp_ne_u16_e32 vcc, 0, v12
	s_and_saveexec_b64 s[30:31], vcc
	s_cbranch_execz .LBB6_4409
; %bb.4402:                             ;   in Loop: Header=BB6_3768 Depth=3
	v_cmp_ne_u16_e32 vcc, s97, v12
	v_bfrev_b32_e32 v13, 1
	s_and_saveexec_b64 s[68:69], vcc
	s_cbranch_execz .LBB6_4408
; %bb.4403:                             ;   in Loop: Header=BB6_3768 Depth=3
	v_and_b32_e32 v13, 0x7c, v12
	v_and_b32_e32 v15, 3, v12
	v_cmp_ne_u32_e32 vcc, s95, v13
                                        ; implicit-def: $vgpr13
	s_and_saveexec_b64 s[70:71], vcc
	s_xor_b64 s[70:71], exec, s[70:71]
	s_cbranch_execz .LBB6_4405
; %bb.4404:                             ;   in Loop: Header=BB6_3768 Depth=3
	v_ffbh_u32_e32 v38, v15
	v_min_u32_e32 v48, 32, v38
	v_mov_b32_e32 v13, v51
	v_subrev_u32_e32 v38, 29, v48
	v_bfe_u32 v37, v12, 2, 5
	v_lshlrev_b64 v[38:39], v38, v[12:13]
	v_sub_u32_e32 v13, 30, v48
	v_and_b32_e32 v38, 3, v38
	v_cmp_eq_u32_e32 vcc, 0, v37
	v_cndmask_b32_e32 v13, v37, v13, vcc
	v_cndmask_b32_e32 v15, v15, v38, vcc
	v_bfrev_b32_e32 v38, 28
	v_lshlrev_b32_e32 v37, 16, v6
	v_lshl_add_u32 v13, v13, 23, v38
	v_and_or_b32 v13, v37, s96, v13
	v_lshl_or_b32 v13, v15, 21, v13
                                        ; implicit-def: $vgpr15
.LBB6_4405:                             ;   in Loop: Header=BB6_3768 Depth=3
	s_andn2_saveexec_b64 s[70:71], s[70:71]
; %bb.4406:                             ;   in Loop: Header=BB6_3768 Depth=3
	v_cmp_lt_i16_e32 vcc, -1, v6
	v_mov_b32_e32 v13, 0xc7600000
	v_mov_b32_e32 v37, 0x47600000
	v_cndmask_b32_e32 v13, v13, v37, vcc
	v_cmp_eq_u32_e32 vcc, 0, v15
	v_mov_b32_e32 v15, 0x7f800001
	v_cndmask_b32_e32 v13, v15, v13, vcc
; %bb.4407:                             ;   in Loop: Header=BB6_3768 Depth=3
	s_or_b64 exec, exec, s[70:71]
.LBB6_4408:                             ;   in Loop: Header=BB6_3768 Depth=3
	s_or_b64 exec, exec, s[68:69]
.LBB6_4409:                             ;   in Loop: Header=BB6_3768 Depth=3
	s_or_b64 exec, exec, s[30:31]
	v_max_f32_e32 v13, v13, v13
	v_max_f32_e32 v7, v7, v7
	;; [unrolled: 1-line block ×3, first 2 shown]
	s_branch .LBB6_4428
.LBB6_4410:                             ;   in Loop: Header=BB6_3768 Depth=3
                                        ; implicit-def: $vgpr7
	s_cbranch_execz .LBB6_4428
; %bb.4411:                             ;   in Loop: Header=BB6_3768 Depth=3
	v_mov_b32_e32 v13, 0
	v_mov_b32_e32 v15, 0
	s_and_saveexec_b64 s[30:31], s[28:29]
	s_cbranch_execz .LBB6_4419
; %bb.4412:                             ;   in Loop: Header=BB6_3768 Depth=3
	v_cmp_ne_u16_e32 vcc, s97, v14
	v_bfrev_b32_e32 v15, 1
	s_and_saveexec_b64 s[28:29], vcc
	s_cbranch_execz .LBB6_4418
; %bb.4413:                             ;   in Loop: Header=BB6_3768 Depth=3
	v_and_b32_e32 v15, 0x7c, v14
	v_and_b32_e32 v7, 3, v14
	v_cmp_ne_u32_e32 vcc, s95, v15
                                        ; implicit-def: $vgpr15
	s_and_saveexec_b64 s[68:69], vcc
	s_xor_b64 s[68:69], exec, s[68:69]
	s_cbranch_execz .LBB6_4415
; %bb.4414:                             ;   in Loop: Header=BB6_3768 Depth=3
	v_ffbh_u32_e32 v38, v7
	v_min_u32_e32 v38, 32, v38
	v_mov_b32_e32 v15, v51
	v_subrev_u32_e32 v39, 29, v38
	v_bfe_u32 v37, v14, 2, 5
	v_lshlrev_b64 v[14:15], v39, v[14:15]
	v_sub_u32_e32 v15, 30, v38
	v_cmp_eq_u32_e32 vcc, 0, v37
	v_and_b32_e32 v14, 3, v14
	v_cndmask_b32_e32 v15, v37, v15, vcc
	v_bfrev_b32_e32 v37, 28
	v_cndmask_b32_e32 v7, v7, v14, vcc
	v_lshlrev_b32_e32 v14, 16, v50
	v_lshl_add_u32 v15, v15, 23, v37
	v_and_or_b32 v14, v14, s96, v15
	v_lshl_or_b32 v15, v7, 21, v14
                                        ; implicit-def: $vgpr7
.LBB6_4415:                             ;   in Loop: Header=BB6_3768 Depth=3
	s_andn2_saveexec_b64 s[68:69], s[68:69]
; %bb.4416:                             ;   in Loop: Header=BB6_3768 Depth=3
	v_cmp_lt_i16_e32 vcc, -1, v50
	v_mov_b32_e32 v14, 0xc7600000
	v_mov_b32_e32 v15, 0x47600000
	v_cndmask_b32_e32 v14, v14, v15, vcc
	v_cmp_eq_u32_e32 vcc, 0, v7
	v_mov_b32_e32 v7, 0x7f800001
	v_cndmask_b32_e32 v15, v7, v14, vcc
; %bb.4417:                             ;   in Loop: Header=BB6_3768 Depth=3
	s_or_b64 exec, exec, s[68:69]
.LBB6_4418:                             ;   in Loop: Header=BB6_3768 Depth=3
	s_or_b64 exec, exec, s[28:29]
.LBB6_4419:                             ;   in Loop: Header=BB6_3768 Depth=3
	s_or_b64 exec, exec, s[30:31]
	v_cmp_ne_u16_e32 vcc, 0, v12
	s_and_saveexec_b64 s[28:29], vcc
	s_cbranch_execz .LBB6_4427
; %bb.4420:                             ;   in Loop: Header=BB6_3768 Depth=3
	v_cmp_ne_u16_e32 vcc, s97, v12
	v_bfrev_b32_e32 v13, 1
	s_and_saveexec_b64 s[30:31], vcc
	s_cbranch_execz .LBB6_4426
; %bb.4421:                             ;   in Loop: Header=BB6_3768 Depth=3
	v_and_b32_e32 v7, 0x7c, v12
	v_and_b32_e32 v14, 3, v12
	v_cmp_ne_u32_e32 vcc, s95, v7
                                        ; implicit-def: $vgpr13
	s_and_saveexec_b64 s[68:69], vcc
	s_xor_b64 s[68:69], exec, s[68:69]
	s_cbranch_execz .LBB6_4423
; %bb.4422:                             ;   in Loop: Header=BB6_3768 Depth=3
	v_ffbh_u32_e32 v37, v14
	v_min_u32_e32 v37, 32, v37
	v_mov_b32_e32 v13, v51
	v_subrev_u32_e32 v38, 29, v37
	v_bfe_u32 v7, v12, 2, 5
	v_lshlrev_b64 v[12:13], v38, v[12:13]
	v_sub_u32_e32 v13, 30, v37
	v_cmp_eq_u32_e32 vcc, 0, v7
	v_cndmask_b32_e32 v7, v7, v13, vcc
	v_bfrev_b32_e32 v13, 28
	v_and_b32_e32 v12, 3, v12
	v_lshlrev_b32_e32 v6, 16, v6
	v_lshl_add_u32 v7, v7, 23, v13
	v_cndmask_b32_e32 v12, v14, v12, vcc
	v_and_or_b32 v6, v6, s96, v7
	v_lshl_or_b32 v13, v12, 21, v6
                                        ; implicit-def: $vgpr14
                                        ; implicit-def: $vgpr6_vgpr7
.LBB6_4423:                             ;   in Loop: Header=BB6_3768 Depth=3
	s_andn2_saveexec_b64 s[68:69], s[68:69]
; %bb.4424:                             ;   in Loop: Header=BB6_3768 Depth=3
	v_cmp_lt_i16_e32 vcc, -1, v6
	v_mov_b32_e32 v6, 0xc7600000
	v_mov_b32_e32 v7, 0x47600000
	v_cndmask_b32_e32 v6, v6, v7, vcc
	v_cmp_eq_u32_e32 vcc, 0, v14
	v_mov_b32_e32 v7, 0x7f800001
	v_cndmask_b32_e32 v13, v7, v6, vcc
; %bb.4425:                             ;   in Loop: Header=BB6_3768 Depth=3
	s_or_b64 exec, exec, s[68:69]
.LBB6_4426:                             ;   in Loop: Header=BB6_3768 Depth=3
	s_or_b64 exec, exec, s[30:31]
.LBB6_4427:                             ;   in Loop: Header=BB6_3768 Depth=3
	s_or_b64 exec, exec, s[28:29]
	v_max_f32_e32 v6, v13, v13
	v_max_f32_e32 v7, v15, v15
	v_min_f32_e32 v7, v7, v6
.LBB6_4428:                             ;   in Loop: Header=BB6_3768 Depth=3
	v_and_b32_sdwa v12, v7, s97 dst_sel:DWORD dst_unused:UNUSED_PAD src0_sel:BYTE_3 src1_sel:DWORD
	v_and_b32_e32 v14, 0x7f800000, v7
	v_mov_b32_e32 v15, v51
	v_and_b32_e32 v50, 0x7fffff, v7
	v_or_b32_e32 v37, 0x7b, v12
	v_cmp_ne_u64_e32 vcc, s[52:53], v[14:15]
	s_and_saveexec_b64 s[28:29], vcc
	s_xor_b64 s[30:31], exec, s[28:29]
	s_cbranch_execz .LBB6_4438
; %bb.4429:                             ;   in Loop: Header=BB6_3768 Depth=3
	v_and_b32_e32 v14, 0x7fffffff, v7
	v_mov_b32_e32 v15, v51
	v_cmp_gt_u64_e32 vcc, s[54:55], v[14:15]
	s_and_saveexec_b64 s[68:69], vcc
	s_cbranch_execz .LBB6_4437
; %bb.4430:                             ;   in Loop: Header=BB6_3768 Depth=3
	v_cmp_ne_u32_e32 vcc, 0, v7
	v_mov_b32_e32 v37, 0
	s_and_saveexec_b64 s[70:71], vcc
	s_cbranch_execz .LBB6_4436
; %bb.4431:                             ;   in Loop: Header=BB6_3768 Depth=3
	v_bfe_u32 v6, v7, 23, 8
	v_cmp_eq_u32_e32 vcc, 0, v6
	v_add_u32_e32 v7, 0xffffff81, v6
	v_cmp_gt_u32_e64 s[28:29], s38, v6
	v_sub_u32_e32 v6, 0x71, v6
	v_mov_b32_e32 v14, 0xffffff82
	v_cndmask_b32_e64 v6, 0, v6, s[28:29]
	v_cndmask_b32_e32 v37, v7, v14, vcc
	v_mov_b32_e32 v7, 0x70
	v_cndmask_b32_e32 v38, v6, v7, vcc
	v_add_u32_e32 v6, 21, v38
	v_or_b32_e32 v13, 0x800000, v50
	v_lshlrev_b64 v[6:7], v6, -1
	v_cndmask_b32_e32 v50, v13, v50, vcc
	v_not_b32_e32 v7, v7
	v_not_b32_e32 v6, v6
	v_add_u32_e32 v13, 20, v38
	v_and_b32_e32 v7, 0, v7
	v_and_b32_e32 v6, v50, v6
	v_lshlrev_b64 v[14:15], v13, 1
	v_cmp_eq_u64_e32 vcc, v[6:7], v[14:15]
	v_lshrrev_b64 v[6:7], v38, v[50:51]
	v_lshrrev_b32_e32 v13, 23, v6
	v_add3_u32 v15, v38, v37, v13
	v_bfe_u32 v13, v6, 21, 1
	v_add_u32_e32 v13, -1, v13
	v_cndmask_b32_e32 v13, 0, v13, vcc
	v_add_u32_e32 v13, v13, v6
	v_and_b32_e32 v13, 0x1fffff, v13
	v_add_co_u32_e32 v6, vcc, v13, v6
	v_add_u32_e32 v14, 14, v15
	v_addc_co_u32_e32 v7, vcc, 0, v7, vcc
	v_cmp_ne_u32_e32 vcc, 0, v14
                                        ; implicit-def: $vgpr13
	s_and_saveexec_b64 s[28:29], vcc
	s_xor_b64 s[28:29], exec, s[28:29]
; %bb.4432:                             ;   in Loop: Header=BB6_3768 Depth=3
	v_add_u32_e32 v13, 15, v15
	v_cmp_lt_u64_e32 vcc, s[56:57], v[6:7]
	v_cndmask_b32_e32 v13, v14, v13, vcc
	v_cndmask_b32_e64 v14, 0, 1, vcc
	v_lshrrev_b64 v[6:7], v14, v[6:7]
; %bb.4433:                             ;   in Loop: Header=BB6_3768 Depth=3
	s_andn2_saveexec_b64 s[28:29], s[28:29]
; %bb.4434:                             ;   in Loop: Header=BB6_3768 Depth=3
	v_bfe_u32 v13, v6, 23, 1
; %bb.4435:                             ;   in Loop: Header=BB6_3768 Depth=3
	s_or_b64 exec, exec, s[28:29]
	v_lshrrev_b64 v[6:7], 21, v[6:7]
	v_cmp_gt_i32_e32 vcc, 32, v13
	v_cndmask_b32_e32 v7, 0, v7, vcc
	v_cndmask_b32_e32 v6, 3, v6, vcc
	v_cmp_eq_u64_e64 s[28:29], 0, v[6:7]
	v_min_i32_e32 v7, 31, v13
	v_cmp_eq_u32_e32 vcc, 0, v13
	v_lshlrev_b32_e32 v7, 2, v7
	v_and_or_b32 v6, v6, 3, v7
	s_and_b64 s[28:29], vcc, s[28:29]
	v_cndmask_b32_e64 v6, v6, 0, s[28:29]
	v_or_b32_e32 v37, v6, v12
.LBB6_4436:                             ;   in Loop: Header=BB6_3768 Depth=3
	s_or_b64 exec, exec, s[70:71]
.LBB6_4437:                             ;   in Loop: Header=BB6_3768 Depth=3
	s_or_b64 exec, exec, s[68:69]
                                        ; implicit-def: $vgpr7
.LBB6_4438:                             ;   in Loop: Header=BB6_3768 Depth=3
	s_andn2_saveexec_b64 s[28:29], s[30:31]
; %bb.4439:                             ;   in Loop: Header=BB6_3768 Depth=3
	v_or_b32_sdwa v6, v7, s39 dst_sel:DWORD dst_unused:UNUSED_PAD src0_sel:BYTE_3 src1_sel:DWORD
	v_cmp_eq_u64_e32 vcc, 0, v[50:51]
	v_cndmask_b32_e32 v37, v6, v37, vcc
; %bb.4440:                             ;   in Loop: Header=BB6_3768 Depth=3
	s_or_b64 exec, exec, s[28:29]
	v_lshrrev_b32_e32 v12, 16, v23
	v_lshrrev_b32_e32 v6, 16, v19
	v_cmp_ne_u16_sdwa s[28:29], v12, v51 src0_sel:BYTE_0 src1_sel:DWORD
	s_and_b64 vcc, exec, s[66:67]
	s_cbranch_vccz .LBB6_4458
; %bb.4441:                             ;   in Loop: Header=BB6_3768 Depth=3
	v_mov_b32_e32 v13, 0
	v_mov_b32_e32 v7, 0
	s_and_saveexec_b64 s[30:31], s[28:29]
	s_cbranch_execz .LBB6_4449
; %bb.4442:                             ;   in Loop: Header=BB6_3768 Depth=3
	v_cmp_ne_u16_sdwa vcc, v12, s97 src0_sel:BYTE_0 src1_sel:DWORD
	v_bfrev_b32_e32 v7, 1
	s_and_saveexec_b64 s[68:69], vcc
	s_cbranch_execz .LBB6_4448
; %bb.4443:                             ;   in Loop: Header=BB6_3768 Depth=3
	v_and_b32_e32 v7, 0x7c0000, v23
	v_bfe_u32 v14, v23, 16, 2
	v_cmp_ne_u32_e32 vcc, s36, v7
                                        ; implicit-def: $vgpr7
	s_and_saveexec_b64 s[70:71], vcc
	s_xor_b64 s[70:71], exec, s[70:71]
	s_cbranch_execz .LBB6_4445
; %bb.4444:                             ;   in Loop: Header=BB6_3768 Depth=3
	v_ffbh_u32_e32 v15, v14
	v_min_u32_e32 v15, 32, v15
	v_subrev_u32_e32 v38, 29, v15
	v_bfe_u32 v7, v23, 18, 5
	v_lshlrev_b64 v[38:39], v38, v[12:13]
	v_sub_u32_e32 v15, 30, v15
	v_and_b32_e32 v38, 3, v38
	v_cmp_eq_u32_e32 vcc, 0, v7
	v_cndmask_b32_e32 v7, v7, v15, vcc
	v_cndmask_b32_e32 v14, v14, v38, vcc
	v_bfrev_b32_e32 v38, 28
	v_lshlrev_b32_e32 v15, 24, v12
	v_lshl_add_u32 v7, v7, 23, v38
	v_and_or_b32 v7, v15, s96, v7
	v_lshl_or_b32 v7, v14, 21, v7
                                        ; implicit-def: $vgpr14
.LBB6_4445:                             ;   in Loop: Header=BB6_3768 Depth=3
	s_andn2_saveexec_b64 s[70:71], s[70:71]
; %bb.4446:                             ;   in Loop: Header=BB6_3768 Depth=3
	v_mov_b32_e32 v7, -1
	v_cmp_gt_i16_sdwa vcc, sext(v12), v7 src0_sel:BYTE_0 src1_sel:DWORD
	v_mov_b32_e32 v7, 0xc7600000
	v_mov_b32_e32 v15, 0x47600000
	v_cndmask_b32_e32 v7, v7, v15, vcc
	v_cmp_eq_u32_e32 vcc, 0, v14
	v_mov_b32_e32 v14, 0x7f800001
	v_cndmask_b32_e32 v7, v14, v7, vcc
; %bb.4447:                             ;   in Loop: Header=BB6_3768 Depth=3
	s_or_b64 exec, exec, s[70:71]
.LBB6_4448:                             ;   in Loop: Header=BB6_3768 Depth=3
	s_or_b64 exec, exec, s[68:69]
.LBB6_4449:                             ;   in Loop: Header=BB6_3768 Depth=3
	s_or_b64 exec, exec, s[30:31]
	v_cmp_ne_u16_sdwa vcc, v6, v51 src0_sel:BYTE_0 src1_sel:DWORD
	s_and_saveexec_b64 s[30:31], vcc
	s_cbranch_execz .LBB6_4457
; %bb.4450:                             ;   in Loop: Header=BB6_3768 Depth=3
	v_cmp_ne_u16_sdwa vcc, v6, s97 src0_sel:BYTE_0 src1_sel:DWORD
	v_bfrev_b32_e32 v13, 1
	s_and_saveexec_b64 s[68:69], vcc
	s_cbranch_execz .LBB6_4456
; %bb.4451:                             ;   in Loop: Header=BB6_3768 Depth=3
	v_and_b32_e32 v13, 0x7c0000, v19
	v_bfe_u32 v14, v19, 16, 2
	v_cmp_ne_u32_e32 vcc, s36, v13
                                        ; implicit-def: $vgpr13
	s_and_saveexec_b64 s[70:71], vcc
	s_xor_b64 s[70:71], exec, s[70:71]
	s_cbranch_execz .LBB6_4453
; %bb.4452:                             ;   in Loop: Header=BB6_3768 Depth=3
	v_ffbh_u32_e32 v15, v14
	v_min_u32_e32 v15, 32, v15
	v_subrev_u32_e32 v38, 29, v15
	v_bfe_u32 v13, v19, 18, 5
	v_lshlrev_b64 v[38:39], v38, v[6:7]
	v_sub_u32_e32 v15, 30, v15
	v_and_b32_e32 v38, 3, v38
	v_cmp_eq_u32_e32 vcc, 0, v13
	v_cndmask_b32_e32 v13, v13, v15, vcc
	v_cndmask_b32_e32 v14, v14, v38, vcc
	v_bfrev_b32_e32 v38, 28
	v_lshlrev_b32_e32 v15, 24, v6
	v_lshl_add_u32 v13, v13, 23, v38
	v_and_or_b32 v13, v15, s96, v13
	v_lshl_or_b32 v13, v14, 21, v13
                                        ; implicit-def: $vgpr14
.LBB6_4453:                             ;   in Loop: Header=BB6_3768 Depth=3
	s_andn2_saveexec_b64 s[70:71], s[70:71]
; %bb.4454:                             ;   in Loop: Header=BB6_3768 Depth=3
	v_mov_b32_e32 v13, -1
	v_cmp_gt_i16_sdwa vcc, sext(v6), v13 src0_sel:BYTE_0 src1_sel:DWORD
	v_mov_b32_e32 v13, 0xc7600000
	v_mov_b32_e32 v15, 0x47600000
	v_cndmask_b32_e32 v13, v13, v15, vcc
	v_cmp_eq_u32_e32 vcc, 0, v14
	v_mov_b32_e32 v14, 0x7f800001
	v_cndmask_b32_e32 v13, v14, v13, vcc
; %bb.4455:                             ;   in Loop: Header=BB6_3768 Depth=3
	s_or_b64 exec, exec, s[70:71]
.LBB6_4456:                             ;   in Loop: Header=BB6_3768 Depth=3
	s_or_b64 exec, exec, s[68:69]
.LBB6_4457:                             ;   in Loop: Header=BB6_3768 Depth=3
	s_or_b64 exec, exec, s[30:31]
	v_max_f32_e32 v13, v13, v13
	v_max_f32_e32 v7, v7, v7
	;; [unrolled: 1-line block ×3, first 2 shown]
	s_branch .LBB6_4476
.LBB6_4458:                             ;   in Loop: Header=BB6_3768 Depth=3
                                        ; implicit-def: $vgpr7
	s_cbranch_execz .LBB6_4476
; %bb.4459:                             ;   in Loop: Header=BB6_3768 Depth=3
	v_mov_b32_e32 v13, 0
	v_mov_b32_e32 v7, 0
	s_and_saveexec_b64 s[30:31], s[28:29]
	s_cbranch_execz .LBB6_4467
; %bb.4460:                             ;   in Loop: Header=BB6_3768 Depth=3
	v_cmp_ne_u16_sdwa vcc, v12, s97 src0_sel:BYTE_0 src1_sel:DWORD
	v_bfrev_b32_e32 v7, 1
	s_and_saveexec_b64 s[28:29], vcc
	s_cbranch_execz .LBB6_4466
; %bb.4461:                             ;   in Loop: Header=BB6_3768 Depth=3
	v_and_b32_e32 v7, 0x7c0000, v23
	v_bfe_u32 v14, v23, 16, 2
	v_cmp_ne_u32_e32 vcc, s36, v7
                                        ; implicit-def: $vgpr7
	s_and_saveexec_b64 s[68:69], vcc
	s_xor_b64 s[68:69], exec, s[68:69]
	s_cbranch_execz .LBB6_4463
; %bb.4462:                             ;   in Loop: Header=BB6_3768 Depth=3
	v_ffbh_u32_e32 v15, v14
	v_bfe_u32 v7, v23, 18, 5
	v_min_u32_e32 v15, 32, v15
	v_subrev_u32_e32 v38, 29, v15
	v_sub_u32_e32 v15, 30, v15
	v_cmp_eq_u32_e32 vcc, 0, v7
	v_lshlrev_b64 v[38:39], v38, v[12:13]
	v_cndmask_b32_e32 v7, v7, v15, vcc
	v_bfrev_b32_e32 v15, 28
	v_and_b32_e32 v38, 3, v38
	v_lshlrev_b32_e32 v12, 24, v12
	v_lshl_add_u32 v7, v7, 23, v15
	v_cndmask_b32_e32 v14, v14, v38, vcc
	v_and_or_b32 v7, v12, s96, v7
	v_lshl_or_b32 v7, v14, 21, v7
                                        ; implicit-def: $vgpr14
                                        ; implicit-def: $vgpr12
.LBB6_4463:                             ;   in Loop: Header=BB6_3768 Depth=3
	s_andn2_saveexec_b64 s[68:69], s[68:69]
; %bb.4464:                             ;   in Loop: Header=BB6_3768 Depth=3
	v_mov_b32_e32 v7, -1
	v_cmp_gt_i16_sdwa vcc, sext(v12), v7 src0_sel:BYTE_0 src1_sel:DWORD
	v_mov_b32_e32 v7, 0xc7600000
	v_mov_b32_e32 v12, 0x47600000
	v_cndmask_b32_e32 v7, v7, v12, vcc
	v_cmp_eq_u32_e32 vcc, 0, v14
	v_mov_b32_e32 v12, 0x7f800001
	v_cndmask_b32_e32 v7, v12, v7, vcc
; %bb.4465:                             ;   in Loop: Header=BB6_3768 Depth=3
	s_or_b64 exec, exec, s[68:69]
.LBB6_4466:                             ;   in Loop: Header=BB6_3768 Depth=3
	s_or_b64 exec, exec, s[28:29]
.LBB6_4467:                             ;   in Loop: Header=BB6_3768 Depth=3
	s_or_b64 exec, exec, s[30:31]
	v_cmp_ne_u16_sdwa vcc, v6, v51 src0_sel:BYTE_0 src1_sel:DWORD
	s_and_saveexec_b64 s[28:29], vcc
	s_cbranch_execz .LBB6_4475
; %bb.4468:                             ;   in Loop: Header=BB6_3768 Depth=3
	v_cmp_ne_u16_sdwa vcc, v6, s97 src0_sel:BYTE_0 src1_sel:DWORD
	v_bfrev_b32_e32 v13, 1
	s_and_saveexec_b64 s[30:31], vcc
	s_cbranch_execz .LBB6_4474
; %bb.4469:                             ;   in Loop: Header=BB6_3768 Depth=3
	v_and_b32_e32 v13, 0x7c0000, v19
	v_bfe_u32 v12, v19, 16, 2
	v_cmp_ne_u32_e32 vcc, s36, v13
                                        ; implicit-def: $vgpr13
	s_and_saveexec_b64 s[68:69], vcc
	s_xor_b64 s[68:69], exec, s[68:69]
	s_cbranch_execz .LBB6_4471
; %bb.4470:                             ;   in Loop: Header=BB6_3768 Depth=3
	v_ffbh_u32_e32 v14, v12
	v_min_u32_e32 v38, 32, v14
	v_subrev_u32_e32 v14, 29, v38
	v_bfe_u32 v13, v19, 18, 5
	v_lshlrev_b64 v[14:15], v14, v[6:7]
	v_sub_u32_e32 v15, 30, v38
	v_and_b32_e32 v14, 3, v14
	v_cmp_eq_u32_e32 vcc, 0, v13
	v_cndmask_b32_e32 v13, v13, v15, vcc
	v_cndmask_b32_e32 v12, v12, v14, vcc
	v_bfrev_b32_e32 v14, 28
	v_lshlrev_b32_e32 v6, 24, v6
	v_lshl_add_u32 v13, v13, 23, v14
	v_and_or_b32 v6, v6, s96, v13
	v_lshl_or_b32 v13, v12, 21, v6
                                        ; implicit-def: $vgpr12
                                        ; implicit-def: $vgpr6
.LBB6_4471:                             ;   in Loop: Header=BB6_3768 Depth=3
	s_andn2_saveexec_b64 s[68:69], s[68:69]
; %bb.4472:                             ;   in Loop: Header=BB6_3768 Depth=3
	v_mov_b32_e32 v13, -1
	v_cmp_gt_i16_sdwa vcc, sext(v6), v13 src0_sel:BYTE_0 src1_sel:DWORD
	v_mov_b32_e32 v6, 0xc7600000
	v_mov_b32_e32 v13, 0x47600000
	v_cndmask_b32_e32 v6, v6, v13, vcc
	v_cmp_eq_u32_e32 vcc, 0, v12
	v_mov_b32_e32 v12, 0x7f800001
	v_cndmask_b32_e32 v13, v12, v6, vcc
; %bb.4473:                             ;   in Loop: Header=BB6_3768 Depth=3
	s_or_b64 exec, exec, s[68:69]
.LBB6_4474:                             ;   in Loop: Header=BB6_3768 Depth=3
	s_or_b64 exec, exec, s[30:31]
.LBB6_4475:                             ;   in Loop: Header=BB6_3768 Depth=3
	s_or_b64 exec, exec, s[28:29]
	v_max_f32_e32 v6, v13, v13
	v_max_f32_e32 v7, v7, v7
	v_min_f32_e32 v7, v7, v6
.LBB6_4476:                             ;   in Loop: Header=BB6_3768 Depth=3
	v_and_b32_sdwa v12, v7, s97 dst_sel:DWORD dst_unused:UNUSED_PAD src0_sel:BYTE_3 src1_sel:DWORD
	v_and_b32_e32 v14, 0x7f800000, v7
	v_mov_b32_e32 v15, v51
	v_and_b32_e32 v50, 0x7fffff, v7
	v_or_b32_e32 v38, 0x7b, v12
	v_cmp_ne_u64_e32 vcc, s[52:53], v[14:15]
	s_and_saveexec_b64 s[28:29], vcc
	s_xor_b64 s[30:31], exec, s[28:29]
	s_cbranch_execz .LBB6_4486
; %bb.4477:                             ;   in Loop: Header=BB6_3768 Depth=3
	v_and_b32_e32 v14, 0x7fffffff, v7
	v_mov_b32_e32 v15, v51
	v_cmp_gt_u64_e32 vcc, s[54:55], v[14:15]
	s_and_saveexec_b64 s[68:69], vcc
	s_cbranch_execz .LBB6_4485
; %bb.4478:                             ;   in Loop: Header=BB6_3768 Depth=3
	v_cmp_ne_u32_e32 vcc, 0, v7
	v_mov_b32_e32 v38, 0
	s_and_saveexec_b64 s[70:71], vcc
	s_cbranch_execz .LBB6_4484
; %bb.4479:                             ;   in Loop: Header=BB6_3768 Depth=3
	v_bfe_u32 v6, v7, 23, 8
	v_cmp_eq_u32_e32 vcc, 0, v6
	v_add_u32_e32 v7, 0xffffff81, v6
	v_cmp_gt_u32_e64 s[28:29], s38, v6
	v_sub_u32_e32 v6, 0x71, v6
	v_mov_b32_e32 v14, 0xffffff82
	v_cndmask_b32_e64 v6, 0, v6, s[28:29]
	v_cndmask_b32_e32 v38, v7, v14, vcc
	v_mov_b32_e32 v7, 0x70
	v_cndmask_b32_e32 v39, v6, v7, vcc
	v_add_u32_e32 v6, 21, v39
	v_or_b32_e32 v13, 0x800000, v50
	v_lshlrev_b64 v[6:7], v6, -1
	v_cndmask_b32_e32 v50, v13, v50, vcc
	v_not_b32_e32 v7, v7
	v_not_b32_e32 v6, v6
	v_add_u32_e32 v13, 20, v39
	v_and_b32_e32 v7, 0, v7
	v_and_b32_e32 v6, v50, v6
	v_lshlrev_b64 v[14:15], v13, 1
	v_cmp_eq_u64_e32 vcc, v[6:7], v[14:15]
	v_lshrrev_b64 v[6:7], v39, v[50:51]
	v_lshrrev_b32_e32 v13, 23, v6
	v_add3_u32 v15, v39, v38, v13
	v_bfe_u32 v13, v6, 21, 1
	v_add_u32_e32 v13, -1, v13
	v_cndmask_b32_e32 v13, 0, v13, vcc
	v_add_u32_e32 v13, v13, v6
	v_and_b32_e32 v13, 0x1fffff, v13
	v_add_co_u32_e32 v6, vcc, v13, v6
	v_add_u32_e32 v14, 14, v15
	v_addc_co_u32_e32 v7, vcc, 0, v7, vcc
	v_cmp_ne_u32_e32 vcc, 0, v14
                                        ; implicit-def: $vgpr13
	s_and_saveexec_b64 s[28:29], vcc
	s_xor_b64 s[28:29], exec, s[28:29]
; %bb.4480:                             ;   in Loop: Header=BB6_3768 Depth=3
	v_add_u32_e32 v13, 15, v15
	v_cmp_lt_u64_e32 vcc, s[56:57], v[6:7]
	v_cndmask_b32_e32 v13, v14, v13, vcc
	v_cndmask_b32_e64 v14, 0, 1, vcc
	v_lshrrev_b64 v[6:7], v14, v[6:7]
; %bb.4481:                             ;   in Loop: Header=BB6_3768 Depth=3
	s_andn2_saveexec_b64 s[28:29], s[28:29]
; %bb.4482:                             ;   in Loop: Header=BB6_3768 Depth=3
	v_bfe_u32 v13, v6, 23, 1
; %bb.4483:                             ;   in Loop: Header=BB6_3768 Depth=3
	s_or_b64 exec, exec, s[28:29]
	v_lshrrev_b64 v[6:7], 21, v[6:7]
	v_cmp_gt_i32_e32 vcc, 32, v13
	v_cndmask_b32_e32 v7, 0, v7, vcc
	v_cndmask_b32_e32 v6, 3, v6, vcc
	v_cmp_eq_u64_e64 s[28:29], 0, v[6:7]
	v_min_i32_e32 v7, 31, v13
	v_cmp_eq_u32_e32 vcc, 0, v13
	v_lshlrev_b32_e32 v7, 2, v7
	v_and_or_b32 v6, v6, 3, v7
	s_and_b64 s[28:29], vcc, s[28:29]
	v_cndmask_b32_e64 v6, v6, 0, s[28:29]
	v_or_b32_e32 v38, v6, v12
.LBB6_4484:                             ;   in Loop: Header=BB6_3768 Depth=3
	s_or_b64 exec, exec, s[70:71]
.LBB6_4485:                             ;   in Loop: Header=BB6_3768 Depth=3
	s_or_b64 exec, exec, s[68:69]
                                        ; implicit-def: $vgpr7
.LBB6_4486:                             ;   in Loop: Header=BB6_3768 Depth=3
	s_andn2_saveexec_b64 s[28:29], s[30:31]
; %bb.4487:                             ;   in Loop: Header=BB6_3768 Depth=3
	v_or_b32_sdwa v6, v7, s39 dst_sel:DWORD dst_unused:UNUSED_PAD src0_sel:BYTE_3 src1_sel:DWORD
	v_cmp_eq_u64_e32 vcc, 0, v[50:51]
	v_cndmask_b32_e32 v38, v6, v38, vcc
; %bb.4488:                             ;   in Loop: Header=BB6_3768 Depth=3
	s_or_b64 exec, exec, s[28:29]
	v_lshrrev_b32_e32 v12, 24, v23
	v_lshrrev_b32_e32 v6, 24, v19
	v_cmp_lt_u64_e64 s[28:29], s[42:43], v[22:23]
	s_and_b64 vcc, exec, s[66:67]
	s_cbranch_vccz .LBB6_4506
; %bb.4489:                             ;   in Loop: Header=BB6_3768 Depth=3
	v_mov_b32_e32 v13, 0
	v_mov_b32_e32 v7, 0
	s_and_saveexec_b64 s[30:31], s[28:29]
	s_cbranch_execz .LBB6_4497
; %bb.4490:                             ;   in Loop: Header=BB6_3768 Depth=3
	v_cmp_ne_u32_e32 vcc, s97, v12
	v_bfrev_b32_e32 v7, 1
	s_and_saveexec_b64 s[68:69], vcc
	s_cbranch_execz .LBB6_4496
; %bb.4491:                             ;   in Loop: Header=BB6_3768 Depth=3
	v_and_b32_e32 v7, 0x7c000000, v23
	v_bfe_u32 v14, v23, 24, 2
	v_cmp_ne_u32_e32 vcc, s37, v7
                                        ; implicit-def: $vgpr7
	s_and_saveexec_b64 s[70:71], vcc
	s_xor_b64 s[70:71], exec, s[70:71]
	s_cbranch_execz .LBB6_4493
; %bb.4492:                             ;   in Loop: Header=BB6_3768 Depth=3
	v_ffbh_u32_e32 v15, v14
	v_bfe_u32 v7, v23, 26, 5
	v_min_u32_e32 v15, 32, v15
	v_subrev_u32_e32 v39, 29, v15
	v_sub_u32_e32 v15, 30, v15
	v_cmp_eq_u32_e32 vcc, 0, v7
	v_lshlrev_b64 v[48:49], v39, v[12:13]
	v_cndmask_b32_e32 v7, v7, v15, vcc
	v_bfrev_b32_e32 v15, 28
	v_and_b32_e32 v39, 3, v48
	v_lshl_add_u32 v7, v7, 23, v15
	v_cndmask_b32_e32 v14, v14, v39, vcc
	v_and_or_b32 v7, v23, s96, v7
	v_lshl_or_b32 v7, v14, 21, v7
                                        ; implicit-def: $vgpr14
.LBB6_4493:                             ;   in Loop: Header=BB6_3768 Depth=3
	s_andn2_saveexec_b64 s[70:71], s[70:71]
; %bb.4494:                             ;   in Loop: Header=BB6_3768 Depth=3
	v_cmp_lt_i64_e32 vcc, -1, v[22:23]
	v_mov_b32_e32 v7, 0xc7600000
	v_mov_b32_e32 v15, 0x47600000
	v_cndmask_b32_e32 v7, v7, v15, vcc
	v_cmp_eq_u32_e32 vcc, 0, v14
	v_mov_b32_e32 v14, 0x7f800001
	v_cndmask_b32_e32 v7, v14, v7, vcc
; %bb.4495:                             ;   in Loop: Header=BB6_3768 Depth=3
	s_or_b64 exec, exec, s[70:71]
.LBB6_4496:                             ;   in Loop: Header=BB6_3768 Depth=3
	s_or_b64 exec, exec, s[68:69]
.LBB6_4497:                             ;   in Loop: Header=BB6_3768 Depth=3
	s_or_b64 exec, exec, s[30:31]
	v_cmp_lt_u64_e32 vcc, s[42:43], v[18:19]
	s_and_saveexec_b64 s[30:31], vcc
	s_cbranch_execz .LBB6_4505
; %bb.4498:                             ;   in Loop: Header=BB6_3768 Depth=3
	v_cmp_ne_u32_e32 vcc, s97, v6
	v_bfrev_b32_e32 v13, 1
	s_and_saveexec_b64 s[68:69], vcc
	s_cbranch_execz .LBB6_4504
; %bb.4499:                             ;   in Loop: Header=BB6_3768 Depth=3
	v_and_b32_e32 v13, 0x7c000000, v19
	v_bfe_u32 v14, v19, 24, 2
	v_cmp_ne_u32_e32 vcc, s37, v13
                                        ; implicit-def: $vgpr13
	s_and_saveexec_b64 s[70:71], vcc
	s_xor_b64 s[70:71], exec, s[70:71]
	s_cbranch_execz .LBB6_4501
; %bb.4500:                             ;   in Loop: Header=BB6_3768 Depth=3
	v_ffbh_u32_e32 v15, v14
	v_bfe_u32 v13, v19, 26, 5
	v_min_u32_e32 v15, 32, v15
	v_subrev_u32_e32 v39, 29, v15
	v_sub_u32_e32 v15, 30, v15
	v_cmp_eq_u32_e32 vcc, 0, v13
	v_lshlrev_b64 v[48:49], v39, v[6:7]
	v_cndmask_b32_e32 v13, v13, v15, vcc
	v_bfrev_b32_e32 v15, 28
	v_and_b32_e32 v39, 3, v48
	v_lshl_add_u32 v13, v13, 23, v15
	v_cndmask_b32_e32 v14, v14, v39, vcc
	v_and_or_b32 v13, v19, s96, v13
	v_lshl_or_b32 v13, v14, 21, v13
                                        ; implicit-def: $vgpr14
.LBB6_4501:                             ;   in Loop: Header=BB6_3768 Depth=3
	s_andn2_saveexec_b64 s[70:71], s[70:71]
; %bb.4502:                             ;   in Loop: Header=BB6_3768 Depth=3
	v_cmp_lt_i64_e32 vcc, -1, v[18:19]
	v_mov_b32_e32 v13, 0xc7600000
	v_mov_b32_e32 v15, 0x47600000
	v_cndmask_b32_e32 v13, v13, v15, vcc
	v_cmp_eq_u32_e32 vcc, 0, v14
	v_mov_b32_e32 v14, 0x7f800001
	v_cndmask_b32_e32 v13, v14, v13, vcc
; %bb.4503:                             ;   in Loop: Header=BB6_3768 Depth=3
	s_or_b64 exec, exec, s[70:71]
.LBB6_4504:                             ;   in Loop: Header=BB6_3768 Depth=3
	s_or_b64 exec, exec, s[68:69]
.LBB6_4505:                             ;   in Loop: Header=BB6_3768 Depth=3
	s_or_b64 exec, exec, s[30:31]
	v_max_f32_e32 v13, v13, v13
	v_max_f32_e32 v7, v7, v7
	;; [unrolled: 1-line block ×3, first 2 shown]
	s_branch .LBB6_4524
.LBB6_4506:                             ;   in Loop: Header=BB6_3768 Depth=3
                                        ; implicit-def: $vgpr7
	s_cbranch_execz .LBB6_4524
; %bb.4507:                             ;   in Loop: Header=BB6_3768 Depth=3
	v_mov_b32_e32 v13, 0
	v_mov_b32_e32 v7, 0
	s_and_saveexec_b64 s[30:31], s[28:29]
	s_cbranch_execz .LBB6_4515
; %bb.4508:                             ;   in Loop: Header=BB6_3768 Depth=3
	v_cmp_ne_u32_e32 vcc, s97, v12
	v_bfrev_b32_e32 v7, 1
	s_and_saveexec_b64 s[28:29], vcc
	s_cbranch_execz .LBB6_4514
; %bb.4509:                             ;   in Loop: Header=BB6_3768 Depth=3
	v_and_b32_e32 v7, 0x7c000000, v23
	v_bfe_u32 v14, v23, 24, 2
	v_cmp_ne_u32_e32 vcc, s37, v7
                                        ; implicit-def: $vgpr7
	s_and_saveexec_b64 s[68:69], vcc
	s_xor_b64 s[68:69], exec, s[68:69]
	s_cbranch_execz .LBB6_4511
; %bb.4510:                             ;   in Loop: Header=BB6_3768 Depth=3
	v_ffbh_u32_e32 v15, v14
	v_min_u32_e32 v15, 32, v15
	v_subrev_u32_e32 v22, 29, v15
	v_bfe_u32 v7, v23, 26, 5
	v_lshlrev_b64 v[48:49], v22, v[12:13]
	v_sub_u32_e32 v12, 30, v15
	v_and_b32_e32 v15, 3, v48
	v_cmp_eq_u32_e32 vcc, 0, v7
	v_cndmask_b32_e32 v7, v7, v12, vcc
	v_cndmask_b32_e32 v12, v14, v15, vcc
	v_bfrev_b32_e32 v14, 28
	v_lshl_add_u32 v7, v7, 23, v14
	v_and_or_b32 v7, v23, s96, v7
	v_lshl_or_b32 v7, v12, 21, v7
                                        ; implicit-def: $vgpr14
                                        ; implicit-def: $vgpr22_vgpr23
.LBB6_4511:                             ;   in Loop: Header=BB6_3768 Depth=3
	s_andn2_saveexec_b64 s[68:69], s[68:69]
; %bb.4512:                             ;   in Loop: Header=BB6_3768 Depth=3
	v_cmp_lt_i64_e32 vcc, -1, v[22:23]
	v_mov_b32_e32 v7, 0xc7600000
	v_mov_b32_e32 v12, 0x47600000
	v_cndmask_b32_e32 v7, v7, v12, vcc
	v_cmp_eq_u32_e32 vcc, 0, v14
	v_mov_b32_e32 v12, 0x7f800001
	v_cndmask_b32_e32 v7, v12, v7, vcc
; %bb.4513:                             ;   in Loop: Header=BB6_3768 Depth=3
	s_or_b64 exec, exec, s[68:69]
.LBB6_4514:                             ;   in Loop: Header=BB6_3768 Depth=3
	s_or_b64 exec, exec, s[28:29]
.LBB6_4515:                             ;   in Loop: Header=BB6_3768 Depth=3
	s_or_b64 exec, exec, s[30:31]
	v_cmp_lt_u64_e32 vcc, s[42:43], v[18:19]
	s_and_saveexec_b64 s[28:29], vcc
	s_cbranch_execz .LBB6_4523
; %bb.4516:                             ;   in Loop: Header=BB6_3768 Depth=3
	v_cmp_ne_u32_e32 vcc, s97, v6
	v_bfrev_b32_e32 v13, 1
	s_and_saveexec_b64 s[30:31], vcc
	s_cbranch_execz .LBB6_4522
; %bb.4517:                             ;   in Loop: Header=BB6_3768 Depth=3
	v_and_b32_e32 v13, 0x7c000000, v19
	v_bfe_u32 v12, v19, 24, 2
	v_cmp_ne_u32_e32 vcc, s37, v13
                                        ; implicit-def: $vgpr13
	s_and_saveexec_b64 s[68:69], vcc
	s_xor_b64 s[68:69], exec, s[68:69]
	s_cbranch_execz .LBB6_4519
; %bb.4518:                             ;   in Loop: Header=BB6_3768 Depth=3
	v_ffbh_u32_e32 v14, v12
	v_min_u32_e32 v18, 32, v14
	v_bfe_u32 v13, v19, 26, 5
	v_subrev_u32_e32 v14, 29, v18
	v_lshlrev_b64 v[14:15], v14, v[6:7]
	v_sub_u32_e32 v6, 30, v18
	v_cmp_eq_u32_e32 vcc, 0, v13
	v_cndmask_b32_e32 v6, v13, v6, vcc
	v_bfrev_b32_e32 v13, 28
	v_and_b32_e32 v14, 3, v14
	v_lshl_add_u32 v6, v6, 23, v13
	v_cndmask_b32_e32 v12, v12, v14, vcc
	v_and_or_b32 v6, v19, s96, v6
	v_lshl_or_b32 v13, v12, 21, v6
                                        ; implicit-def: $vgpr12
                                        ; implicit-def: $vgpr18_vgpr19
.LBB6_4519:                             ;   in Loop: Header=BB6_3768 Depth=3
	s_andn2_saveexec_b64 s[68:69], s[68:69]
; %bb.4520:                             ;   in Loop: Header=BB6_3768 Depth=3
	v_cmp_lt_i64_e32 vcc, -1, v[18:19]
	v_mov_b32_e32 v6, 0xc7600000
	v_mov_b32_e32 v13, 0x47600000
	v_cndmask_b32_e32 v6, v6, v13, vcc
	v_cmp_eq_u32_e32 vcc, 0, v12
	v_mov_b32_e32 v12, 0x7f800001
	v_cndmask_b32_e32 v13, v12, v6, vcc
; %bb.4521:                             ;   in Loop: Header=BB6_3768 Depth=3
	s_or_b64 exec, exec, s[68:69]
.LBB6_4522:                             ;   in Loop: Header=BB6_3768 Depth=3
	s_or_b64 exec, exec, s[30:31]
.LBB6_4523:                             ;   in Loop: Header=BB6_3768 Depth=3
	s_or_b64 exec, exec, s[28:29]
	v_max_f32_e32 v6, v13, v13
	v_max_f32_e32 v7, v7, v7
	v_min_f32_e32 v7, v7, v6
.LBB6_4524:                             ;   in Loop: Header=BB6_3768 Depth=3
	v_and_b32_sdwa v12, v7, s97 dst_sel:DWORD dst_unused:UNUSED_PAD src0_sel:BYTE_3 src1_sel:DWORD
	v_and_b32_e32 v14, 0x7f800000, v7
	v_mov_b32_e32 v15, v51
	v_and_b32_e32 v50, 0x7fffff, v7
	v_or_b32_e32 v18, 0x7b, v12
	v_cmp_ne_u64_e32 vcc, s[52:53], v[14:15]
	s_and_saveexec_b64 s[28:29], vcc
	s_xor_b64 s[30:31], exec, s[28:29]
	s_cbranch_execz .LBB6_4534
; %bb.4525:                             ;   in Loop: Header=BB6_3768 Depth=3
	v_and_b32_e32 v14, 0x7fffffff, v7
	v_mov_b32_e32 v15, v51
	v_cmp_gt_u64_e32 vcc, s[54:55], v[14:15]
	s_and_saveexec_b64 s[68:69], vcc
	s_cbranch_execz .LBB6_4533
; %bb.4526:                             ;   in Loop: Header=BB6_3768 Depth=3
	v_cmp_ne_u32_e32 vcc, 0, v7
	v_mov_b32_e32 v18, 0
	s_and_saveexec_b64 s[70:71], vcc
	s_cbranch_execz .LBB6_4532
; %bb.4527:                             ;   in Loop: Header=BB6_3768 Depth=3
	v_bfe_u32 v6, v7, 23, 8
	v_cmp_eq_u32_e32 vcc, 0, v6
	v_add_u32_e32 v7, 0xffffff81, v6
	v_cmp_gt_u32_e64 s[28:29], s38, v6
	v_sub_u32_e32 v6, 0x71, v6
	v_mov_b32_e32 v14, 0xffffff82
	v_cndmask_b32_e64 v6, 0, v6, s[28:29]
	v_cndmask_b32_e32 v18, v7, v14, vcc
	v_mov_b32_e32 v7, 0x70
	v_cndmask_b32_e32 v19, v6, v7, vcc
	v_add_u32_e32 v6, 21, v19
	v_or_b32_e32 v13, 0x800000, v50
	v_lshlrev_b64 v[6:7], v6, -1
	v_cndmask_b32_e32 v50, v13, v50, vcc
	v_not_b32_e32 v7, v7
	v_not_b32_e32 v6, v6
	v_add_u32_e32 v13, 20, v19
	v_and_b32_e32 v7, 0, v7
	v_and_b32_e32 v6, v50, v6
	v_lshlrev_b64 v[14:15], v13, 1
	v_cmp_eq_u64_e32 vcc, v[6:7], v[14:15]
	v_lshrrev_b64 v[6:7], v19, v[50:51]
	v_lshrrev_b32_e32 v13, 23, v6
	v_add3_u32 v15, v19, v18, v13
	v_bfe_u32 v13, v6, 21, 1
	v_add_u32_e32 v13, -1, v13
	v_cndmask_b32_e32 v13, 0, v13, vcc
	v_add_u32_e32 v13, v13, v6
	v_and_b32_e32 v13, 0x1fffff, v13
	v_add_co_u32_e32 v6, vcc, v13, v6
	v_add_u32_e32 v14, 14, v15
	v_addc_co_u32_e32 v7, vcc, 0, v7, vcc
	v_cmp_ne_u32_e32 vcc, 0, v14
                                        ; implicit-def: $vgpr13
	s_and_saveexec_b64 s[28:29], vcc
	s_xor_b64 s[28:29], exec, s[28:29]
; %bb.4528:                             ;   in Loop: Header=BB6_3768 Depth=3
	v_add_u32_e32 v13, 15, v15
	v_cmp_lt_u64_e32 vcc, s[56:57], v[6:7]
	v_cndmask_b32_e32 v13, v14, v13, vcc
	v_cndmask_b32_e64 v14, 0, 1, vcc
	v_lshrrev_b64 v[6:7], v14, v[6:7]
; %bb.4529:                             ;   in Loop: Header=BB6_3768 Depth=3
	s_andn2_saveexec_b64 s[28:29], s[28:29]
; %bb.4530:                             ;   in Loop: Header=BB6_3768 Depth=3
	v_bfe_u32 v13, v6, 23, 1
; %bb.4531:                             ;   in Loop: Header=BB6_3768 Depth=3
	s_or_b64 exec, exec, s[28:29]
	v_lshrrev_b64 v[6:7], 21, v[6:7]
	v_cmp_gt_i32_e32 vcc, 32, v13
	v_cndmask_b32_e32 v7, 0, v7, vcc
	v_cndmask_b32_e32 v6, 3, v6, vcc
	v_cmp_eq_u64_e64 s[28:29], 0, v[6:7]
	v_min_i32_e32 v7, 31, v13
	v_lshlrev_b32_e32 v7, 2, v7
	v_cmp_eq_u32_e32 vcc, 0, v13
	v_and_b32_e32 v7, 0xfc, v7
	v_and_or_b32 v6, v6, 3, v7
	s_and_b64 s[28:29], vcc, s[28:29]
	v_cndmask_b32_e64 v6, v6, 0, s[28:29]
	v_or_b32_e32 v18, v6, v12
.LBB6_4532:                             ;   in Loop: Header=BB6_3768 Depth=3
	s_or_b64 exec, exec, s[70:71]
.LBB6_4533:                             ;   in Loop: Header=BB6_3768 Depth=3
	s_or_b64 exec, exec, s[68:69]
                                        ; implicit-def: $vgpr7
.LBB6_4534:                             ;   in Loop: Header=BB6_3768 Depth=3
	s_andn2_saveexec_b64 s[28:29], s[30:31]
; %bb.4535:                             ;   in Loop: Header=BB6_3768 Depth=3
	v_or_b32_sdwa v6, v7, s39 dst_sel:DWORD dst_unused:UNUSED_PAD src0_sel:BYTE_3 src1_sel:DWORD
	v_cmp_eq_u64_e32 vcc, 0, v[50:51]
	v_cndmask_b32_e32 v18, v6, v18, vcc
; %bb.4536:                             ;   in Loop: Header=BB6_3768 Depth=3
	s_or_b64 exec, exec, s[28:29]
	v_cndmask_b32_e64 v6, 0, 1, s[66:67]
	v_cmp_ne_u32_e64 s[28:29], 1, v6
	s_andn2_b64 vcc, exec, s[66:67]
	v_cmp_ne_u16_sdwa s[30:31], v0, v51 src0_sel:BYTE_0 src1_sel:DWORD
	s_cbranch_vccnz .LBB6_4554
; %bb.4537:                             ;   in Loop: Header=BB6_3768 Depth=3
	v_mov_b32_e32 v7, 0
	v_mov_b32_e32 v6, 0
	s_and_saveexec_b64 s[68:69], s[30:31]
	s_cbranch_execz .LBB6_4545
; %bb.4538:                             ;   in Loop: Header=BB6_3768 Depth=3
	v_cmp_ne_u16_sdwa vcc, sext(v0), s94 src0_sel:BYTE_0 src1_sel:DWORD
	v_bfrev_b32_e32 v6, 1
	s_and_saveexec_b64 s[70:71], vcc
	s_cbranch_execz .LBB6_4544
; %bb.4539:                             ;   in Loop: Header=BB6_3768 Depth=3
	v_and_b32_e32 v6, 0x7c, v0
	v_and_b32_e32 v12, 3, v0
	v_cmp_ne_u32_e32 vcc, s95, v6
                                        ; implicit-def: $vgpr6
	s_and_saveexec_b64 s[72:73], vcc
	s_xor_b64 s[72:73], exec, s[72:73]
	s_cbranch_execz .LBB6_4541
; %bb.4540:                             ;   in Loop: Header=BB6_3768 Depth=3
	v_ffbh_u32_e32 v13, v12
	v_min_u32_e32 v13, 32, v13
	v_subrev_u32_e32 v14, 29, v13
	v_bfe_u32 v6, v0, 2, 5
	v_lshlrev_b64 v[14:15], v14, v[0:1]
	v_sub_u32_e32 v13, 30, v13
	v_and_b32_e32 v14, 3, v14
	v_cmp_eq_u32_e32 vcc, 0, v6
	v_cndmask_b32_e32 v6, v6, v13, vcc
	v_cndmask_b32_e32 v12, v12, v14, vcc
	v_bfrev_b32_e32 v14, 28
	v_lshlrev_b32_e32 v13, 24, v0
	v_lshl_add_u32 v6, v6, 23, v14
	v_and_or_b32 v6, v13, s96, v6
	v_lshl_or_b32 v6, v12, 21, v6
                                        ; implicit-def: $vgpr12
.LBB6_4541:                             ;   in Loop: Header=BB6_3768 Depth=3
	s_andn2_saveexec_b64 s[72:73], s[72:73]
; %bb.4542:                             ;   in Loop: Header=BB6_3768 Depth=3
	v_mov_b32_e32 v6, -1
	v_cmp_gt_i16_sdwa vcc, sext(v0), v6 src0_sel:BYTE_0 src1_sel:DWORD
	v_mov_b32_e32 v6, 0xc7600000
	v_mov_b32_e32 v13, 0x47600000
	v_cndmask_b32_e32 v6, v6, v13, vcc
	v_cmp_eq_u32_e32 vcc, 0, v12
	v_mov_b32_e32 v12, 0x7f800001
	v_cndmask_b32_e32 v6, v12, v6, vcc
; %bb.4543:                             ;   in Loop: Header=BB6_3768 Depth=3
	s_or_b64 exec, exec, s[72:73]
.LBB6_4544:                             ;   in Loop: Header=BB6_3768 Depth=3
	s_or_b64 exec, exec, s[70:71]
.LBB6_4545:                             ;   in Loop: Header=BB6_3768 Depth=3
	s_or_b64 exec, exec, s[68:69]
	v_cmp_ne_u16_sdwa vcc, sext(v8), v51 src0_sel:BYTE_0 src1_sel:DWORD
	s_and_saveexec_b64 s[68:69], vcc
	s_cbranch_execz .LBB6_4553
; %bb.4546:                             ;   in Loop: Header=BB6_3768 Depth=3
	v_cmp_ne_u16_sdwa vcc, sext(v8), s94 src0_sel:BYTE_0 src1_sel:DWORD
	v_bfrev_b32_e32 v7, 1
	s_and_saveexec_b64 s[70:71], vcc
	s_cbranch_execz .LBB6_4552
; %bb.4547:                             ;   in Loop: Header=BB6_3768 Depth=3
	v_and_b32_e32 v7, 0x7c, v8
	v_and_b32_e32 v12, 3, v8
	v_cmp_ne_u32_e32 vcc, s95, v7
                                        ; implicit-def: $vgpr7
	s_and_saveexec_b64 s[72:73], vcc
	s_xor_b64 s[72:73], exec, s[72:73]
	s_cbranch_execz .LBB6_4549
; %bb.4548:                             ;   in Loop: Header=BB6_3768 Depth=3
	v_ffbh_u32_e32 v13, v12
	v_min_u32_e32 v13, 32, v13
	v_subrev_u32_e32 v14, 29, v13
	v_bfe_u32 v7, v8, 2, 5
	v_lshlrev_b64 v[14:15], v14, v[8:9]
	v_sub_u32_e32 v13, 30, v13
	v_and_b32_e32 v14, 3, v14
	v_cmp_eq_u32_e32 vcc, 0, v7
	v_cndmask_b32_e32 v7, v7, v13, vcc
	v_cndmask_b32_e32 v12, v12, v14, vcc
	v_bfrev_b32_e32 v14, 28
	v_lshlrev_b32_e32 v13, 24, v8
	v_lshl_add_u32 v7, v7, 23, v14
	v_and_or_b32 v7, v13, s96, v7
	v_lshl_or_b32 v7, v12, 21, v7
                                        ; implicit-def: $vgpr12
.LBB6_4549:                             ;   in Loop: Header=BB6_3768 Depth=3
	s_andn2_saveexec_b64 s[72:73], s[72:73]
; %bb.4550:                             ;   in Loop: Header=BB6_3768 Depth=3
	v_mov_b32_e32 v7, -1
	v_cmp_gt_i16_sdwa vcc, sext(v8), v7 src0_sel:BYTE_0 src1_sel:DWORD
	v_mov_b32_e32 v7, 0xc7600000
	v_mov_b32_e32 v13, 0x47600000
	v_cndmask_b32_e32 v7, v7, v13, vcc
	v_cmp_eq_u32_e32 vcc, 0, v12
	v_mov_b32_e32 v12, 0x7f800001
	v_cndmask_b32_e32 v7, v12, v7, vcc
; %bb.4551:                             ;   in Loop: Header=BB6_3768 Depth=3
	s_or_b64 exec, exec, s[72:73]
.LBB6_4552:                             ;   in Loop: Header=BB6_3768 Depth=3
	s_or_b64 exec, exec, s[70:71]
.LBB6_4553:                             ;   in Loop: Header=BB6_3768 Depth=3
	s_or_b64 exec, exec, s[68:69]
	v_max_f32_e32 v7, v7, v7
	v_max_f32_e32 v6, v6, v6
	;; [unrolled: 1-line block ×3, first 2 shown]
	s_branch .LBB6_4572
.LBB6_4554:                             ;   in Loop: Header=BB6_3768 Depth=3
                                        ; implicit-def: $vgpr6
	s_cbranch_execz .LBB6_4572
; %bb.4555:                             ;   in Loop: Header=BB6_3768 Depth=3
	v_mov_b32_e32 v7, 0
	v_mov_b32_e32 v6, 0
	s_and_saveexec_b64 s[68:69], s[30:31]
	s_cbranch_execz .LBB6_4563
; %bb.4556:                             ;   in Loop: Header=BB6_3768 Depth=3
	v_cmp_ne_u16_sdwa vcc, sext(v0), s94 src0_sel:BYTE_0 src1_sel:DWORD
	v_bfrev_b32_e32 v6, 1
	s_and_saveexec_b64 s[30:31], vcc
	s_cbranch_execz .LBB6_4562
; %bb.4557:                             ;   in Loop: Header=BB6_3768 Depth=3
	v_and_b32_e32 v6, 0x7c, v0
	v_and_b32_e32 v12, 3, v0
	v_cmp_ne_u32_e32 vcc, s95, v6
                                        ; implicit-def: $vgpr6
	s_and_saveexec_b64 s[70:71], vcc
	s_xor_b64 s[70:71], exec, s[70:71]
	s_cbranch_execz .LBB6_4559
; %bb.4558:                             ;   in Loop: Header=BB6_3768 Depth=3
	v_ffbh_u32_e32 v13, v12
	v_min_u32_e32 v13, 32, v13
	v_subrev_u32_e32 v14, 29, v13
	v_bfe_u32 v6, v0, 2, 5
	v_lshlrev_b64 v[14:15], v14, v[0:1]
	v_sub_u32_e32 v13, 30, v13
	v_and_b32_e32 v14, 3, v14
	v_cmp_eq_u32_e32 vcc, 0, v6
	v_cndmask_b32_e32 v6, v6, v13, vcc
	v_cndmask_b32_e32 v12, v12, v14, vcc
	v_bfrev_b32_e32 v14, 28
	v_lshlrev_b32_e32 v13, 24, v0
	v_lshl_add_u32 v6, v6, 23, v14
	v_and_or_b32 v6, v13, s96, v6
	v_lshl_or_b32 v6, v12, 21, v6
                                        ; implicit-def: $vgpr12
.LBB6_4559:                             ;   in Loop: Header=BB6_3768 Depth=3
	s_andn2_saveexec_b64 s[70:71], s[70:71]
; %bb.4560:                             ;   in Loop: Header=BB6_3768 Depth=3
	v_mov_b32_e32 v6, -1
	v_cmp_gt_i16_sdwa vcc, sext(v0), v6 src0_sel:BYTE_0 src1_sel:DWORD
	v_mov_b32_e32 v6, 0xc7600000
	v_mov_b32_e32 v13, 0x47600000
	v_cndmask_b32_e32 v6, v6, v13, vcc
	v_cmp_eq_u32_e32 vcc, 0, v12
	v_mov_b32_e32 v12, 0x7f800001
	v_cndmask_b32_e32 v6, v12, v6, vcc
; %bb.4561:                             ;   in Loop: Header=BB6_3768 Depth=3
	s_or_b64 exec, exec, s[70:71]
.LBB6_4562:                             ;   in Loop: Header=BB6_3768 Depth=3
	s_or_b64 exec, exec, s[30:31]
.LBB6_4563:                             ;   in Loop: Header=BB6_3768 Depth=3
	s_or_b64 exec, exec, s[68:69]
	v_cmp_ne_u16_sdwa vcc, sext(v8), v51 src0_sel:BYTE_0 src1_sel:DWORD
	s_and_saveexec_b64 s[30:31], vcc
	s_cbranch_execz .LBB6_4571
; %bb.4564:                             ;   in Loop: Header=BB6_3768 Depth=3
	v_cmp_ne_u16_sdwa vcc, sext(v8), s94 src0_sel:BYTE_0 src1_sel:DWORD
	v_bfrev_b32_e32 v7, 1
	s_and_saveexec_b64 s[68:69], vcc
	s_cbranch_execz .LBB6_4570
; %bb.4565:                             ;   in Loop: Header=BB6_3768 Depth=3
	v_and_b32_e32 v7, 0x7c, v8
	v_and_b32_e32 v12, 3, v8
	v_cmp_ne_u32_e32 vcc, s95, v7
                                        ; implicit-def: $vgpr7
	s_and_saveexec_b64 s[70:71], vcc
	s_xor_b64 s[70:71], exec, s[70:71]
	s_cbranch_execz .LBB6_4567
; %bb.4566:                             ;   in Loop: Header=BB6_3768 Depth=3
	v_ffbh_u32_e32 v13, v12
	v_min_u32_e32 v13, 32, v13
	v_subrev_u32_e32 v14, 29, v13
	v_bfe_u32 v7, v8, 2, 5
	v_lshlrev_b64 v[14:15], v14, v[8:9]
	v_sub_u32_e32 v13, 30, v13
	v_and_b32_e32 v14, 3, v14
	v_cmp_eq_u32_e32 vcc, 0, v7
	v_cndmask_b32_e32 v7, v7, v13, vcc
	v_cndmask_b32_e32 v12, v12, v14, vcc
	v_bfrev_b32_e32 v14, 28
	v_lshlrev_b32_e32 v13, 24, v8
	v_lshl_add_u32 v7, v7, 23, v14
	v_and_or_b32 v7, v13, s96, v7
	v_lshl_or_b32 v7, v12, 21, v7
                                        ; implicit-def: $vgpr12
.LBB6_4567:                             ;   in Loop: Header=BB6_3768 Depth=3
	s_andn2_saveexec_b64 s[70:71], s[70:71]
; %bb.4568:                             ;   in Loop: Header=BB6_3768 Depth=3
	v_mov_b32_e32 v7, -1
	v_cmp_gt_i16_sdwa vcc, sext(v8), v7 src0_sel:BYTE_0 src1_sel:DWORD
	v_mov_b32_e32 v7, 0xc7600000
	v_mov_b32_e32 v13, 0x47600000
	v_cndmask_b32_e32 v7, v7, v13, vcc
	v_cmp_eq_u32_e32 vcc, 0, v12
	v_mov_b32_e32 v12, 0x7f800001
	v_cndmask_b32_e32 v7, v12, v7, vcc
; %bb.4569:                             ;   in Loop: Header=BB6_3768 Depth=3
	s_or_b64 exec, exec, s[70:71]
.LBB6_4570:                             ;   in Loop: Header=BB6_3768 Depth=3
	s_or_b64 exec, exec, s[68:69]
.LBB6_4571:                             ;   in Loop: Header=BB6_3768 Depth=3
	s_or_b64 exec, exec, s[30:31]
	v_max_f32_e32 v7, v7, v7
	v_max_f32_e32 v6, v6, v6
	v_min_f32_e32 v6, v6, v7
.LBB6_4572:                             ;   in Loop: Header=BB6_3768 Depth=3
	v_and_b32_sdwa v12, v6, s97 dst_sel:DWORD dst_unused:UNUSED_PAD src0_sel:BYTE_3 src1_sel:DWORD
	v_and_b32_e32 v14, 0x7f800000, v6
	v_mov_b32_e32 v15, v51
	v_and_b32_e32 v50, 0x7fffff, v6
	v_or_b32_e32 v19, 0x7b, v12
	v_cmp_ne_u64_e32 vcc, s[52:53], v[14:15]
	s_and_saveexec_b64 s[30:31], vcc
	s_xor_b64 s[68:69], exec, s[30:31]
	s_cbranch_execz .LBB6_4582
; %bb.4573:                             ;   in Loop: Header=BB6_3768 Depth=3
	v_and_b32_e32 v14, 0x7fffffff, v6
	v_mov_b32_e32 v15, v51
	v_cmp_gt_u64_e32 vcc, s[54:55], v[14:15]
	s_and_saveexec_b64 s[70:71], vcc
	s_cbranch_execz .LBB6_4581
; %bb.4574:                             ;   in Loop: Header=BB6_3768 Depth=3
	v_cmp_ne_u32_e32 vcc, 0, v6
	v_mov_b32_e32 v19, 0
	s_and_saveexec_b64 s[72:73], vcc
	s_cbranch_execz .LBB6_4580
; %bb.4575:                             ;   in Loop: Header=BB6_3768 Depth=3
	v_bfe_u32 v6, v6, 23, 8
	v_cmp_eq_u32_e32 vcc, 0, v6
	v_add_u32_e32 v7, 0xffffff81, v6
	v_cmp_gt_u32_e64 s[30:31], s38, v6
	v_sub_u32_e32 v6, 0x71, v6
	v_mov_b32_e32 v14, 0xffffff82
	v_cndmask_b32_e64 v6, 0, v6, s[30:31]
	v_cndmask_b32_e32 v19, v7, v14, vcc
	v_mov_b32_e32 v7, 0x70
	v_cndmask_b32_e32 v22, v6, v7, vcc
	v_add_u32_e32 v6, 21, v22
	v_or_b32_e32 v13, 0x800000, v50
	v_lshlrev_b64 v[6:7], v6, -1
	v_cndmask_b32_e32 v50, v13, v50, vcc
	v_not_b32_e32 v7, v7
	v_not_b32_e32 v6, v6
	v_add_u32_e32 v13, 20, v22
	v_and_b32_e32 v7, 0, v7
	v_and_b32_e32 v6, v50, v6
	v_lshlrev_b64 v[14:15], v13, 1
	v_cmp_eq_u64_e32 vcc, v[6:7], v[14:15]
	v_lshrrev_b64 v[6:7], v22, v[50:51]
	v_lshrrev_b32_e32 v13, 23, v6
	v_add3_u32 v15, v22, v19, v13
	v_bfe_u32 v13, v6, 21, 1
	v_add_u32_e32 v13, -1, v13
	v_cndmask_b32_e32 v13, 0, v13, vcc
	v_add_u32_e32 v13, v13, v6
	v_and_b32_e32 v13, 0x1fffff, v13
	v_add_co_u32_e32 v6, vcc, v13, v6
	v_add_u32_e32 v14, 14, v15
	v_addc_co_u32_e32 v7, vcc, 0, v7, vcc
	v_cmp_ne_u32_e32 vcc, 0, v14
                                        ; implicit-def: $vgpr13
	s_and_saveexec_b64 s[30:31], vcc
	s_xor_b64 s[30:31], exec, s[30:31]
; %bb.4576:                             ;   in Loop: Header=BB6_3768 Depth=3
	v_add_u32_e32 v13, 15, v15
	v_cmp_lt_u64_e32 vcc, s[56:57], v[6:7]
	v_cndmask_b32_e32 v13, v14, v13, vcc
	v_cndmask_b32_e64 v14, 0, 1, vcc
	v_lshrrev_b64 v[6:7], v14, v[6:7]
; %bb.4577:                             ;   in Loop: Header=BB6_3768 Depth=3
	s_andn2_saveexec_b64 vcc, s[30:31]
; %bb.4578:                             ;   in Loop: Header=BB6_3768 Depth=3
	v_bfe_u32 v13, v6, 23, 1
; %bb.4579:                             ;   in Loop: Header=BB6_3768 Depth=3
	s_or_b64 exec, exec, vcc
	v_lshrrev_b64 v[6:7], 21, v[6:7]
	v_cmp_gt_i32_e32 vcc, 32, v13
	v_cndmask_b32_e32 v7, 0, v7, vcc
	v_cndmask_b32_e32 v6, 3, v6, vcc
	v_cmp_eq_u64_e64 s[30:31], 0, v[6:7]
	v_min_i32_e32 v7, 31, v13
	v_cmp_eq_u32_e32 vcc, 0, v13
	v_lshlrev_b32_e32 v7, 2, v7
	v_and_or_b32 v6, v6, 3, v7
	s_and_b64 vcc, vcc, s[30:31]
	v_cndmask_b32_e64 v6, v6, 0, vcc
	v_or_b32_e32 v19, v6, v12
.LBB6_4580:                             ;   in Loop: Header=BB6_3768 Depth=3
	s_or_b64 exec, exec, s[72:73]
.LBB6_4581:                             ;   in Loop: Header=BB6_3768 Depth=3
	s_or_b64 exec, exec, s[70:71]
                                        ; implicit-def: $vgpr6
.LBB6_4582:                             ;   in Loop: Header=BB6_3768 Depth=3
	s_andn2_saveexec_b64 s[30:31], s[68:69]
; %bb.4583:                             ;   in Loop: Header=BB6_3768 Depth=3
	v_or_b32_sdwa v6, v6, s39 dst_sel:DWORD dst_unused:UNUSED_PAD src0_sel:BYTE_3 src1_sel:DWORD
	v_cmp_eq_u64_e32 vcc, 0, v[50:51]
	v_cndmask_b32_e32 v19, v6, v19, vcc
; %bb.4584:                             ;   in Loop: Header=BB6_3768 Depth=3
	s_or_b64 exec, exec, s[30:31]
	v_lshrrev_b16_e32 v50, 8, v0
	v_lshrrev_b16_e32 v6, 8, v8
	s_and_b64 vcc, exec, s[28:29]
	v_cmp_ne_u16_e64 s[30:31], 0, v50
	s_cbranch_vccnz .LBB6_4602
; %bb.4585:                             ;   in Loop: Header=BB6_3768 Depth=3
	v_mov_b32_e32 v7, 0
	v_mov_b32_e32 v12, 0
	s_and_saveexec_b64 s[68:69], s[30:31]
	s_cbranch_execz .LBB6_4593
; %bb.4586:                             ;   in Loop: Header=BB6_3768 Depth=3
	v_cmp_ne_u16_e32 vcc, s97, v50
	v_bfrev_b32_e32 v12, 1
	s_and_saveexec_b64 s[70:71], vcc
	s_cbranch_execz .LBB6_4592
; %bb.4587:                             ;   in Loop: Header=BB6_3768 Depth=3
	v_and_b32_e32 v12, 0x7c, v50
	v_and_b32_e32 v13, 3, v50
	v_cmp_ne_u32_e32 vcc, s95, v12
                                        ; implicit-def: $vgpr12
	s_and_saveexec_b64 s[72:73], vcc
	s_xor_b64 s[72:73], exec, s[72:73]
	s_cbranch_execz .LBB6_4589
; %bb.4588:                             ;   in Loop: Header=BB6_3768 Depth=3
	v_ffbh_u32_e32 v14, v13
	v_min_u32_e32 v22, 32, v14
	v_subrev_u32_e32 v14, 29, v22
	v_bfe_u32 v12, v50, 2, 5
	v_lshlrev_b64 v[14:15], v14, v[50:51]
	v_sub_u32_e32 v15, 30, v22
	v_cmp_eq_u32_e32 vcc, 0, v12
	v_and_b32_e32 v14, 3, v14
	v_cndmask_b32_e32 v12, v12, v15, vcc
	v_bfrev_b32_e32 v15, 28
	v_cndmask_b32_e32 v13, v13, v14, vcc
	v_lshlrev_b32_e32 v14, 16, v0
	v_lshl_add_u32 v12, v12, 23, v15
	v_and_or_b32 v12, v14, s96, v12
	v_lshl_or_b32 v12, v13, 21, v12
                                        ; implicit-def: $vgpr13
.LBB6_4589:                             ;   in Loop: Header=BB6_3768 Depth=3
	s_andn2_saveexec_b64 s[72:73], s[72:73]
; %bb.4590:                             ;   in Loop: Header=BB6_3768 Depth=3
	v_cmp_lt_i16_e32 vcc, -1, v0
	v_mov_b32_e32 v12, 0xc7600000
	v_mov_b32_e32 v14, 0x47600000
	v_cndmask_b32_e32 v12, v12, v14, vcc
	v_cmp_eq_u32_e32 vcc, 0, v13
	v_mov_b32_e32 v13, 0x7f800001
	v_cndmask_b32_e32 v12, v13, v12, vcc
; %bb.4591:                             ;   in Loop: Header=BB6_3768 Depth=3
	s_or_b64 exec, exec, s[72:73]
.LBB6_4592:                             ;   in Loop: Header=BB6_3768 Depth=3
	s_or_b64 exec, exec, s[70:71]
.LBB6_4593:                             ;   in Loop: Header=BB6_3768 Depth=3
	s_or_b64 exec, exec, s[68:69]
	v_cmp_ne_u16_e32 vcc, 0, v6
	s_and_saveexec_b64 s[68:69], vcc
	s_cbranch_execz .LBB6_4601
; %bb.4594:                             ;   in Loop: Header=BB6_3768 Depth=3
	v_cmp_ne_u16_e32 vcc, s97, v6
	v_bfrev_b32_e32 v7, 1
	s_and_saveexec_b64 s[70:71], vcc
	s_cbranch_execz .LBB6_4600
; %bb.4595:                             ;   in Loop: Header=BB6_3768 Depth=3
	v_and_b32_e32 v7, 0x7c, v6
	v_and_b32_e32 v13, 3, v6
	v_cmp_ne_u32_e32 vcc, s95, v7
                                        ; implicit-def: $vgpr7
	s_and_saveexec_b64 s[72:73], vcc
	s_xor_b64 s[72:73], exec, s[72:73]
	s_cbranch_execz .LBB6_4597
; %bb.4596:                             ;   in Loop: Header=BB6_3768 Depth=3
	v_ffbh_u32_e32 v14, v13
	v_min_u32_e32 v23, 32, v14
	v_mov_b32_e32 v7, v51
	v_bfe_u32 v22, v6, 2, 5
	v_subrev_u32_e32 v14, 29, v23
	v_lshlrev_b64 v[14:15], v14, v[6:7]
	v_sub_u32_e32 v7, 30, v23
	v_cmp_eq_u32_e32 vcc, 0, v22
	v_and_b32_e32 v14, 3, v14
	v_cndmask_b32_e32 v7, v22, v7, vcc
	v_bfrev_b32_e32 v15, 28
	v_cndmask_b32_e32 v13, v13, v14, vcc
	v_lshlrev_b32_e32 v14, 16, v8
	v_lshl_add_u32 v7, v7, 23, v15
	v_and_or_b32 v7, v14, s96, v7
	v_lshl_or_b32 v7, v13, 21, v7
                                        ; implicit-def: $vgpr13
.LBB6_4597:                             ;   in Loop: Header=BB6_3768 Depth=3
	s_andn2_saveexec_b64 s[72:73], s[72:73]
; %bb.4598:                             ;   in Loop: Header=BB6_3768 Depth=3
	v_cmp_lt_i16_e32 vcc, -1, v8
	v_mov_b32_e32 v7, 0xc7600000
	v_mov_b32_e32 v14, 0x47600000
	v_cndmask_b32_e32 v7, v7, v14, vcc
	v_cmp_eq_u32_e32 vcc, 0, v13
	v_mov_b32_e32 v13, 0x7f800001
	v_cndmask_b32_e32 v7, v13, v7, vcc
; %bb.4599:                             ;   in Loop: Header=BB6_3768 Depth=3
	s_or_b64 exec, exec, s[72:73]
.LBB6_4600:                             ;   in Loop: Header=BB6_3768 Depth=3
	s_or_b64 exec, exec, s[70:71]
.LBB6_4601:                             ;   in Loop: Header=BB6_3768 Depth=3
	s_or_b64 exec, exec, s[68:69]
	v_max_f32_e32 v7, v7, v7
	v_max_f32_e32 v12, v12, v12
	v_max_f32_e32 v7, v12, v7
	s_branch .LBB6_4620
.LBB6_4602:                             ;   in Loop: Header=BB6_3768 Depth=3
                                        ; implicit-def: $vgpr7
	s_cbranch_execz .LBB6_4620
; %bb.4603:                             ;   in Loop: Header=BB6_3768 Depth=3
	v_mov_b32_e32 v7, 0
	v_mov_b32_e32 v12, 0
	s_and_saveexec_b64 s[68:69], s[30:31]
	s_cbranch_execz .LBB6_4611
; %bb.4604:                             ;   in Loop: Header=BB6_3768 Depth=3
	v_cmp_ne_u16_e32 vcc, s97, v50
	v_bfrev_b32_e32 v12, 1
	s_and_saveexec_b64 s[30:31], vcc
	s_cbranch_execz .LBB6_4610
; %bb.4605:                             ;   in Loop: Header=BB6_3768 Depth=3
	v_and_b32_e32 v12, 0x7c, v50
	v_and_b32_e32 v13, 3, v50
	v_cmp_ne_u32_e32 vcc, s95, v12
                                        ; implicit-def: $vgpr12
	s_and_saveexec_b64 s[70:71], vcc
	s_xor_b64 s[70:71], exec, s[70:71]
	s_cbranch_execz .LBB6_4607
; %bb.4606:                             ;   in Loop: Header=BB6_3768 Depth=3
	v_ffbh_u32_e32 v14, v13
	v_min_u32_e32 v22, 32, v14
	v_subrev_u32_e32 v14, 29, v22
	v_bfe_u32 v12, v50, 2, 5
	v_lshlrev_b64 v[14:15], v14, v[50:51]
	v_sub_u32_e32 v15, 30, v22
	v_cmp_eq_u32_e32 vcc, 0, v12
	v_and_b32_e32 v14, 3, v14
	v_cndmask_b32_e32 v12, v12, v15, vcc
	v_bfrev_b32_e32 v15, 28
	v_cndmask_b32_e32 v13, v13, v14, vcc
	v_lshlrev_b32_e32 v14, 16, v0
	v_lshl_add_u32 v12, v12, 23, v15
	v_and_or_b32 v12, v14, s96, v12
	v_lshl_or_b32 v12, v13, 21, v12
                                        ; implicit-def: $vgpr13
.LBB6_4607:                             ;   in Loop: Header=BB6_3768 Depth=3
	s_andn2_saveexec_b64 s[70:71], s[70:71]
; %bb.4608:                             ;   in Loop: Header=BB6_3768 Depth=3
	v_cmp_lt_i16_e32 vcc, -1, v0
	v_mov_b32_e32 v12, 0xc7600000
	v_mov_b32_e32 v14, 0x47600000
	v_cndmask_b32_e32 v12, v12, v14, vcc
	v_cmp_eq_u32_e32 vcc, 0, v13
	v_mov_b32_e32 v13, 0x7f800001
	v_cndmask_b32_e32 v12, v13, v12, vcc
; %bb.4609:                             ;   in Loop: Header=BB6_3768 Depth=3
	s_or_b64 exec, exec, s[70:71]
.LBB6_4610:                             ;   in Loop: Header=BB6_3768 Depth=3
	s_or_b64 exec, exec, s[30:31]
.LBB6_4611:                             ;   in Loop: Header=BB6_3768 Depth=3
	s_or_b64 exec, exec, s[68:69]
	v_cmp_ne_u16_e32 vcc, 0, v6
	s_and_saveexec_b64 s[30:31], vcc
	s_cbranch_execz .LBB6_4619
; %bb.4612:                             ;   in Loop: Header=BB6_3768 Depth=3
	v_cmp_ne_u16_e32 vcc, s97, v6
	v_bfrev_b32_e32 v7, 1
	s_and_saveexec_b64 s[68:69], vcc
	s_cbranch_execz .LBB6_4618
; %bb.4613:                             ;   in Loop: Header=BB6_3768 Depth=3
	v_and_b32_e32 v7, 0x7c, v6
	v_and_b32_e32 v13, 3, v6
	v_cmp_ne_u32_e32 vcc, s95, v7
                                        ; implicit-def: $vgpr7
	s_and_saveexec_b64 s[70:71], vcc
	s_xor_b64 s[70:71], exec, s[70:71]
	s_cbranch_execz .LBB6_4615
; %bb.4614:                             ;   in Loop: Header=BB6_3768 Depth=3
	v_ffbh_u32_e32 v15, v13
	v_min_u32_e32 v15, 32, v15
	v_mov_b32_e32 v7, v51
	v_subrev_u32_e32 v22, 29, v15
	v_bfe_u32 v14, v6, 2, 5
	v_lshlrev_b64 v[6:7], v22, v[6:7]
	v_sub_u32_e32 v7, 30, v15
	v_cmp_eq_u32_e32 vcc, 0, v14
	v_and_b32_e32 v6, 3, v6
	v_cndmask_b32_e32 v7, v14, v7, vcc
	v_bfrev_b32_e32 v14, 28
	v_cndmask_b32_e32 v6, v13, v6, vcc
	v_lshlrev_b32_e32 v13, 16, v8
	v_lshl_add_u32 v7, v7, 23, v14
	v_and_or_b32 v7, v13, s96, v7
	v_lshl_or_b32 v7, v6, 21, v7
                                        ; implicit-def: $vgpr13
.LBB6_4615:                             ;   in Loop: Header=BB6_3768 Depth=3
	s_andn2_saveexec_b64 s[70:71], s[70:71]
; %bb.4616:                             ;   in Loop: Header=BB6_3768 Depth=3
	v_cmp_lt_i16_e32 vcc, -1, v8
	v_mov_b32_e32 v6, 0xc7600000
	v_mov_b32_e32 v7, 0x47600000
	v_cndmask_b32_e32 v6, v6, v7, vcc
	v_cmp_eq_u32_e32 vcc, 0, v13
	v_mov_b32_e32 v7, 0x7f800001
	v_cndmask_b32_e32 v7, v7, v6, vcc
; %bb.4617:                             ;   in Loop: Header=BB6_3768 Depth=3
	s_or_b64 exec, exec, s[70:71]
.LBB6_4618:                             ;   in Loop: Header=BB6_3768 Depth=3
	s_or_b64 exec, exec, s[68:69]
.LBB6_4619:                             ;   in Loop: Header=BB6_3768 Depth=3
	s_or_b64 exec, exec, s[30:31]
	v_max_f32_e32 v6, v7, v7
	v_max_f32_e32 v7, v12, v12
	v_min_f32_e32 v7, v7, v6
.LBB6_4620:                             ;   in Loop: Header=BB6_3768 Depth=3
	v_and_b32_sdwa v12, v7, s97 dst_sel:DWORD dst_unused:UNUSED_PAD src0_sel:BYTE_3 src1_sel:DWORD
	v_and_b32_e32 v14, 0x7f800000, v7
	v_mov_b32_e32 v15, v51
	v_and_b32_e32 v50, 0x7fffff, v7
	v_or_b32_e32 v22, 0x7b, v12
	v_cmp_ne_u64_e32 vcc, s[52:53], v[14:15]
	s_and_saveexec_b64 s[30:31], vcc
	s_xor_b64 s[68:69], exec, s[30:31]
	s_cbranch_execz .LBB6_4630
; %bb.4621:                             ;   in Loop: Header=BB6_3768 Depth=3
	v_and_b32_e32 v14, 0x7fffffff, v7
	v_mov_b32_e32 v15, v51
	v_cmp_gt_u64_e32 vcc, s[54:55], v[14:15]
	s_and_saveexec_b64 s[70:71], vcc
	s_cbranch_execz .LBB6_4629
; %bb.4622:                             ;   in Loop: Header=BB6_3768 Depth=3
	v_cmp_ne_u32_e32 vcc, 0, v7
	v_mov_b32_e32 v22, 0
	s_and_saveexec_b64 s[72:73], vcc
	s_cbranch_execz .LBB6_4628
; %bb.4623:                             ;   in Loop: Header=BB6_3768 Depth=3
	v_bfe_u32 v6, v7, 23, 8
	v_cmp_eq_u32_e32 vcc, 0, v6
	v_add_u32_e32 v7, 0xffffff81, v6
	v_cmp_gt_u32_e64 s[30:31], s38, v6
	v_sub_u32_e32 v6, 0x71, v6
	v_mov_b32_e32 v14, 0xffffff82
	v_cndmask_b32_e64 v6, 0, v6, s[30:31]
	v_cndmask_b32_e32 v22, v7, v14, vcc
	v_mov_b32_e32 v7, 0x70
	v_cndmask_b32_e32 v23, v6, v7, vcc
	v_add_u32_e32 v6, 21, v23
	v_or_b32_e32 v13, 0x800000, v50
	v_lshlrev_b64 v[6:7], v6, -1
	v_cndmask_b32_e32 v50, v13, v50, vcc
	v_not_b32_e32 v7, v7
	v_not_b32_e32 v6, v6
	v_add_u32_e32 v13, 20, v23
	v_and_b32_e32 v7, 0, v7
	v_and_b32_e32 v6, v50, v6
	v_lshlrev_b64 v[14:15], v13, 1
	v_cmp_eq_u64_e32 vcc, v[6:7], v[14:15]
	v_lshrrev_b64 v[6:7], v23, v[50:51]
	v_lshrrev_b32_e32 v13, 23, v6
	v_add3_u32 v15, v23, v22, v13
	v_bfe_u32 v13, v6, 21, 1
	v_add_u32_e32 v13, -1, v13
	v_cndmask_b32_e32 v13, 0, v13, vcc
	v_add_u32_e32 v13, v13, v6
	v_and_b32_e32 v13, 0x1fffff, v13
	v_add_co_u32_e32 v6, vcc, v13, v6
	v_add_u32_e32 v14, 14, v15
	v_addc_co_u32_e32 v7, vcc, 0, v7, vcc
	v_cmp_ne_u32_e32 vcc, 0, v14
                                        ; implicit-def: $vgpr13
	s_and_saveexec_b64 s[30:31], vcc
	s_xor_b64 s[30:31], exec, s[30:31]
; %bb.4624:                             ;   in Loop: Header=BB6_3768 Depth=3
	v_add_u32_e32 v13, 15, v15
	v_cmp_lt_u64_e32 vcc, s[56:57], v[6:7]
	v_cndmask_b32_e32 v13, v14, v13, vcc
	v_cndmask_b32_e64 v14, 0, 1, vcc
	v_lshrrev_b64 v[6:7], v14, v[6:7]
; %bb.4625:                             ;   in Loop: Header=BB6_3768 Depth=3
	s_andn2_saveexec_b64 vcc, s[30:31]
; %bb.4626:                             ;   in Loop: Header=BB6_3768 Depth=3
	v_bfe_u32 v13, v6, 23, 1
; %bb.4627:                             ;   in Loop: Header=BB6_3768 Depth=3
	s_or_b64 exec, exec, vcc
	v_lshrrev_b64 v[6:7], 21, v[6:7]
	v_cmp_gt_i32_e32 vcc, 32, v13
	v_cndmask_b32_e32 v7, 0, v7, vcc
	v_cndmask_b32_e32 v6, 3, v6, vcc
	v_cmp_eq_u64_e64 s[30:31], 0, v[6:7]
	v_min_i32_e32 v7, 31, v13
	v_cmp_eq_u32_e32 vcc, 0, v13
	v_lshlrev_b32_e32 v7, 2, v7
	v_and_or_b32 v6, v6, 3, v7
	s_and_b64 vcc, vcc, s[30:31]
	v_cndmask_b32_e64 v6, v6, 0, vcc
	v_or_b32_e32 v22, v6, v12
.LBB6_4628:                             ;   in Loop: Header=BB6_3768 Depth=3
	s_or_b64 exec, exec, s[72:73]
.LBB6_4629:                             ;   in Loop: Header=BB6_3768 Depth=3
	s_or_b64 exec, exec, s[70:71]
                                        ; implicit-def: $vgpr7
.LBB6_4630:                             ;   in Loop: Header=BB6_3768 Depth=3
	s_andn2_saveexec_b64 s[30:31], s[68:69]
; %bb.4631:                             ;   in Loop: Header=BB6_3768 Depth=3
	v_or_b32_sdwa v6, v7, s39 dst_sel:DWORD dst_unused:UNUSED_PAD src0_sel:BYTE_3 src1_sel:DWORD
	v_cmp_eq_u64_e32 vcc, 0, v[50:51]
	v_cndmask_b32_e32 v22, v6, v22, vcc
; %bb.4632:                             ;   in Loop: Header=BB6_3768 Depth=3
	s_or_b64 exec, exec, s[30:31]
	v_lshrrev_b32_e32 v12, 16, v0
	v_lshrrev_b32_e32 v6, 16, v8
	s_and_b64 vcc, exec, s[28:29]
	v_cmp_ne_u16_sdwa s[30:31], v12, v51 src0_sel:BYTE_0 src1_sel:DWORD
	s_cbranch_vccnz .LBB6_4650
; %bb.4633:                             ;   in Loop: Header=BB6_3768 Depth=3
	v_mov_b32_e32 v13, 0
	v_mov_b32_e32 v7, 0
	s_and_saveexec_b64 s[68:69], s[30:31]
	s_cbranch_execz .LBB6_4641
; %bb.4634:                             ;   in Loop: Header=BB6_3768 Depth=3
	v_cmp_ne_u16_sdwa vcc, v12, s97 src0_sel:BYTE_0 src1_sel:DWORD
	v_bfrev_b32_e32 v7, 1
	s_and_saveexec_b64 s[70:71], vcc
	s_cbranch_execz .LBB6_4640
; %bb.4635:                             ;   in Loop: Header=BB6_3768 Depth=3
	v_and_b32_e32 v7, 0x7c0000, v0
	v_bfe_u32 v14, v0, 16, 2
	v_cmp_ne_u32_e32 vcc, s36, v7
                                        ; implicit-def: $vgpr7
	s_and_saveexec_b64 s[72:73], vcc
	s_xor_b64 s[72:73], exec, s[72:73]
	s_cbranch_execz .LBB6_4637
; %bb.4636:                             ;   in Loop: Header=BB6_3768 Depth=3
	v_ffbh_u32_e32 v15, v14
	v_min_u32_e32 v15, 32, v15
	v_subrev_u32_e32 v23, 29, v15
	v_bfe_u32 v7, v0, 18, 5
	v_lshlrev_b64 v[48:49], v23, v[12:13]
	v_sub_u32_e32 v15, 30, v15
	v_and_b32_e32 v23, 3, v48
	v_cmp_eq_u32_e32 vcc, 0, v7
	v_cndmask_b32_e32 v7, v7, v15, vcc
	v_cndmask_b32_e32 v14, v14, v23, vcc
	v_bfrev_b32_e32 v23, 28
	v_lshlrev_b32_e32 v15, 24, v12
	v_lshl_add_u32 v7, v7, 23, v23
	v_and_or_b32 v7, v15, s96, v7
	v_lshl_or_b32 v7, v14, 21, v7
                                        ; implicit-def: $vgpr14
.LBB6_4637:                             ;   in Loop: Header=BB6_3768 Depth=3
	s_andn2_saveexec_b64 s[72:73], s[72:73]
; %bb.4638:                             ;   in Loop: Header=BB6_3768 Depth=3
	v_mov_b32_e32 v7, -1
	v_cmp_gt_i16_sdwa vcc, sext(v12), v7 src0_sel:BYTE_0 src1_sel:DWORD
	v_mov_b32_e32 v7, 0xc7600000
	v_mov_b32_e32 v15, 0x47600000
	v_cndmask_b32_e32 v7, v7, v15, vcc
	v_cmp_eq_u32_e32 vcc, 0, v14
	v_mov_b32_e32 v14, 0x7f800001
	v_cndmask_b32_e32 v7, v14, v7, vcc
; %bb.4639:                             ;   in Loop: Header=BB6_3768 Depth=3
	s_or_b64 exec, exec, s[72:73]
.LBB6_4640:                             ;   in Loop: Header=BB6_3768 Depth=3
	s_or_b64 exec, exec, s[70:71]
.LBB6_4641:                             ;   in Loop: Header=BB6_3768 Depth=3
	s_or_b64 exec, exec, s[68:69]
	v_cmp_ne_u16_sdwa vcc, v6, v51 src0_sel:BYTE_0 src1_sel:DWORD
	s_and_saveexec_b64 s[68:69], vcc
	s_cbranch_execz .LBB6_4649
; %bb.4642:                             ;   in Loop: Header=BB6_3768 Depth=3
	v_cmp_ne_u16_sdwa vcc, v6, s97 src0_sel:BYTE_0 src1_sel:DWORD
	v_bfrev_b32_e32 v13, 1
	s_and_saveexec_b64 s[70:71], vcc
	s_cbranch_execz .LBB6_4648
; %bb.4643:                             ;   in Loop: Header=BB6_3768 Depth=3
	v_and_b32_e32 v13, 0x7c0000, v8
	v_bfe_u32 v14, v8, 16, 2
	v_cmp_ne_u32_e32 vcc, s36, v13
                                        ; implicit-def: $vgpr13
	s_and_saveexec_b64 s[72:73], vcc
	s_xor_b64 s[72:73], exec, s[72:73]
	s_cbranch_execz .LBB6_4645
; %bb.4644:                             ;   in Loop: Header=BB6_3768 Depth=3
	v_ffbh_u32_e32 v15, v14
	v_min_u32_e32 v15, 32, v15
	v_subrev_u32_e32 v23, 29, v15
	v_bfe_u32 v13, v8, 18, 5
	v_lshlrev_b64 v[48:49], v23, v[6:7]
	v_sub_u32_e32 v15, 30, v15
	v_and_b32_e32 v23, 3, v48
	v_cmp_eq_u32_e32 vcc, 0, v13
	v_cndmask_b32_e32 v13, v13, v15, vcc
	v_cndmask_b32_e32 v14, v14, v23, vcc
	v_bfrev_b32_e32 v23, 28
	v_lshlrev_b32_e32 v15, 24, v6
	v_lshl_add_u32 v13, v13, 23, v23
	v_and_or_b32 v13, v15, s96, v13
	v_lshl_or_b32 v13, v14, 21, v13
                                        ; implicit-def: $vgpr14
.LBB6_4645:                             ;   in Loop: Header=BB6_3768 Depth=3
	s_andn2_saveexec_b64 s[72:73], s[72:73]
; %bb.4646:                             ;   in Loop: Header=BB6_3768 Depth=3
	v_mov_b32_e32 v13, -1
	v_cmp_gt_i16_sdwa vcc, sext(v6), v13 src0_sel:BYTE_0 src1_sel:DWORD
	v_mov_b32_e32 v13, 0xc7600000
	v_mov_b32_e32 v15, 0x47600000
	v_cndmask_b32_e32 v13, v13, v15, vcc
	v_cmp_eq_u32_e32 vcc, 0, v14
	v_mov_b32_e32 v14, 0x7f800001
	v_cndmask_b32_e32 v13, v14, v13, vcc
; %bb.4647:                             ;   in Loop: Header=BB6_3768 Depth=3
	s_or_b64 exec, exec, s[72:73]
.LBB6_4648:                             ;   in Loop: Header=BB6_3768 Depth=3
	s_or_b64 exec, exec, s[70:71]
.LBB6_4649:                             ;   in Loop: Header=BB6_3768 Depth=3
	s_or_b64 exec, exec, s[68:69]
	v_max_f32_e32 v13, v13, v13
	v_max_f32_e32 v7, v7, v7
	;; [unrolled: 1-line block ×3, first 2 shown]
	s_branch .LBB6_4668
.LBB6_4650:                             ;   in Loop: Header=BB6_3768 Depth=3
                                        ; implicit-def: $vgpr7
	s_cbranch_execz .LBB6_4668
; %bb.4651:                             ;   in Loop: Header=BB6_3768 Depth=3
	v_mov_b32_e32 v13, 0
	v_mov_b32_e32 v7, 0
	s_and_saveexec_b64 s[68:69], s[30:31]
	s_cbranch_execz .LBB6_4659
; %bb.4652:                             ;   in Loop: Header=BB6_3768 Depth=3
	v_cmp_ne_u16_sdwa vcc, v12, s97 src0_sel:BYTE_0 src1_sel:DWORD
	v_bfrev_b32_e32 v7, 1
	s_and_saveexec_b64 s[30:31], vcc
	s_cbranch_execz .LBB6_4658
; %bb.4653:                             ;   in Loop: Header=BB6_3768 Depth=3
	v_and_b32_e32 v7, 0x7c0000, v0
	v_bfe_u32 v14, v0, 16, 2
	v_cmp_ne_u32_e32 vcc, s36, v7
                                        ; implicit-def: $vgpr7
	s_and_saveexec_b64 s[70:71], vcc
	s_xor_b64 s[70:71], exec, s[70:71]
	s_cbranch_execz .LBB6_4655
; %bb.4654:                             ;   in Loop: Header=BB6_3768 Depth=3
	v_ffbh_u32_e32 v15, v14
	v_bfe_u32 v7, v0, 18, 5
	v_min_u32_e32 v15, 32, v15
	v_subrev_u32_e32 v23, 29, v15
	v_sub_u32_e32 v15, 30, v15
	v_cmp_eq_u32_e32 vcc, 0, v7
	v_lshlrev_b64 v[48:49], v23, v[12:13]
	v_cndmask_b32_e32 v7, v7, v15, vcc
	v_bfrev_b32_e32 v15, 28
	v_and_b32_e32 v23, 3, v48
	v_lshlrev_b32_e32 v12, 24, v12
	v_lshl_add_u32 v7, v7, 23, v15
	v_cndmask_b32_e32 v14, v14, v23, vcc
	v_and_or_b32 v7, v12, s96, v7
	v_lshl_or_b32 v7, v14, 21, v7
                                        ; implicit-def: $vgpr14
                                        ; implicit-def: $vgpr12
.LBB6_4655:                             ;   in Loop: Header=BB6_3768 Depth=3
	s_andn2_saveexec_b64 s[70:71], s[70:71]
; %bb.4656:                             ;   in Loop: Header=BB6_3768 Depth=3
	v_mov_b32_e32 v7, -1
	v_cmp_gt_i16_sdwa vcc, sext(v12), v7 src0_sel:BYTE_0 src1_sel:DWORD
	v_mov_b32_e32 v7, 0xc7600000
	v_mov_b32_e32 v12, 0x47600000
	v_cndmask_b32_e32 v7, v7, v12, vcc
	v_cmp_eq_u32_e32 vcc, 0, v14
	v_mov_b32_e32 v12, 0x7f800001
	v_cndmask_b32_e32 v7, v12, v7, vcc
; %bb.4657:                             ;   in Loop: Header=BB6_3768 Depth=3
	s_or_b64 exec, exec, s[70:71]
.LBB6_4658:                             ;   in Loop: Header=BB6_3768 Depth=3
	s_or_b64 exec, exec, s[30:31]
.LBB6_4659:                             ;   in Loop: Header=BB6_3768 Depth=3
	s_or_b64 exec, exec, s[68:69]
	v_cmp_ne_u16_sdwa vcc, v6, v51 src0_sel:BYTE_0 src1_sel:DWORD
	s_and_saveexec_b64 s[30:31], vcc
	s_cbranch_execz .LBB6_4667
; %bb.4660:                             ;   in Loop: Header=BB6_3768 Depth=3
	v_cmp_ne_u16_sdwa vcc, v6, s97 src0_sel:BYTE_0 src1_sel:DWORD
	v_bfrev_b32_e32 v13, 1
	s_and_saveexec_b64 s[68:69], vcc
	s_cbranch_execz .LBB6_4666
; %bb.4661:                             ;   in Loop: Header=BB6_3768 Depth=3
	v_and_b32_e32 v13, 0x7c0000, v8
	v_bfe_u32 v12, v8, 16, 2
	v_cmp_ne_u32_e32 vcc, s36, v13
                                        ; implicit-def: $vgpr13
	s_and_saveexec_b64 s[70:71], vcc
	s_xor_b64 s[70:71], exec, s[70:71]
	s_cbranch_execz .LBB6_4663
; %bb.4662:                             ;   in Loop: Header=BB6_3768 Depth=3
	v_ffbh_u32_e32 v14, v12
	v_min_u32_e32 v23, 32, v14
	v_subrev_u32_e32 v14, 29, v23
	v_bfe_u32 v13, v8, 18, 5
	v_lshlrev_b64 v[14:15], v14, v[6:7]
	v_sub_u32_e32 v15, 30, v23
	v_and_b32_e32 v14, 3, v14
	v_cmp_eq_u32_e32 vcc, 0, v13
	v_cndmask_b32_e32 v13, v13, v15, vcc
	v_cndmask_b32_e32 v12, v12, v14, vcc
	v_bfrev_b32_e32 v14, 28
	v_lshlrev_b32_e32 v6, 24, v6
	v_lshl_add_u32 v13, v13, 23, v14
	v_and_or_b32 v6, v6, s96, v13
	v_lshl_or_b32 v13, v12, 21, v6
                                        ; implicit-def: $vgpr12
                                        ; implicit-def: $vgpr6
.LBB6_4663:                             ;   in Loop: Header=BB6_3768 Depth=3
	s_andn2_saveexec_b64 s[70:71], s[70:71]
; %bb.4664:                             ;   in Loop: Header=BB6_3768 Depth=3
	v_mov_b32_e32 v13, -1
	v_cmp_gt_i16_sdwa vcc, sext(v6), v13 src0_sel:BYTE_0 src1_sel:DWORD
	v_mov_b32_e32 v6, 0xc7600000
	v_mov_b32_e32 v13, 0x47600000
	v_cndmask_b32_e32 v6, v6, v13, vcc
	v_cmp_eq_u32_e32 vcc, 0, v12
	v_mov_b32_e32 v12, 0x7f800001
	v_cndmask_b32_e32 v13, v12, v6, vcc
; %bb.4665:                             ;   in Loop: Header=BB6_3768 Depth=3
	s_or_b64 exec, exec, s[70:71]
.LBB6_4666:                             ;   in Loop: Header=BB6_3768 Depth=3
	s_or_b64 exec, exec, s[68:69]
.LBB6_4667:                             ;   in Loop: Header=BB6_3768 Depth=3
	s_or_b64 exec, exec, s[30:31]
	v_max_f32_e32 v6, v13, v13
	v_max_f32_e32 v7, v7, v7
	v_min_f32_e32 v7, v7, v6
.LBB6_4668:                             ;   in Loop: Header=BB6_3768 Depth=3
	v_and_b32_sdwa v12, v7, s97 dst_sel:DWORD dst_unused:UNUSED_PAD src0_sel:BYTE_3 src1_sel:DWORD
	v_and_b32_e32 v14, 0x7f800000, v7
	v_mov_b32_e32 v15, v51
	v_and_b32_e32 v50, 0x7fffff, v7
	v_or_b32_e32 v23, 0x7b, v12
	v_cmp_ne_u64_e32 vcc, s[52:53], v[14:15]
	s_and_saveexec_b64 s[30:31], vcc
	s_xor_b64 s[68:69], exec, s[30:31]
	s_cbranch_execz .LBB6_4678
; %bb.4669:                             ;   in Loop: Header=BB6_3768 Depth=3
	v_and_b32_e32 v14, 0x7fffffff, v7
	v_mov_b32_e32 v15, v51
	v_cmp_gt_u64_e32 vcc, s[54:55], v[14:15]
	s_and_saveexec_b64 s[70:71], vcc
	s_cbranch_execz .LBB6_4677
; %bb.4670:                             ;   in Loop: Header=BB6_3768 Depth=3
	v_cmp_ne_u32_e32 vcc, 0, v7
	v_mov_b32_e32 v23, 0
	s_and_saveexec_b64 s[72:73], vcc
	s_cbranch_execz .LBB6_4676
; %bb.4671:                             ;   in Loop: Header=BB6_3768 Depth=3
	v_bfe_u32 v6, v7, 23, 8
	v_cmp_eq_u32_e32 vcc, 0, v6
	v_add_u32_e32 v7, 0xffffff81, v6
	v_cmp_gt_u32_e64 s[30:31], s38, v6
	v_sub_u32_e32 v6, 0x71, v6
	v_mov_b32_e32 v14, 0xffffff82
	v_cndmask_b32_e64 v6, 0, v6, s[30:31]
	v_cndmask_b32_e32 v23, v7, v14, vcc
	v_mov_b32_e32 v7, 0x70
	v_cndmask_b32_e32 v39, v6, v7, vcc
	v_add_u32_e32 v6, 21, v39
	v_or_b32_e32 v13, 0x800000, v50
	v_lshlrev_b64 v[6:7], v6, -1
	v_cndmask_b32_e32 v50, v13, v50, vcc
	v_not_b32_e32 v7, v7
	v_not_b32_e32 v6, v6
	v_add_u32_e32 v13, 20, v39
	v_and_b32_e32 v7, 0, v7
	v_and_b32_e32 v6, v50, v6
	v_lshlrev_b64 v[14:15], v13, 1
	v_cmp_eq_u64_e32 vcc, v[6:7], v[14:15]
	v_lshrrev_b64 v[6:7], v39, v[50:51]
	v_lshrrev_b32_e32 v13, 23, v6
	v_add3_u32 v15, v39, v23, v13
	v_bfe_u32 v13, v6, 21, 1
	v_add_u32_e32 v13, -1, v13
	v_cndmask_b32_e32 v13, 0, v13, vcc
	v_add_u32_e32 v13, v13, v6
	v_and_b32_e32 v13, 0x1fffff, v13
	v_add_co_u32_e32 v6, vcc, v13, v6
	v_add_u32_e32 v14, 14, v15
	v_addc_co_u32_e32 v7, vcc, 0, v7, vcc
	v_cmp_ne_u32_e32 vcc, 0, v14
                                        ; implicit-def: $vgpr13
	s_and_saveexec_b64 s[30:31], vcc
	s_xor_b64 s[30:31], exec, s[30:31]
; %bb.4672:                             ;   in Loop: Header=BB6_3768 Depth=3
	v_add_u32_e32 v13, 15, v15
	v_cmp_lt_u64_e32 vcc, s[56:57], v[6:7]
	v_cndmask_b32_e32 v13, v14, v13, vcc
	v_cndmask_b32_e64 v14, 0, 1, vcc
	v_lshrrev_b64 v[6:7], v14, v[6:7]
; %bb.4673:                             ;   in Loop: Header=BB6_3768 Depth=3
	s_andn2_saveexec_b64 vcc, s[30:31]
; %bb.4674:                             ;   in Loop: Header=BB6_3768 Depth=3
	v_bfe_u32 v13, v6, 23, 1
; %bb.4675:                             ;   in Loop: Header=BB6_3768 Depth=3
	s_or_b64 exec, exec, vcc
	v_lshrrev_b64 v[6:7], 21, v[6:7]
	v_cmp_gt_i32_e32 vcc, 32, v13
	v_cndmask_b32_e32 v7, 0, v7, vcc
	v_cndmask_b32_e32 v6, 3, v6, vcc
	v_cmp_eq_u64_e64 s[30:31], 0, v[6:7]
	v_min_i32_e32 v7, 31, v13
	v_cmp_eq_u32_e32 vcc, 0, v13
	v_lshlrev_b32_e32 v7, 2, v7
	v_and_or_b32 v6, v6, 3, v7
	s_and_b64 vcc, vcc, s[30:31]
	v_cndmask_b32_e64 v6, v6, 0, vcc
	v_or_b32_e32 v23, v6, v12
.LBB6_4676:                             ;   in Loop: Header=BB6_3768 Depth=3
	s_or_b64 exec, exec, s[72:73]
.LBB6_4677:                             ;   in Loop: Header=BB6_3768 Depth=3
	s_or_b64 exec, exec, s[70:71]
                                        ; implicit-def: $vgpr7
.LBB6_4678:                             ;   in Loop: Header=BB6_3768 Depth=3
	s_andn2_saveexec_b64 s[30:31], s[68:69]
; %bb.4679:                             ;   in Loop: Header=BB6_3768 Depth=3
	v_or_b32_sdwa v6, v7, s39 dst_sel:DWORD dst_unused:UNUSED_PAD src0_sel:BYTE_3 src1_sel:DWORD
	v_cmp_eq_u64_e32 vcc, 0, v[50:51]
	v_cndmask_b32_e32 v23, v6, v23, vcc
; %bb.4680:                             ;   in Loop: Header=BB6_3768 Depth=3
	s_or_b64 exec, exec, s[30:31]
	v_lshrrev_b32_e32 v12, 24, v0
	v_lshrrev_b32_e32 v6, 24, v8
	s_and_b64 vcc, exec, s[28:29]
	v_cmp_lt_u32_e64 s[30:31], s43, v0
	s_cbranch_vccnz .LBB6_4698
; %bb.4681:                             ;   in Loop: Header=BB6_3768 Depth=3
	v_mov_b32_e32 v13, 0
	v_mov_b32_e32 v7, 0
	s_and_saveexec_b64 s[68:69], s[30:31]
	s_cbranch_execz .LBB6_4689
; %bb.4682:                             ;   in Loop: Header=BB6_3768 Depth=3
	v_cmp_ne_u32_e32 vcc, s97, v12
	v_bfrev_b32_e32 v7, 1
	s_and_saveexec_b64 s[70:71], vcc
	s_cbranch_execz .LBB6_4688
; %bb.4683:                             ;   in Loop: Header=BB6_3768 Depth=3
	v_and_b32_e32 v7, 0x7c000000, v0
	v_bfe_u32 v14, v0, 24, 2
	v_cmp_ne_u32_e32 vcc, s37, v7
                                        ; implicit-def: $vgpr7
	s_and_saveexec_b64 s[72:73], vcc
	s_xor_b64 s[72:73], exec, s[72:73]
	s_cbranch_execz .LBB6_4685
; %bb.4684:                             ;   in Loop: Header=BB6_3768 Depth=3
	v_ffbh_u32_e32 v15, v14
	v_bfe_u32 v7, v0, 26, 5
	v_min_u32_e32 v15, 32, v15
	v_subrev_u32_e32 v39, 29, v15
	v_sub_u32_e32 v15, 30, v15
	v_cmp_eq_u32_e32 vcc, 0, v7
	v_lshlrev_b64 v[48:49], v39, v[12:13]
	v_cndmask_b32_e32 v7, v7, v15, vcc
	v_bfrev_b32_e32 v15, 28
	v_and_b32_e32 v39, 3, v48
	v_lshl_add_u32 v7, v7, 23, v15
	v_cndmask_b32_e32 v14, v14, v39, vcc
	v_and_or_b32 v7, v0, s96, v7
	v_lshl_or_b32 v7, v14, 21, v7
                                        ; implicit-def: $vgpr14
.LBB6_4685:                             ;   in Loop: Header=BB6_3768 Depth=3
	s_andn2_saveexec_b64 s[72:73], s[72:73]
; %bb.4686:                             ;   in Loop: Header=BB6_3768 Depth=3
	v_cmp_lt_i32_e32 vcc, -1, v0
	v_mov_b32_e32 v7, 0xc7600000
	v_mov_b32_e32 v15, 0x47600000
	v_cndmask_b32_e32 v7, v7, v15, vcc
	v_cmp_eq_u32_e32 vcc, 0, v14
	v_mov_b32_e32 v14, 0x7f800001
	v_cndmask_b32_e32 v7, v14, v7, vcc
; %bb.4687:                             ;   in Loop: Header=BB6_3768 Depth=3
	s_or_b64 exec, exec, s[72:73]
.LBB6_4688:                             ;   in Loop: Header=BB6_3768 Depth=3
	s_or_b64 exec, exec, s[70:71]
.LBB6_4689:                             ;   in Loop: Header=BB6_3768 Depth=3
	s_or_b64 exec, exec, s[68:69]
	v_cmp_lt_u32_e32 vcc, s43, v8
	s_and_saveexec_b64 s[68:69], vcc
	s_cbranch_execz .LBB6_4697
; %bb.4690:                             ;   in Loop: Header=BB6_3768 Depth=3
	v_cmp_ne_u32_e32 vcc, s97, v6
	v_bfrev_b32_e32 v13, 1
	s_and_saveexec_b64 s[70:71], vcc
	s_cbranch_execz .LBB6_4696
; %bb.4691:                             ;   in Loop: Header=BB6_3768 Depth=3
	v_and_b32_e32 v13, 0x7c000000, v8
	v_bfe_u32 v14, v8, 24, 2
	v_cmp_ne_u32_e32 vcc, s37, v13
                                        ; implicit-def: $vgpr13
	s_and_saveexec_b64 s[72:73], vcc
	s_xor_b64 s[72:73], exec, s[72:73]
	s_cbranch_execz .LBB6_4693
; %bb.4692:                             ;   in Loop: Header=BB6_3768 Depth=3
	v_ffbh_u32_e32 v15, v14
	v_bfe_u32 v13, v8, 26, 5
	v_min_u32_e32 v15, 32, v15
	v_subrev_u32_e32 v39, 29, v15
	v_sub_u32_e32 v15, 30, v15
	v_cmp_eq_u32_e32 vcc, 0, v13
	v_lshlrev_b64 v[48:49], v39, v[6:7]
	v_cndmask_b32_e32 v13, v13, v15, vcc
	v_bfrev_b32_e32 v15, 28
	v_and_b32_e32 v39, 3, v48
	v_lshl_add_u32 v13, v13, 23, v15
	v_cndmask_b32_e32 v14, v14, v39, vcc
	v_and_or_b32 v13, v8, s96, v13
	v_lshl_or_b32 v13, v14, 21, v13
                                        ; implicit-def: $vgpr14
.LBB6_4693:                             ;   in Loop: Header=BB6_3768 Depth=3
	s_andn2_saveexec_b64 s[72:73], s[72:73]
; %bb.4694:                             ;   in Loop: Header=BB6_3768 Depth=3
	v_cmp_lt_i32_e32 vcc, -1, v8
	v_mov_b32_e32 v13, 0xc7600000
	v_mov_b32_e32 v15, 0x47600000
	v_cndmask_b32_e32 v13, v13, v15, vcc
	v_cmp_eq_u32_e32 vcc, 0, v14
	v_mov_b32_e32 v14, 0x7f800001
	v_cndmask_b32_e32 v13, v14, v13, vcc
; %bb.4695:                             ;   in Loop: Header=BB6_3768 Depth=3
	s_or_b64 exec, exec, s[72:73]
.LBB6_4696:                             ;   in Loop: Header=BB6_3768 Depth=3
	s_or_b64 exec, exec, s[70:71]
.LBB6_4697:                             ;   in Loop: Header=BB6_3768 Depth=3
	s_or_b64 exec, exec, s[68:69]
	v_max_f32_e32 v13, v13, v13
	v_max_f32_e32 v7, v7, v7
	v_max_f32_e32 v7, v7, v13
	s_branch .LBB6_4716
.LBB6_4698:                             ;   in Loop: Header=BB6_3768 Depth=3
                                        ; implicit-def: $vgpr7
	s_cbranch_execz .LBB6_4716
; %bb.4699:                             ;   in Loop: Header=BB6_3768 Depth=3
	v_mov_b32_e32 v13, 0
	v_mov_b32_e32 v7, 0
	s_and_saveexec_b64 s[68:69], s[30:31]
	s_cbranch_execz .LBB6_4707
; %bb.4700:                             ;   in Loop: Header=BB6_3768 Depth=3
	v_cmp_ne_u32_e32 vcc, s97, v12
	v_bfrev_b32_e32 v7, 1
	s_and_saveexec_b64 s[30:31], vcc
	s_cbranch_execz .LBB6_4706
; %bb.4701:                             ;   in Loop: Header=BB6_3768 Depth=3
	v_and_b32_e32 v7, 0x7c000000, v0
	v_bfe_u32 v14, v0, 24, 2
	v_cmp_ne_u32_e32 vcc, s37, v7
                                        ; implicit-def: $vgpr7
	s_and_saveexec_b64 s[70:71], vcc
	s_xor_b64 s[70:71], exec, s[70:71]
	s_cbranch_execz .LBB6_4703
; %bb.4702:                             ;   in Loop: Header=BB6_3768 Depth=3
	v_ffbh_u32_e32 v15, v14
	v_min_u32_e32 v15, 32, v15
	v_subrev_u32_e32 v39, 29, v15
	v_bfe_u32 v7, v0, 26, 5
	v_lshlrev_b64 v[48:49], v39, v[12:13]
	v_sub_u32_e32 v12, 30, v15
	v_and_b32_e32 v15, 3, v48
	v_cmp_eq_u32_e32 vcc, 0, v7
	v_cndmask_b32_e32 v7, v7, v12, vcc
	v_cndmask_b32_e32 v12, v14, v15, vcc
	v_bfrev_b32_e32 v14, 28
	v_lshl_add_u32 v7, v7, 23, v14
	v_and_or_b32 v7, v0, s96, v7
	v_lshl_or_b32 v7, v12, 21, v7
                                        ; implicit-def: $vgpr14
.LBB6_4703:                             ;   in Loop: Header=BB6_3768 Depth=3
	s_andn2_saveexec_b64 s[70:71], s[70:71]
; %bb.4704:                             ;   in Loop: Header=BB6_3768 Depth=3
	v_cmp_lt_i32_e32 vcc, -1, v0
	v_mov_b32_e32 v7, 0xc7600000
	v_mov_b32_e32 v12, 0x47600000
	v_cndmask_b32_e32 v7, v7, v12, vcc
	v_cmp_eq_u32_e32 vcc, 0, v14
	v_mov_b32_e32 v12, 0x7f800001
	v_cndmask_b32_e32 v7, v12, v7, vcc
; %bb.4705:                             ;   in Loop: Header=BB6_3768 Depth=3
	s_or_b64 exec, exec, s[70:71]
.LBB6_4706:                             ;   in Loop: Header=BB6_3768 Depth=3
	s_or_b64 exec, exec, s[30:31]
.LBB6_4707:                             ;   in Loop: Header=BB6_3768 Depth=3
	s_or_b64 exec, exec, s[68:69]
	v_cmp_lt_u32_e32 vcc, s43, v8
	s_and_saveexec_b64 s[30:31], vcc
	s_cbranch_execz .LBB6_4715
; %bb.4708:                             ;   in Loop: Header=BB6_3768 Depth=3
	v_cmp_ne_u32_e32 vcc, s97, v6
	v_bfrev_b32_e32 v13, 1
	s_and_saveexec_b64 s[68:69], vcc
	s_cbranch_execz .LBB6_4714
; %bb.4709:                             ;   in Loop: Header=BB6_3768 Depth=3
	v_and_b32_e32 v13, 0x7c000000, v8
	v_bfe_u32 v12, v8, 24, 2
	v_cmp_ne_u32_e32 vcc, s37, v13
                                        ; implicit-def: $vgpr13
	s_and_saveexec_b64 s[70:71], vcc
	s_xor_b64 s[70:71], exec, s[70:71]
	s_cbranch_execz .LBB6_4711
; %bb.4710:                             ;   in Loop: Header=BB6_3768 Depth=3
	v_ffbh_u32_e32 v14, v12
	v_min_u32_e32 v39, 32, v14
	v_bfe_u32 v13, v8, 26, 5
	v_subrev_u32_e32 v14, 29, v39
	v_lshlrev_b64 v[14:15], v14, v[6:7]
	v_sub_u32_e32 v6, 30, v39
	v_cmp_eq_u32_e32 vcc, 0, v13
	v_cndmask_b32_e32 v6, v13, v6, vcc
	v_bfrev_b32_e32 v13, 28
	v_and_b32_e32 v14, 3, v14
	v_lshl_add_u32 v6, v6, 23, v13
	v_cndmask_b32_e32 v12, v12, v14, vcc
	v_and_or_b32 v6, v8, s96, v6
	v_lshl_or_b32 v13, v12, 21, v6
                                        ; implicit-def: $vgpr12
.LBB6_4711:                             ;   in Loop: Header=BB6_3768 Depth=3
	s_andn2_saveexec_b64 s[70:71], s[70:71]
; %bb.4712:                             ;   in Loop: Header=BB6_3768 Depth=3
	v_cmp_lt_i32_e32 vcc, -1, v8
	v_mov_b32_e32 v6, 0xc7600000
	v_mov_b32_e32 v13, 0x47600000
	v_cndmask_b32_e32 v6, v6, v13, vcc
	v_cmp_eq_u32_e32 vcc, 0, v12
	v_mov_b32_e32 v12, 0x7f800001
	v_cndmask_b32_e32 v13, v12, v6, vcc
; %bb.4713:                             ;   in Loop: Header=BB6_3768 Depth=3
	s_or_b64 exec, exec, s[70:71]
.LBB6_4714:                             ;   in Loop: Header=BB6_3768 Depth=3
	s_or_b64 exec, exec, s[68:69]
.LBB6_4715:                             ;   in Loop: Header=BB6_3768 Depth=3
	s_or_b64 exec, exec, s[30:31]
	v_max_f32_e32 v6, v13, v13
	v_max_f32_e32 v7, v7, v7
	v_min_f32_e32 v7, v7, v6
.LBB6_4716:                             ;   in Loop: Header=BB6_3768 Depth=3
	v_and_b32_sdwa v12, v7, s97 dst_sel:DWORD dst_unused:UNUSED_PAD src0_sel:BYTE_3 src1_sel:DWORD
	v_and_b32_e32 v14, 0x7f800000, v7
	v_mov_b32_e32 v15, v51
	v_and_b32_e32 v50, 0x7fffff, v7
	v_or_b32_e32 v39, 0x7b, v12
	v_cmp_ne_u64_e32 vcc, s[52:53], v[14:15]
	s_and_saveexec_b64 s[30:31], vcc
	s_xor_b64 s[68:69], exec, s[30:31]
	s_cbranch_execz .LBB6_4726
; %bb.4717:                             ;   in Loop: Header=BB6_3768 Depth=3
	v_and_b32_e32 v14, 0x7fffffff, v7
	v_mov_b32_e32 v15, v51
	v_cmp_gt_u64_e32 vcc, s[54:55], v[14:15]
	s_and_saveexec_b64 s[70:71], vcc
	s_cbranch_execz .LBB6_4725
; %bb.4718:                             ;   in Loop: Header=BB6_3768 Depth=3
	v_cmp_ne_u32_e32 vcc, 0, v7
	v_mov_b32_e32 v39, 0
	s_and_saveexec_b64 s[72:73], vcc
	s_cbranch_execz .LBB6_4724
; %bb.4719:                             ;   in Loop: Header=BB6_3768 Depth=3
	v_bfe_u32 v6, v7, 23, 8
	v_cmp_eq_u32_e32 vcc, 0, v6
	v_add_u32_e32 v7, 0xffffff81, v6
	v_cmp_gt_u32_e64 s[30:31], s38, v6
	v_sub_u32_e32 v6, 0x71, v6
	v_mov_b32_e32 v14, 0xffffff82
	v_cndmask_b32_e64 v6, 0, v6, s[30:31]
	v_cndmask_b32_e32 v39, v7, v14, vcc
	v_mov_b32_e32 v7, 0x70
	v_cndmask_b32_e32 v48, v6, v7, vcc
	v_add_u32_e32 v6, 21, v48
	v_or_b32_e32 v13, 0x800000, v50
	v_lshlrev_b64 v[6:7], v6, -1
	v_cndmask_b32_e32 v50, v13, v50, vcc
	v_not_b32_e32 v7, v7
	v_not_b32_e32 v6, v6
	v_add_u32_e32 v13, 20, v48
	v_and_b32_e32 v7, 0, v7
	v_and_b32_e32 v6, v50, v6
	v_lshlrev_b64 v[14:15], v13, 1
	v_cmp_eq_u64_e32 vcc, v[6:7], v[14:15]
	v_lshrrev_b64 v[6:7], v48, v[50:51]
	v_lshrrev_b32_e32 v13, 23, v6
	v_add3_u32 v15, v48, v39, v13
	v_bfe_u32 v13, v6, 21, 1
	v_add_u32_e32 v13, -1, v13
	v_cndmask_b32_e32 v13, 0, v13, vcc
	v_add_u32_e32 v13, v13, v6
	v_and_b32_e32 v13, 0x1fffff, v13
	v_add_co_u32_e32 v6, vcc, v13, v6
	v_add_u32_e32 v14, 14, v15
	v_addc_co_u32_e32 v7, vcc, 0, v7, vcc
	v_cmp_ne_u32_e32 vcc, 0, v14
                                        ; implicit-def: $vgpr13
	s_and_saveexec_b64 s[30:31], vcc
	s_xor_b64 s[30:31], exec, s[30:31]
; %bb.4720:                             ;   in Loop: Header=BB6_3768 Depth=3
	v_add_u32_e32 v13, 15, v15
	v_cmp_lt_u64_e32 vcc, s[56:57], v[6:7]
	v_cndmask_b32_e32 v13, v14, v13, vcc
	v_cndmask_b32_e64 v14, 0, 1, vcc
	v_lshrrev_b64 v[6:7], v14, v[6:7]
; %bb.4721:                             ;   in Loop: Header=BB6_3768 Depth=3
	s_andn2_saveexec_b64 vcc, s[30:31]
; %bb.4722:                             ;   in Loop: Header=BB6_3768 Depth=3
	v_bfe_u32 v13, v6, 23, 1
; %bb.4723:                             ;   in Loop: Header=BB6_3768 Depth=3
	s_or_b64 exec, exec, vcc
	v_lshrrev_b64 v[6:7], 21, v[6:7]
	v_cmp_gt_i32_e32 vcc, 32, v13
	v_cndmask_b32_e32 v7, 0, v7, vcc
	v_cndmask_b32_e32 v6, 3, v6, vcc
	v_cmp_eq_u64_e64 s[30:31], 0, v[6:7]
	v_min_i32_e32 v7, 31, v13
	v_cmp_eq_u32_e32 vcc, 0, v13
	v_lshlrev_b32_e32 v7, 2, v7
	v_and_or_b32 v6, v6, 3, v7
	s_and_b64 vcc, vcc, s[30:31]
	v_cndmask_b32_e64 v6, v6, 0, vcc
	v_or_b32_e32 v39, v6, v12
.LBB6_4724:                             ;   in Loop: Header=BB6_3768 Depth=3
	s_or_b64 exec, exec, s[72:73]
.LBB6_4725:                             ;   in Loop: Header=BB6_3768 Depth=3
	s_or_b64 exec, exec, s[70:71]
                                        ; implicit-def: $vgpr7
.LBB6_4726:                             ;   in Loop: Header=BB6_3768 Depth=3
	s_andn2_saveexec_b64 s[30:31], s[68:69]
; %bb.4727:                             ;   in Loop: Header=BB6_3768 Depth=3
	v_or_b32_sdwa v6, v7, s39 dst_sel:DWORD dst_unused:UNUSED_PAD src0_sel:BYTE_3 src1_sel:DWORD
	v_cmp_eq_u64_e32 vcc, 0, v[50:51]
	v_cndmask_b32_e32 v39, v6, v39, vcc
; %bb.4728:                             ;   in Loop: Header=BB6_3768 Depth=3
	s_or_b64 exec, exec, s[30:31]
	v_mov_b32_e32 v50, v1
	v_mov_b32_e32 v6, v9
	;; [unrolled: 1-line block ×3, first 2 shown]
	s_and_b64 vcc, exec, s[28:29]
	v_cmp_ne_u16_sdwa s[30:31], v1, v51 src0_sel:BYTE_0 src1_sel:DWORD
	s_cbranch_vccnz .LBB6_4746
; %bb.4729:                             ;   in Loop: Header=BB6_3768 Depth=3
	v_mov_b32_e32 v13, 0
	v_mov_b32_e32 v12, 0
	s_and_saveexec_b64 s[68:69], s[30:31]
	s_cbranch_execz .LBB6_4737
; %bb.4730:                             ;   in Loop: Header=BB6_3768 Depth=3
	v_cmp_ne_u16_sdwa vcc, v1, s97 src0_sel:BYTE_0 src1_sel:DWORD
	v_bfrev_b32_e32 v12, 1
	s_and_saveexec_b64 s[70:71], vcc
	s_cbranch_execz .LBB6_4736
; %bb.4731:                             ;   in Loop: Header=BB6_3768 Depth=3
	v_and_b32_e32 v12, 0x7c, v1
	v_and_b32_e32 v14, 3, v1
	v_cmp_ne_u32_e32 vcc, s95, v12
                                        ; implicit-def: $vgpr12
	s_and_saveexec_b64 s[72:73], vcc
	s_xor_b64 s[72:73], exec, s[72:73]
	s_cbranch_execz .LBB6_4733
; %bb.4732:                             ;   in Loop: Header=BB6_3768 Depth=3
	v_ffbh_u32_e32 v15, v14
	v_min_u32_e32 v15, 32, v15
	v_subrev_u32_e32 v48, 29, v15
	v_bfe_u32 v12, v1, 2, 5
	v_lshlrev_b64 v[48:49], v48, v[50:51]
	v_sub_u32_e32 v15, 30, v15
	v_and_b32_e32 v48, 3, v48
	v_cmp_eq_u32_e32 vcc, 0, v12
	v_cndmask_b32_e32 v12, v12, v15, vcc
	v_cndmask_b32_e32 v14, v14, v48, vcc
	v_bfrev_b32_e32 v48, 28
	v_lshlrev_b32_e32 v15, 24, v1
	v_lshl_add_u32 v12, v12, 23, v48
	v_and_or_b32 v12, v15, s96, v12
	v_lshl_or_b32 v12, v14, 21, v12
                                        ; implicit-def: $vgpr14
.LBB6_4733:                             ;   in Loop: Header=BB6_3768 Depth=3
	s_andn2_saveexec_b64 s[72:73], s[72:73]
; %bb.4734:                             ;   in Loop: Header=BB6_3768 Depth=3
	v_mov_b32_e32 v12, -1
	v_cmp_gt_i16_sdwa vcc, sext(v1), v12 src0_sel:BYTE_0 src1_sel:DWORD
	v_mov_b32_e32 v12, 0xc7600000
	v_mov_b32_e32 v15, 0x47600000
	v_cndmask_b32_e32 v12, v12, v15, vcc
	v_cmp_eq_u32_e32 vcc, 0, v14
	v_mov_b32_e32 v14, 0x7f800001
	v_cndmask_b32_e32 v12, v14, v12, vcc
; %bb.4735:                             ;   in Loop: Header=BB6_3768 Depth=3
	s_or_b64 exec, exec, s[72:73]
.LBB6_4736:                             ;   in Loop: Header=BB6_3768 Depth=3
	s_or_b64 exec, exec, s[70:71]
.LBB6_4737:                             ;   in Loop: Header=BB6_3768 Depth=3
	s_or_b64 exec, exec, s[68:69]
	v_cmp_ne_u16_sdwa vcc, v9, v51 src0_sel:BYTE_0 src1_sel:DWORD
	s_and_saveexec_b64 s[68:69], vcc
	s_cbranch_execz .LBB6_4745
; %bb.4738:                             ;   in Loop: Header=BB6_3768 Depth=3
	v_cmp_ne_u16_sdwa vcc, v9, s97 src0_sel:BYTE_0 src1_sel:DWORD
	v_bfrev_b32_e32 v13, 1
	s_and_saveexec_b64 s[70:71], vcc
	s_cbranch_execz .LBB6_4744
; %bb.4739:                             ;   in Loop: Header=BB6_3768 Depth=3
	v_and_b32_e32 v13, 0x7c, v9
	v_and_b32_e32 v14, 3, v9
	v_cmp_ne_u32_e32 vcc, s95, v13
                                        ; implicit-def: $vgpr13
	s_and_saveexec_b64 s[72:73], vcc
	s_xor_b64 s[72:73], exec, s[72:73]
	s_cbranch_execz .LBB6_4741
; %bb.4740:                             ;   in Loop: Header=BB6_3768 Depth=3
	v_ffbh_u32_e32 v15, v14
	v_min_u32_e32 v15, 32, v15
	v_subrev_u32_e32 v48, 29, v15
	v_bfe_u32 v13, v9, 2, 5
	v_lshlrev_b64 v[48:49], v48, v[6:7]
	v_sub_u32_e32 v15, 30, v15
	v_and_b32_e32 v48, 3, v48
	v_cmp_eq_u32_e32 vcc, 0, v13
	v_cndmask_b32_e32 v13, v13, v15, vcc
	v_cndmask_b32_e32 v14, v14, v48, vcc
	v_bfrev_b32_e32 v48, 28
	v_lshlrev_b32_e32 v15, 24, v9
	v_lshl_add_u32 v13, v13, 23, v48
	v_and_or_b32 v13, v15, s96, v13
	v_lshl_or_b32 v13, v14, 21, v13
                                        ; implicit-def: $vgpr14
.LBB6_4741:                             ;   in Loop: Header=BB6_3768 Depth=3
	s_andn2_saveexec_b64 s[72:73], s[72:73]
; %bb.4742:                             ;   in Loop: Header=BB6_3768 Depth=3
	v_mov_b32_e32 v13, -1
	v_cmp_gt_i16_sdwa vcc, sext(v9), v13 src0_sel:BYTE_0 src1_sel:DWORD
	v_mov_b32_e32 v13, 0xc7600000
	v_mov_b32_e32 v15, 0x47600000
	v_cndmask_b32_e32 v13, v13, v15, vcc
	v_cmp_eq_u32_e32 vcc, 0, v14
	v_mov_b32_e32 v14, 0x7f800001
	v_cndmask_b32_e32 v13, v14, v13, vcc
; %bb.4743:                             ;   in Loop: Header=BB6_3768 Depth=3
	s_or_b64 exec, exec, s[72:73]
.LBB6_4744:                             ;   in Loop: Header=BB6_3768 Depth=3
	s_or_b64 exec, exec, s[70:71]
.LBB6_4745:                             ;   in Loop: Header=BB6_3768 Depth=3
	s_or_b64 exec, exec, s[68:69]
	v_max_f32_e32 v13, v13, v13
	v_max_f32_e32 v12, v12, v12
	;; [unrolled: 1-line block ×3, first 2 shown]
	s_branch .LBB6_4764
.LBB6_4746:                             ;   in Loop: Header=BB6_3768 Depth=3
                                        ; implicit-def: $vgpr14
	s_cbranch_execz .LBB6_4764
; %bb.4747:                             ;   in Loop: Header=BB6_3768 Depth=3
	v_mov_b32_e32 v13, 0
	v_mov_b32_e32 v12, 0
	s_and_saveexec_b64 s[68:69], s[30:31]
	s_cbranch_execz .LBB6_4755
; %bb.4748:                             ;   in Loop: Header=BB6_3768 Depth=3
	v_cmp_ne_u16_sdwa vcc, v1, s97 src0_sel:BYTE_0 src1_sel:DWORD
	v_bfrev_b32_e32 v12, 1
	s_and_saveexec_b64 s[30:31], vcc
	s_cbranch_execz .LBB6_4754
; %bb.4749:                             ;   in Loop: Header=BB6_3768 Depth=3
	v_and_b32_e32 v12, 0x7c, v1
	v_and_b32_e32 v14, 3, v1
	v_cmp_ne_u32_e32 vcc, s95, v12
                                        ; implicit-def: $vgpr12
	s_and_saveexec_b64 s[70:71], vcc
	s_xor_b64 s[70:71], exec, s[70:71]
	s_cbranch_execz .LBB6_4751
; %bb.4750:                             ;   in Loop: Header=BB6_3768 Depth=3
	v_ffbh_u32_e32 v15, v14
	v_min_u32_e32 v15, 32, v15
	v_subrev_u32_e32 v48, 29, v15
	v_bfe_u32 v12, v1, 2, 5
	v_lshlrev_b64 v[48:49], v48, v[50:51]
	v_sub_u32_e32 v15, 30, v15
	v_and_b32_e32 v48, 3, v48
	v_cmp_eq_u32_e32 vcc, 0, v12
	v_cndmask_b32_e32 v12, v12, v15, vcc
	v_cndmask_b32_e32 v14, v14, v48, vcc
	v_bfrev_b32_e32 v48, 28
	v_lshlrev_b32_e32 v15, 24, v1
	v_lshl_add_u32 v12, v12, 23, v48
	v_and_or_b32 v12, v15, s96, v12
	v_lshl_or_b32 v12, v14, 21, v12
                                        ; implicit-def: $vgpr14
.LBB6_4751:                             ;   in Loop: Header=BB6_3768 Depth=3
	s_andn2_saveexec_b64 s[70:71], s[70:71]
; %bb.4752:                             ;   in Loop: Header=BB6_3768 Depth=3
	v_mov_b32_e32 v12, -1
	v_cmp_gt_i16_sdwa vcc, sext(v1), v12 src0_sel:BYTE_0 src1_sel:DWORD
	v_mov_b32_e32 v12, 0xc7600000
	v_mov_b32_e32 v15, 0x47600000
	v_cndmask_b32_e32 v12, v12, v15, vcc
	v_cmp_eq_u32_e32 vcc, 0, v14
	v_mov_b32_e32 v14, 0x7f800001
	v_cndmask_b32_e32 v12, v14, v12, vcc
; %bb.4753:                             ;   in Loop: Header=BB6_3768 Depth=3
	s_or_b64 exec, exec, s[70:71]
.LBB6_4754:                             ;   in Loop: Header=BB6_3768 Depth=3
	s_or_b64 exec, exec, s[30:31]
.LBB6_4755:                             ;   in Loop: Header=BB6_3768 Depth=3
	s_or_b64 exec, exec, s[68:69]
	v_cmp_ne_u16_sdwa vcc, v9, v51 src0_sel:BYTE_0 src1_sel:DWORD
	s_and_saveexec_b64 s[30:31], vcc
	s_cbranch_execz .LBB6_4763
; %bb.4756:                             ;   in Loop: Header=BB6_3768 Depth=3
	v_cmp_ne_u16_sdwa vcc, v9, s97 src0_sel:BYTE_0 src1_sel:DWORD
	v_bfrev_b32_e32 v13, 1
	s_and_saveexec_b64 s[68:69], vcc
	s_cbranch_execz .LBB6_4762
; %bb.4757:                             ;   in Loop: Header=BB6_3768 Depth=3
	v_and_b32_e32 v13, 0x7c, v9
	v_and_b32_e32 v14, 3, v9
	v_cmp_ne_u32_e32 vcc, s95, v13
                                        ; implicit-def: $vgpr13
	s_and_saveexec_b64 s[70:71], vcc
	s_xor_b64 s[70:71], exec, s[70:71]
	s_cbranch_execz .LBB6_4759
; %bb.4758:                             ;   in Loop: Header=BB6_3768 Depth=3
	v_ffbh_u32_e32 v15, v14
	v_min_u32_e32 v15, 32, v15
	v_subrev_u32_e32 v48, 29, v15
	v_bfe_u32 v13, v9, 2, 5
	v_lshlrev_b64 v[48:49], v48, v[6:7]
	v_sub_u32_e32 v7, 30, v15
	v_and_b32_e32 v15, 3, v48
	v_cmp_eq_u32_e32 vcc, 0, v13
	v_cndmask_b32_e32 v7, v13, v7, vcc
	v_cndmask_b32_e32 v13, v14, v15, vcc
	v_bfrev_b32_e32 v15, 28
	v_lshlrev_b32_e32 v14, 24, v9
	v_lshl_add_u32 v7, v7, 23, v15
	v_and_or_b32 v7, v14, s96, v7
	v_lshl_or_b32 v13, v13, 21, v7
                                        ; implicit-def: $vgpr14
.LBB6_4759:                             ;   in Loop: Header=BB6_3768 Depth=3
	s_andn2_saveexec_b64 s[70:71], s[70:71]
; %bb.4760:                             ;   in Loop: Header=BB6_3768 Depth=3
	v_mov_b32_e32 v7, -1
	v_cmp_gt_i16_sdwa vcc, sext(v9), v7 src0_sel:BYTE_0 src1_sel:DWORD
	v_mov_b32_e32 v7, 0xc7600000
	v_mov_b32_e32 v13, 0x47600000
	v_cndmask_b32_e32 v7, v7, v13, vcc
	v_cmp_eq_u32_e32 vcc, 0, v14
	v_mov_b32_e32 v13, 0x7f800001
	v_cndmask_b32_e32 v13, v13, v7, vcc
; %bb.4761:                             ;   in Loop: Header=BB6_3768 Depth=3
	s_or_b64 exec, exec, s[70:71]
.LBB6_4762:                             ;   in Loop: Header=BB6_3768 Depth=3
	s_or_b64 exec, exec, s[68:69]
.LBB6_4763:                             ;   in Loop: Header=BB6_3768 Depth=3
	s_or_b64 exec, exec, s[30:31]
	v_max_f32_e32 v7, v13, v13
	v_max_f32_e32 v12, v12, v12
	v_min_f32_e32 v14, v12, v7
.LBB6_4764:                             ;   in Loop: Header=BB6_3768 Depth=3
	v_and_b32_sdwa v7, v14, s97 dst_sel:DWORD dst_unused:UNUSED_PAD src0_sel:BYTE_3 src1_sel:DWORD
	v_and_b32_e32 v52, 0x7f800000, v14
	v_mov_b32_e32 v53, v51
	v_and_b32_e32 v12, 0x7fffff, v14
	v_mov_b32_e32 v13, v51
	v_or_b32_e32 v48, 0x7b, v7
	v_cmp_ne_u64_e32 vcc, s[52:53], v[52:53]
	s_and_saveexec_b64 s[30:31], vcc
	s_xor_b64 s[68:69], exec, s[30:31]
	s_cbranch_execz .LBB6_4774
; %bb.4765:                             ;   in Loop: Header=BB6_3768 Depth=3
	v_and_b32_e32 v52, 0x7fffffff, v14
	v_mov_b32_e32 v53, v51
	v_cmp_gt_u64_e32 vcc, s[54:55], v[52:53]
	s_and_saveexec_b64 s[70:71], vcc
	s_cbranch_execz .LBB6_4773
; %bb.4766:                             ;   in Loop: Header=BB6_3768 Depth=3
	v_cmp_ne_u32_e32 vcc, 0, v14
	v_mov_b32_e32 v48, 0
	s_and_saveexec_b64 s[72:73], vcc
	s_cbranch_execz .LBB6_4772
; %bb.4767:                             ;   in Loop: Header=BB6_3768 Depth=3
	v_bfe_u32 v14, v14, 23, 8
	v_cmp_eq_u32_e32 vcc, 0, v14
	v_add_u32_e32 v15, 0xffffff81, v14
	v_cmp_gt_u32_e64 s[30:31], s38, v14
	v_sub_u32_e32 v14, 0x71, v14
	v_mov_b32_e32 v49, 0xffffff82
	v_cndmask_b32_e64 v14, 0, v14, s[30:31]
	v_cndmask_b32_e32 v52, v15, v49, vcc
	v_mov_b32_e32 v15, 0x70
	v_cndmask_b32_e32 v53, v14, v15, vcc
	v_add_u32_e32 v14, 21, v53
	v_or_b32_e32 v48, 0x800000, v12
	v_lshlrev_b64 v[14:15], v14, -1
	v_cndmask_b32_e32 v12, v48, v12, vcc
	v_not_b32_e32 v15, v15
	v_not_b32_e32 v14, v14
	v_add_u32_e32 v48, 20, v53
	v_and_b32_e32 v15, 0, v15
	v_and_b32_e32 v14, v12, v14
	v_lshlrev_b64 v[48:49], v48, 1
	v_lshrrev_b64 v[12:13], v53, v[12:13]
	v_cmp_eq_u64_e32 vcc, v[14:15], v[48:49]
	v_lshrrev_b32_e32 v14, 23, v12
	v_add3_u32 v48, v53, v52, v14
	v_bfe_u32 v14, v12, 21, 1
	v_add_u32_e32 v14, -1, v14
	v_cndmask_b32_e32 v14, 0, v14, vcc
	v_add_u32_e32 v14, v14, v12
	v_and_b32_e32 v14, 0x1fffff, v14
	v_add_co_u32_e32 v12, vcc, v14, v12
	v_add_u32_e32 v15, 14, v48
	v_addc_co_u32_e32 v13, vcc, 0, v13, vcc
	v_cmp_ne_u32_e32 vcc, 0, v15
                                        ; implicit-def: $vgpr14
	s_and_saveexec_b64 s[30:31], vcc
	s_xor_b64 s[30:31], exec, s[30:31]
; %bb.4768:                             ;   in Loop: Header=BB6_3768 Depth=3
	v_add_u32_e32 v14, 15, v48
	v_cmp_lt_u64_e32 vcc, s[56:57], v[12:13]
	v_cndmask_b32_e32 v14, v15, v14, vcc
	v_cndmask_b32_e64 v15, 0, 1, vcc
	v_lshrrev_b64 v[12:13], v15, v[12:13]
; %bb.4769:                             ;   in Loop: Header=BB6_3768 Depth=3
	s_andn2_saveexec_b64 vcc, s[30:31]
; %bb.4770:                             ;   in Loop: Header=BB6_3768 Depth=3
	v_bfe_u32 v14, v12, 23, 1
; %bb.4771:                             ;   in Loop: Header=BB6_3768 Depth=3
	s_or_b64 exec, exec, vcc
	v_lshrrev_b64 v[12:13], 21, v[12:13]
	v_cmp_gt_i32_e32 vcc, 32, v14
	v_cndmask_b32_e32 v13, 0, v13, vcc
	v_cndmask_b32_e32 v12, 3, v12, vcc
	v_cmp_eq_u64_e64 s[30:31], 0, v[12:13]
	v_min_i32_e32 v13, 31, v14
	v_cmp_eq_u32_e32 vcc, 0, v14
	v_lshlrev_b32_e32 v13, 2, v13
	v_and_or_b32 v12, v12, 3, v13
	s_and_b64 vcc, vcc, s[30:31]
	v_cndmask_b32_e64 v12, v12, 0, vcc
	v_or_b32_e32 v48, v12, v7
.LBB6_4772:                             ;   in Loop: Header=BB6_3768 Depth=3
	s_or_b64 exec, exec, s[72:73]
.LBB6_4773:                             ;   in Loop: Header=BB6_3768 Depth=3
	s_or_b64 exec, exec, s[70:71]
                                        ; implicit-def: $vgpr14
                                        ; implicit-def: $vgpr12_vgpr13
.LBB6_4774:                             ;   in Loop: Header=BB6_3768 Depth=3
	s_andn2_saveexec_b64 s[30:31], s[68:69]
; %bb.4775:                             ;   in Loop: Header=BB6_3768 Depth=3
	v_or_b32_sdwa v7, v14, s39 dst_sel:DWORD dst_unused:UNUSED_PAD src0_sel:BYTE_3 src1_sel:DWORD
	v_cmp_eq_u64_e32 vcc, 0, v[12:13]
	v_cndmask_b32_e32 v48, v7, v48, vcc
; %bb.4776:                             ;   in Loop: Header=BB6_3768 Depth=3
	s_or_b64 exec, exec, s[30:31]
	v_lshrrev_b16_e32 v14, 8, v50
	v_lshrrev_b16_e32 v12, 8, v6
	s_and_b64 vcc, exec, s[28:29]
	v_cmp_ne_u16_e64 s[30:31], 0, v14
	s_cbranch_vccnz .LBB6_4794
; %bb.4777:                             ;   in Loop: Header=BB6_3768 Depth=3
	v_mov_b32_e32 v13, 0
	v_mov_b32_e32 v7, 0
	s_and_saveexec_b64 s[68:69], s[30:31]
	s_cbranch_execz .LBB6_4785
; %bb.4778:                             ;   in Loop: Header=BB6_3768 Depth=3
	v_cmp_ne_u16_e32 vcc, s97, v14
	v_bfrev_b32_e32 v7, 1
	s_and_saveexec_b64 s[70:71], vcc
	s_cbranch_execz .LBB6_4784
; %bb.4779:                             ;   in Loop: Header=BB6_3768 Depth=3
	v_and_b32_e32 v7, 0x7c, v14
	v_and_b32_e32 v49, 3, v14
	v_cmp_ne_u32_e32 vcc, s95, v7
                                        ; implicit-def: $vgpr7
	s_and_saveexec_b64 s[72:73], vcc
	s_xor_b64 s[72:73], exec, s[72:73]
	s_cbranch_execz .LBB6_4781
; %bb.4780:                             ;   in Loop: Header=BB6_3768 Depth=3
	v_ffbh_u32_e32 v52, v49
	v_min_u32_e32 v54, 32, v52
	v_mov_b32_e32 v15, v51
	v_subrev_u32_e32 v52, 29, v54
	v_bfe_u32 v7, v14, 2, 5
	v_lshlrev_b64 v[52:53], v52, v[14:15]
	v_sub_u32_e32 v15, 30, v54
	v_and_b32_e32 v52, 3, v52
	v_cmp_eq_u32_e32 vcc, 0, v7
	v_cndmask_b32_e32 v7, v7, v15, vcc
	v_cndmask_b32_e32 v15, v49, v52, vcc
	v_bfrev_b32_e32 v52, 28
	v_lshlrev_b32_e32 v49, 16, v50
	v_lshl_add_u32 v7, v7, 23, v52
	v_and_or_b32 v7, v49, s96, v7
	v_lshl_or_b32 v7, v15, 21, v7
                                        ; implicit-def: $vgpr49
.LBB6_4781:                             ;   in Loop: Header=BB6_3768 Depth=3
	s_andn2_saveexec_b64 s[72:73], s[72:73]
; %bb.4782:                             ;   in Loop: Header=BB6_3768 Depth=3
	v_cmp_lt_i16_e32 vcc, -1, v50
	v_mov_b32_e32 v7, 0xc7600000
	v_mov_b32_e32 v15, 0x47600000
	v_cndmask_b32_e32 v7, v7, v15, vcc
	v_cmp_eq_u32_e32 vcc, 0, v49
	v_mov_b32_e32 v15, 0x7f800001
	v_cndmask_b32_e32 v7, v15, v7, vcc
; %bb.4783:                             ;   in Loop: Header=BB6_3768 Depth=3
	s_or_b64 exec, exec, s[72:73]
.LBB6_4784:                             ;   in Loop: Header=BB6_3768 Depth=3
	s_or_b64 exec, exec, s[70:71]
.LBB6_4785:                             ;   in Loop: Header=BB6_3768 Depth=3
	s_or_b64 exec, exec, s[68:69]
	v_cmp_ne_u16_e32 vcc, 0, v12
	s_and_saveexec_b64 s[68:69], vcc
	s_cbranch_execz .LBB6_4793
; %bb.4786:                             ;   in Loop: Header=BB6_3768 Depth=3
	v_cmp_ne_u16_e32 vcc, s97, v12
	v_bfrev_b32_e32 v13, 1
	s_and_saveexec_b64 s[70:71], vcc
	s_cbranch_execz .LBB6_4792
; %bb.4787:                             ;   in Loop: Header=BB6_3768 Depth=3
	v_and_b32_e32 v13, 0x7c, v12
	v_and_b32_e32 v15, 3, v12
	v_cmp_ne_u32_e32 vcc, s95, v13
                                        ; implicit-def: $vgpr13
	s_and_saveexec_b64 s[72:73], vcc
	s_xor_b64 s[72:73], exec, s[72:73]
	s_cbranch_execz .LBB6_4789
; %bb.4788:                             ;   in Loop: Header=BB6_3768 Depth=3
	v_ffbh_u32_e32 v52, v15
	v_min_u32_e32 v54, 32, v52
	v_mov_b32_e32 v13, v51
	v_subrev_u32_e32 v52, 29, v54
	v_bfe_u32 v49, v12, 2, 5
	v_lshlrev_b64 v[52:53], v52, v[12:13]
	v_sub_u32_e32 v13, 30, v54
	v_and_b32_e32 v52, 3, v52
	v_cmp_eq_u32_e32 vcc, 0, v49
	v_cndmask_b32_e32 v13, v49, v13, vcc
	v_cndmask_b32_e32 v15, v15, v52, vcc
	v_bfrev_b32_e32 v52, 28
	v_lshlrev_b32_e32 v49, 16, v6
	v_lshl_add_u32 v13, v13, 23, v52
	v_and_or_b32 v13, v49, s96, v13
	v_lshl_or_b32 v13, v15, 21, v13
                                        ; implicit-def: $vgpr15
.LBB6_4789:                             ;   in Loop: Header=BB6_3768 Depth=3
	s_andn2_saveexec_b64 s[72:73], s[72:73]
; %bb.4790:                             ;   in Loop: Header=BB6_3768 Depth=3
	v_cmp_lt_i16_e32 vcc, -1, v6
	v_mov_b32_e32 v13, 0xc7600000
	v_mov_b32_e32 v49, 0x47600000
	v_cndmask_b32_e32 v13, v13, v49, vcc
	v_cmp_eq_u32_e32 vcc, 0, v15
	v_mov_b32_e32 v15, 0x7f800001
	v_cndmask_b32_e32 v13, v15, v13, vcc
; %bb.4791:                             ;   in Loop: Header=BB6_3768 Depth=3
	s_or_b64 exec, exec, s[72:73]
.LBB6_4792:                             ;   in Loop: Header=BB6_3768 Depth=3
	s_or_b64 exec, exec, s[70:71]
.LBB6_4793:                             ;   in Loop: Header=BB6_3768 Depth=3
	s_or_b64 exec, exec, s[68:69]
	v_max_f32_e32 v13, v13, v13
	v_max_f32_e32 v7, v7, v7
	;; [unrolled: 1-line block ×3, first 2 shown]
	s_branch .LBB6_4812
.LBB6_4794:                             ;   in Loop: Header=BB6_3768 Depth=3
                                        ; implicit-def: $vgpr7
	s_cbranch_execz .LBB6_4812
; %bb.4795:                             ;   in Loop: Header=BB6_3768 Depth=3
	v_mov_b32_e32 v13, 0
	v_mov_b32_e32 v15, 0
	s_and_saveexec_b64 s[68:69], s[30:31]
	s_cbranch_execz .LBB6_4803
; %bb.4796:                             ;   in Loop: Header=BB6_3768 Depth=3
	v_cmp_ne_u16_e32 vcc, s97, v14
	v_bfrev_b32_e32 v15, 1
	s_and_saveexec_b64 s[30:31], vcc
	s_cbranch_execz .LBB6_4802
; %bb.4797:                             ;   in Loop: Header=BB6_3768 Depth=3
	v_and_b32_e32 v15, 0x7c, v14
	v_and_b32_e32 v7, 3, v14
	v_cmp_ne_u32_e32 vcc, s95, v15
                                        ; implicit-def: $vgpr15
	s_and_saveexec_b64 s[70:71], vcc
	s_xor_b64 s[70:71], exec, s[70:71]
	s_cbranch_execz .LBB6_4799
; %bb.4798:                             ;   in Loop: Header=BB6_3768 Depth=3
	v_ffbh_u32_e32 v52, v7
	v_min_u32_e32 v52, 32, v52
	v_mov_b32_e32 v15, v51
	v_subrev_u32_e32 v53, 29, v52
	v_bfe_u32 v49, v14, 2, 5
	v_lshlrev_b64 v[14:15], v53, v[14:15]
	v_sub_u32_e32 v15, 30, v52
	v_cmp_eq_u32_e32 vcc, 0, v49
	v_and_b32_e32 v14, 3, v14
	v_cndmask_b32_e32 v15, v49, v15, vcc
	v_bfrev_b32_e32 v49, 28
	v_cndmask_b32_e32 v7, v7, v14, vcc
	v_lshlrev_b32_e32 v14, 16, v50
	v_lshl_add_u32 v15, v15, 23, v49
	v_and_or_b32 v14, v14, s96, v15
	v_lshl_or_b32 v15, v7, 21, v14
                                        ; implicit-def: $vgpr7
.LBB6_4799:                             ;   in Loop: Header=BB6_3768 Depth=3
	s_andn2_saveexec_b64 s[70:71], s[70:71]
; %bb.4800:                             ;   in Loop: Header=BB6_3768 Depth=3
	v_cmp_lt_i16_e32 vcc, -1, v50
	v_mov_b32_e32 v14, 0xc7600000
	v_mov_b32_e32 v15, 0x47600000
	v_cndmask_b32_e32 v14, v14, v15, vcc
	v_cmp_eq_u32_e32 vcc, 0, v7
	v_mov_b32_e32 v7, 0x7f800001
	v_cndmask_b32_e32 v15, v7, v14, vcc
; %bb.4801:                             ;   in Loop: Header=BB6_3768 Depth=3
	s_or_b64 exec, exec, s[70:71]
.LBB6_4802:                             ;   in Loop: Header=BB6_3768 Depth=3
	s_or_b64 exec, exec, s[30:31]
.LBB6_4803:                             ;   in Loop: Header=BB6_3768 Depth=3
	s_or_b64 exec, exec, s[68:69]
	v_cmp_ne_u16_e32 vcc, 0, v12
	s_and_saveexec_b64 s[30:31], vcc
	s_cbranch_execz .LBB6_4811
; %bb.4804:                             ;   in Loop: Header=BB6_3768 Depth=3
	v_cmp_ne_u16_e32 vcc, s97, v12
	v_bfrev_b32_e32 v13, 1
	s_and_saveexec_b64 s[68:69], vcc
	s_cbranch_execz .LBB6_4810
; %bb.4805:                             ;   in Loop: Header=BB6_3768 Depth=3
	v_and_b32_e32 v7, 0x7c, v12
	v_and_b32_e32 v14, 3, v12
	v_cmp_ne_u32_e32 vcc, s95, v7
                                        ; implicit-def: $vgpr13
	s_and_saveexec_b64 s[70:71], vcc
	s_xor_b64 s[70:71], exec, s[70:71]
	s_cbranch_execz .LBB6_4807
; %bb.4806:                             ;   in Loop: Header=BB6_3768 Depth=3
	v_ffbh_u32_e32 v49, v14
	v_min_u32_e32 v49, 32, v49
	v_mov_b32_e32 v13, v51
	v_subrev_u32_e32 v50, 29, v49
	v_bfe_u32 v7, v12, 2, 5
	v_lshlrev_b64 v[12:13], v50, v[12:13]
	v_sub_u32_e32 v13, 30, v49
	v_cmp_eq_u32_e32 vcc, 0, v7
	v_cndmask_b32_e32 v7, v7, v13, vcc
	v_bfrev_b32_e32 v13, 28
	v_and_b32_e32 v12, 3, v12
	v_lshlrev_b32_e32 v6, 16, v6
	v_lshl_add_u32 v7, v7, 23, v13
	v_cndmask_b32_e32 v12, v14, v12, vcc
	v_and_or_b32 v6, v6, s96, v7
	v_lshl_or_b32 v13, v12, 21, v6
                                        ; implicit-def: $vgpr14
                                        ; implicit-def: $vgpr6_vgpr7
.LBB6_4807:                             ;   in Loop: Header=BB6_3768 Depth=3
	s_andn2_saveexec_b64 s[70:71], s[70:71]
; %bb.4808:                             ;   in Loop: Header=BB6_3768 Depth=3
	v_cmp_lt_i16_e32 vcc, -1, v6
	v_mov_b32_e32 v6, 0xc7600000
	v_mov_b32_e32 v7, 0x47600000
	v_cndmask_b32_e32 v6, v6, v7, vcc
	v_cmp_eq_u32_e32 vcc, 0, v14
	v_mov_b32_e32 v7, 0x7f800001
	v_cndmask_b32_e32 v13, v7, v6, vcc
; %bb.4809:                             ;   in Loop: Header=BB6_3768 Depth=3
	s_or_b64 exec, exec, s[70:71]
.LBB6_4810:                             ;   in Loop: Header=BB6_3768 Depth=3
	s_or_b64 exec, exec, s[68:69]
.LBB6_4811:                             ;   in Loop: Header=BB6_3768 Depth=3
	s_or_b64 exec, exec, s[30:31]
	v_max_f32_e32 v6, v13, v13
	v_max_f32_e32 v7, v15, v15
	v_min_f32_e32 v7, v7, v6
.LBB6_4812:                             ;   in Loop: Header=BB6_3768 Depth=3
	v_and_b32_sdwa v12, v7, s97 dst_sel:DWORD dst_unused:UNUSED_PAD src0_sel:BYTE_3 src1_sel:DWORD
	v_and_b32_e32 v14, 0x7f800000, v7
	v_mov_b32_e32 v15, v51
	v_and_b32_e32 v50, 0x7fffff, v7
	v_or_b32_e32 v13, 0x7b, v12
	v_cmp_ne_u64_e32 vcc, s[52:53], v[14:15]
	s_and_saveexec_b64 s[30:31], vcc
	s_xor_b64 s[68:69], exec, s[30:31]
	s_cbranch_execz .LBB6_4822
; %bb.4813:                             ;   in Loop: Header=BB6_3768 Depth=3
	v_and_b32_e32 v14, 0x7fffffff, v7
	v_mov_b32_e32 v15, v51
	v_cmp_gt_u64_e32 vcc, s[54:55], v[14:15]
	s_and_saveexec_b64 s[70:71], vcc
	s_cbranch_execz .LBB6_4821
; %bb.4814:                             ;   in Loop: Header=BB6_3768 Depth=3
	v_cmp_ne_u32_e32 vcc, 0, v7
	v_mov_b32_e32 v13, 0
	s_and_saveexec_b64 s[72:73], vcc
	s_cbranch_execz .LBB6_4820
; %bb.4815:                             ;   in Loop: Header=BB6_3768 Depth=3
	v_bfe_u32 v6, v7, 23, 8
	v_cmp_eq_u32_e32 vcc, 0, v6
	v_add_u32_e32 v7, 0xffffff81, v6
	v_cmp_gt_u32_e64 s[30:31], s38, v6
	v_sub_u32_e32 v6, 0x71, v6
	v_mov_b32_e32 v14, 0xffffff82
	v_cndmask_b32_e64 v6, 0, v6, s[30:31]
	v_cndmask_b32_e32 v49, v7, v14, vcc
	v_mov_b32_e32 v7, 0x70
	v_cndmask_b32_e32 v52, v6, v7, vcc
	v_add_u32_e32 v6, 21, v52
	v_or_b32_e32 v13, 0x800000, v50
	v_lshlrev_b64 v[6:7], v6, -1
	v_cndmask_b32_e32 v50, v13, v50, vcc
	v_not_b32_e32 v7, v7
	v_not_b32_e32 v6, v6
	v_add_u32_e32 v13, 20, v52
	v_and_b32_e32 v7, 0, v7
	v_and_b32_e32 v6, v50, v6
	v_lshlrev_b64 v[14:15], v13, 1
	v_cmp_eq_u64_e32 vcc, v[6:7], v[14:15]
	v_lshrrev_b64 v[6:7], v52, v[50:51]
	v_lshrrev_b32_e32 v13, 23, v6
	v_add3_u32 v15, v52, v49, v13
	v_bfe_u32 v13, v6, 21, 1
	v_add_u32_e32 v13, -1, v13
	v_cndmask_b32_e32 v13, 0, v13, vcc
	v_add_u32_e32 v13, v13, v6
	v_and_b32_e32 v13, 0x1fffff, v13
	v_add_co_u32_e32 v6, vcc, v13, v6
	v_add_u32_e32 v14, 14, v15
	v_addc_co_u32_e32 v7, vcc, 0, v7, vcc
	v_cmp_ne_u32_e32 vcc, 0, v14
                                        ; implicit-def: $vgpr13
	s_and_saveexec_b64 s[30:31], vcc
	s_xor_b64 s[30:31], exec, s[30:31]
; %bb.4816:                             ;   in Loop: Header=BB6_3768 Depth=3
	v_add_u32_e32 v13, 15, v15
	v_cmp_lt_u64_e32 vcc, s[56:57], v[6:7]
	v_cndmask_b32_e32 v13, v14, v13, vcc
	v_cndmask_b32_e64 v14, 0, 1, vcc
	v_lshrrev_b64 v[6:7], v14, v[6:7]
; %bb.4817:                             ;   in Loop: Header=BB6_3768 Depth=3
	s_andn2_saveexec_b64 vcc, s[30:31]
; %bb.4818:                             ;   in Loop: Header=BB6_3768 Depth=3
	v_bfe_u32 v13, v6, 23, 1
; %bb.4819:                             ;   in Loop: Header=BB6_3768 Depth=3
	s_or_b64 exec, exec, vcc
	v_lshrrev_b64 v[6:7], 21, v[6:7]
	v_cmp_gt_i32_e32 vcc, 32, v13
	v_cndmask_b32_e32 v7, 0, v7, vcc
	v_cndmask_b32_e32 v6, 3, v6, vcc
	v_cmp_eq_u64_e64 s[30:31], 0, v[6:7]
	v_min_i32_e32 v7, 31, v13
	v_cmp_eq_u32_e32 vcc, 0, v13
	v_lshlrev_b32_e32 v7, 2, v7
	v_and_or_b32 v6, v6, 3, v7
	s_and_b64 vcc, vcc, s[30:31]
	v_cndmask_b32_e64 v6, v6, 0, vcc
	v_or_b32_e32 v13, v6, v12
.LBB6_4820:                             ;   in Loop: Header=BB6_3768 Depth=3
	s_or_b64 exec, exec, s[72:73]
.LBB6_4821:                             ;   in Loop: Header=BB6_3768 Depth=3
	s_or_b64 exec, exec, s[70:71]
                                        ; implicit-def: $vgpr7
.LBB6_4822:                             ;   in Loop: Header=BB6_3768 Depth=3
	s_andn2_saveexec_b64 s[30:31], s[68:69]
; %bb.4823:                             ;   in Loop: Header=BB6_3768 Depth=3
	v_or_b32_sdwa v6, v7, s39 dst_sel:DWORD dst_unused:UNUSED_PAD src0_sel:BYTE_3 src1_sel:DWORD
	v_cmp_eq_u64_e32 vcc, 0, v[50:51]
	v_cndmask_b32_e32 v13, v6, v13, vcc
; %bb.4824:                             ;   in Loop: Header=BB6_3768 Depth=3
	s_or_b64 exec, exec, s[30:31]
	v_lshrrev_b32_e32 v12, 16, v1
	v_lshrrev_b32_e32 v6, 16, v9
	s_and_b64 vcc, exec, s[28:29]
	v_cmp_ne_u16_sdwa s[30:31], v12, v51 src0_sel:BYTE_0 src1_sel:DWORD
	s_cbranch_vccnz .LBB6_4842
; %bb.4825:                             ;   in Loop: Header=BB6_3768 Depth=3
	v_mov_b32_e32 v14, 0
	v_mov_b32_e32 v7, 0
	s_and_saveexec_b64 s[68:69], s[30:31]
	s_cbranch_execz .LBB6_4833
; %bb.4826:                             ;   in Loop: Header=BB6_3768 Depth=3
	v_cmp_ne_u16_sdwa vcc, v12, s97 src0_sel:BYTE_0 src1_sel:DWORD
	v_bfrev_b32_e32 v7, 1
	s_and_saveexec_b64 s[70:71], vcc
	s_cbranch_execz .LBB6_4832
; %bb.4827:                             ;   in Loop: Header=BB6_3768 Depth=3
	v_and_b32_e32 v7, 0x7c0000, v1
	v_bfe_u32 v15, v1, 16, 2
	v_cmp_ne_u32_e32 vcc, s36, v7
                                        ; implicit-def: $vgpr7
	s_and_saveexec_b64 s[72:73], vcc
	s_xor_b64 s[72:73], exec, s[72:73]
	s_cbranch_execz .LBB6_4829
; %bb.4828:                             ;   in Loop: Header=BB6_3768 Depth=3
	v_ffbh_u32_e32 v49, v15
	v_min_u32_e32 v49, 32, v49
	v_subrev_u32_e32 v50, 29, v49
	v_bfe_u32 v7, v1, 18, 5
	v_lshlrev_b64 v[52:53], v50, v[12:13]
	v_sub_u32_e32 v49, 30, v49
	v_and_b32_e32 v50, 3, v52
	v_cmp_eq_u32_e32 vcc, 0, v7
	v_cndmask_b32_e32 v7, v7, v49, vcc
	v_cndmask_b32_e32 v15, v15, v50, vcc
	v_bfrev_b32_e32 v50, 28
	v_lshlrev_b32_e32 v49, 24, v12
	v_lshl_add_u32 v7, v7, 23, v50
	v_and_or_b32 v7, v49, s96, v7
	v_lshl_or_b32 v7, v15, 21, v7
                                        ; implicit-def: $vgpr15
.LBB6_4829:                             ;   in Loop: Header=BB6_3768 Depth=3
	s_andn2_saveexec_b64 s[72:73], s[72:73]
; %bb.4830:                             ;   in Loop: Header=BB6_3768 Depth=3
	v_mov_b32_e32 v7, -1
	v_cmp_gt_i16_sdwa vcc, sext(v12), v7 src0_sel:BYTE_0 src1_sel:DWORD
	v_mov_b32_e32 v7, 0xc7600000
	v_mov_b32_e32 v49, 0x47600000
	v_cndmask_b32_e32 v7, v7, v49, vcc
	v_cmp_eq_u32_e32 vcc, 0, v15
	v_mov_b32_e32 v15, 0x7f800001
	v_cndmask_b32_e32 v7, v15, v7, vcc
; %bb.4831:                             ;   in Loop: Header=BB6_3768 Depth=3
	s_or_b64 exec, exec, s[72:73]
.LBB6_4832:                             ;   in Loop: Header=BB6_3768 Depth=3
	s_or_b64 exec, exec, s[70:71]
.LBB6_4833:                             ;   in Loop: Header=BB6_3768 Depth=3
	s_or_b64 exec, exec, s[68:69]
	v_cmp_ne_u16_sdwa vcc, v6, v51 src0_sel:BYTE_0 src1_sel:DWORD
	s_and_saveexec_b64 s[68:69], vcc
	s_cbranch_execz .LBB6_4841
; %bb.4834:                             ;   in Loop: Header=BB6_3768 Depth=3
	v_cmp_ne_u16_sdwa vcc, v6, s97 src0_sel:BYTE_0 src1_sel:DWORD
	v_bfrev_b32_e32 v14, 1
	s_and_saveexec_b64 s[70:71], vcc
	s_cbranch_execz .LBB6_4840
; %bb.4835:                             ;   in Loop: Header=BB6_3768 Depth=3
	v_and_b32_e32 v14, 0x7c0000, v9
	v_bfe_u32 v15, v9, 16, 2
	v_cmp_ne_u32_e32 vcc, s36, v14
                                        ; implicit-def: $vgpr14
	s_and_saveexec_b64 s[72:73], vcc
	s_xor_b64 s[72:73], exec, s[72:73]
	s_cbranch_execz .LBB6_4837
; %bb.4836:                             ;   in Loop: Header=BB6_3768 Depth=3
	v_ffbh_u32_e32 v49, v15
	v_min_u32_e32 v49, 32, v49
	v_subrev_u32_e32 v50, 29, v49
	v_bfe_u32 v14, v9, 18, 5
	v_lshlrev_b64 v[52:53], v50, v[6:7]
	v_sub_u32_e32 v49, 30, v49
	v_and_b32_e32 v50, 3, v52
	v_cmp_eq_u32_e32 vcc, 0, v14
	v_cndmask_b32_e32 v14, v14, v49, vcc
	v_cndmask_b32_e32 v15, v15, v50, vcc
	v_bfrev_b32_e32 v50, 28
	v_lshlrev_b32_e32 v49, 24, v6
	v_lshl_add_u32 v14, v14, 23, v50
	v_and_or_b32 v14, v49, s96, v14
	v_lshl_or_b32 v14, v15, 21, v14
                                        ; implicit-def: $vgpr15
.LBB6_4837:                             ;   in Loop: Header=BB6_3768 Depth=3
	s_andn2_saveexec_b64 s[72:73], s[72:73]
; %bb.4838:                             ;   in Loop: Header=BB6_3768 Depth=3
	v_mov_b32_e32 v14, -1
	v_cmp_gt_i16_sdwa vcc, sext(v6), v14 src0_sel:BYTE_0 src1_sel:DWORD
	v_mov_b32_e32 v14, 0xc7600000
	v_mov_b32_e32 v49, 0x47600000
	v_cndmask_b32_e32 v14, v14, v49, vcc
	v_cmp_eq_u32_e32 vcc, 0, v15
	v_mov_b32_e32 v15, 0x7f800001
	v_cndmask_b32_e32 v14, v15, v14, vcc
; %bb.4839:                             ;   in Loop: Header=BB6_3768 Depth=3
	s_or_b64 exec, exec, s[72:73]
.LBB6_4840:                             ;   in Loop: Header=BB6_3768 Depth=3
	s_or_b64 exec, exec, s[70:71]
.LBB6_4841:                             ;   in Loop: Header=BB6_3768 Depth=3
	s_or_b64 exec, exec, s[68:69]
	v_max_f32_e32 v14, v14, v14
	v_max_f32_e32 v7, v7, v7
	;; [unrolled: 1-line block ×3, first 2 shown]
	s_branch .LBB6_4860
.LBB6_4842:                             ;   in Loop: Header=BB6_3768 Depth=3
                                        ; implicit-def: $vgpr7
	s_cbranch_execz .LBB6_4860
; %bb.4843:                             ;   in Loop: Header=BB6_3768 Depth=3
	v_mov_b32_e32 v14, 0
	v_mov_b32_e32 v7, 0
	s_and_saveexec_b64 s[68:69], s[30:31]
	s_cbranch_execz .LBB6_4851
; %bb.4844:                             ;   in Loop: Header=BB6_3768 Depth=3
	v_cmp_ne_u16_sdwa vcc, v12, s97 src0_sel:BYTE_0 src1_sel:DWORD
	v_bfrev_b32_e32 v7, 1
	s_and_saveexec_b64 s[30:31], vcc
	s_cbranch_execz .LBB6_4850
; %bb.4845:                             ;   in Loop: Header=BB6_3768 Depth=3
	v_and_b32_e32 v7, 0x7c0000, v1
	v_bfe_u32 v15, v1, 16, 2
	v_cmp_ne_u32_e32 vcc, s36, v7
                                        ; implicit-def: $vgpr7
	s_and_saveexec_b64 s[70:71], vcc
	s_xor_b64 s[70:71], exec, s[70:71]
	s_cbranch_execz .LBB6_4847
; %bb.4846:                             ;   in Loop: Header=BB6_3768 Depth=3
	v_ffbh_u32_e32 v49, v15
	v_bfe_u32 v7, v1, 18, 5
	v_min_u32_e32 v49, 32, v49
	v_subrev_u32_e32 v50, 29, v49
	v_sub_u32_e32 v49, 30, v49
	v_cmp_eq_u32_e32 vcc, 0, v7
	v_lshlrev_b64 v[52:53], v50, v[12:13]
	v_cndmask_b32_e32 v7, v7, v49, vcc
	v_bfrev_b32_e32 v49, 28
	v_and_b32_e32 v50, 3, v52
	v_lshlrev_b32_e32 v12, 24, v12
	v_lshl_add_u32 v7, v7, 23, v49
	v_cndmask_b32_e32 v15, v15, v50, vcc
	v_and_or_b32 v7, v12, s96, v7
	v_lshl_or_b32 v7, v15, 21, v7
                                        ; implicit-def: $vgpr15
                                        ; implicit-def: $vgpr12
.LBB6_4847:                             ;   in Loop: Header=BB6_3768 Depth=3
	s_andn2_saveexec_b64 s[70:71], s[70:71]
; %bb.4848:                             ;   in Loop: Header=BB6_3768 Depth=3
	v_mov_b32_e32 v7, -1
	v_cmp_gt_i16_sdwa vcc, sext(v12), v7 src0_sel:BYTE_0 src1_sel:DWORD
	v_mov_b32_e32 v7, 0xc7600000
	v_mov_b32_e32 v12, 0x47600000
	v_cndmask_b32_e32 v7, v7, v12, vcc
	v_cmp_eq_u32_e32 vcc, 0, v15
	v_mov_b32_e32 v12, 0x7f800001
	v_cndmask_b32_e32 v7, v12, v7, vcc
; %bb.4849:                             ;   in Loop: Header=BB6_3768 Depth=3
	s_or_b64 exec, exec, s[70:71]
.LBB6_4850:                             ;   in Loop: Header=BB6_3768 Depth=3
	s_or_b64 exec, exec, s[30:31]
.LBB6_4851:                             ;   in Loop: Header=BB6_3768 Depth=3
	s_or_b64 exec, exec, s[68:69]
	v_cmp_ne_u16_sdwa vcc, v6, v51 src0_sel:BYTE_0 src1_sel:DWORD
	s_and_saveexec_b64 s[30:31], vcc
	s_cbranch_execz .LBB6_4859
; %bb.4852:                             ;   in Loop: Header=BB6_3768 Depth=3
	v_cmp_ne_u16_sdwa vcc, v6, s97 src0_sel:BYTE_0 src1_sel:DWORD
	v_bfrev_b32_e32 v14, 1
	s_and_saveexec_b64 s[68:69], vcc
	s_cbranch_execz .LBB6_4858
; %bb.4853:                             ;   in Loop: Header=BB6_3768 Depth=3
	v_and_b32_e32 v14, 0x7c0000, v9
	v_bfe_u32 v12, v9, 16, 2
	v_cmp_ne_u32_e32 vcc, s36, v14
                                        ; implicit-def: $vgpr14
	s_and_saveexec_b64 s[70:71], vcc
	s_xor_b64 s[70:71], exec, s[70:71]
	s_cbranch_execz .LBB6_4855
; %bb.4854:                             ;   in Loop: Header=BB6_3768 Depth=3
	v_ffbh_u32_e32 v14, v12
	v_min_u32_e32 v50, 32, v14
	v_subrev_u32_e32 v14, 29, v50
	v_bfe_u32 v49, v9, 18, 5
	v_lshlrev_b64 v[14:15], v14, v[6:7]
	v_sub_u32_e32 v15, 30, v50
	v_and_b32_e32 v14, 3, v14
	v_cmp_eq_u32_e32 vcc, 0, v49
	v_cndmask_b32_e32 v15, v49, v15, vcc
	v_cndmask_b32_e32 v12, v12, v14, vcc
	v_bfrev_b32_e32 v14, 28
	v_lshlrev_b32_e32 v6, 24, v6
	v_lshl_add_u32 v14, v15, 23, v14
	v_and_or_b32 v6, v6, s96, v14
	v_lshl_or_b32 v14, v12, 21, v6
                                        ; implicit-def: $vgpr12
                                        ; implicit-def: $vgpr6
.LBB6_4855:                             ;   in Loop: Header=BB6_3768 Depth=3
	s_andn2_saveexec_b64 s[70:71], s[70:71]
; %bb.4856:                             ;   in Loop: Header=BB6_3768 Depth=3
	v_mov_b32_e32 v14, -1
	v_cmp_gt_i16_sdwa vcc, sext(v6), v14 src0_sel:BYTE_0 src1_sel:DWORD
	v_mov_b32_e32 v6, 0xc7600000
	v_mov_b32_e32 v14, 0x47600000
	v_cndmask_b32_e32 v6, v6, v14, vcc
	v_cmp_eq_u32_e32 vcc, 0, v12
	v_mov_b32_e32 v12, 0x7f800001
	v_cndmask_b32_e32 v14, v12, v6, vcc
; %bb.4857:                             ;   in Loop: Header=BB6_3768 Depth=3
	s_or_b64 exec, exec, s[70:71]
.LBB6_4858:                             ;   in Loop: Header=BB6_3768 Depth=3
	s_or_b64 exec, exec, s[68:69]
.LBB6_4859:                             ;   in Loop: Header=BB6_3768 Depth=3
	s_or_b64 exec, exec, s[30:31]
	v_max_f32_e32 v6, v14, v14
	v_max_f32_e32 v7, v7, v7
	v_min_f32_e32 v7, v7, v6
.LBB6_4860:                             ;   in Loop: Header=BB6_3768 Depth=3
	v_and_b32_sdwa v12, v7, s97 dst_sel:DWORD dst_unused:UNUSED_PAD src0_sel:BYTE_3 src1_sel:DWORD
	v_and_b32_e32 v52, 0x7f800000, v7
	v_mov_b32_e32 v53, v51
	v_and_b32_e32 v50, 0x7fffff, v7
	v_or_b32_e32 v14, 0x7b, v12
	v_cmp_ne_u64_e32 vcc, s[52:53], v[52:53]
	s_and_saveexec_b64 s[30:31], vcc
	s_xor_b64 s[68:69], exec, s[30:31]
	s_cbranch_execz .LBB6_4870
; %bb.4861:                             ;   in Loop: Header=BB6_3768 Depth=3
	v_and_b32_e32 v52, 0x7fffffff, v7
	v_mov_b32_e32 v53, v51
	v_cmp_gt_u64_e32 vcc, s[54:55], v[52:53]
	s_and_saveexec_b64 s[70:71], vcc
	s_cbranch_execz .LBB6_4869
; %bb.4862:                             ;   in Loop: Header=BB6_3768 Depth=3
	v_cmp_ne_u32_e32 vcc, 0, v7
	v_mov_b32_e32 v14, 0
	s_and_saveexec_b64 s[72:73], vcc
	s_cbranch_execz .LBB6_4868
; %bb.4863:                             ;   in Loop: Header=BB6_3768 Depth=3
	v_bfe_u32 v6, v7, 23, 8
	v_cmp_eq_u32_e32 vcc, 0, v6
	v_add_u32_e32 v7, 0xffffff81, v6
	v_cmp_gt_u32_e64 s[30:31], s38, v6
	v_sub_u32_e32 v6, 0x71, v6
	v_mov_b32_e32 v15, 0xffffff82
	v_cndmask_b32_e64 v6, 0, v6, s[30:31]
	v_cndmask_b32_e32 v49, v7, v15, vcc
	v_mov_b32_e32 v7, 0x70
	v_cndmask_b32_e32 v52, v6, v7, vcc
	v_add_u32_e32 v6, 21, v52
	v_or_b32_e32 v14, 0x800000, v50
	v_lshlrev_b64 v[6:7], v6, -1
	v_cndmask_b32_e32 v50, v14, v50, vcc
	v_not_b32_e32 v7, v7
	v_not_b32_e32 v6, v6
	v_add_u32_e32 v14, 20, v52
	v_and_b32_e32 v7, 0, v7
	v_and_b32_e32 v6, v50, v6
	v_lshlrev_b64 v[14:15], v14, 1
	v_cmp_eq_u64_e32 vcc, v[6:7], v[14:15]
	v_lshrrev_b64 v[6:7], v52, v[50:51]
	v_lshrrev_b32_e32 v14, 23, v6
	v_add3_u32 v49, v52, v49, v14
	v_bfe_u32 v14, v6, 21, 1
	v_add_u32_e32 v14, -1, v14
	v_cndmask_b32_e32 v14, 0, v14, vcc
	v_add_u32_e32 v14, v14, v6
	v_and_b32_e32 v14, 0x1fffff, v14
	v_add_co_u32_e32 v6, vcc, v14, v6
	v_add_u32_e32 v15, 14, v49
	v_addc_co_u32_e32 v7, vcc, 0, v7, vcc
	v_cmp_ne_u32_e32 vcc, 0, v15
                                        ; implicit-def: $vgpr14
	s_and_saveexec_b64 s[30:31], vcc
	s_xor_b64 s[30:31], exec, s[30:31]
; %bb.4864:                             ;   in Loop: Header=BB6_3768 Depth=3
	v_add_u32_e32 v14, 15, v49
	v_cmp_lt_u64_e32 vcc, s[56:57], v[6:7]
	v_cndmask_b32_e32 v14, v15, v14, vcc
	v_cndmask_b32_e64 v15, 0, 1, vcc
	v_lshrrev_b64 v[6:7], v15, v[6:7]
; %bb.4865:                             ;   in Loop: Header=BB6_3768 Depth=3
	s_andn2_saveexec_b64 vcc, s[30:31]
; %bb.4866:                             ;   in Loop: Header=BB6_3768 Depth=3
	v_bfe_u32 v14, v6, 23, 1
; %bb.4867:                             ;   in Loop: Header=BB6_3768 Depth=3
	s_or_b64 exec, exec, vcc
	v_lshrrev_b64 v[6:7], 21, v[6:7]
	v_cmp_gt_i32_e32 vcc, 32, v14
	v_cndmask_b32_e32 v7, 0, v7, vcc
	v_cndmask_b32_e32 v6, 3, v6, vcc
	v_cmp_eq_u64_e64 s[30:31], 0, v[6:7]
	v_min_i32_e32 v7, 31, v14
	v_cmp_eq_u32_e32 vcc, 0, v14
	v_lshlrev_b32_e32 v7, 2, v7
	v_and_or_b32 v6, v6, 3, v7
	s_and_b64 vcc, vcc, s[30:31]
	v_cndmask_b32_e64 v6, v6, 0, vcc
	v_or_b32_e32 v14, v6, v12
.LBB6_4868:                             ;   in Loop: Header=BB6_3768 Depth=3
	s_or_b64 exec, exec, s[72:73]
.LBB6_4869:                             ;   in Loop: Header=BB6_3768 Depth=3
	s_or_b64 exec, exec, s[70:71]
                                        ; implicit-def: $vgpr7
.LBB6_4870:                             ;   in Loop: Header=BB6_3768 Depth=3
	s_andn2_saveexec_b64 s[30:31], s[68:69]
; %bb.4871:                             ;   in Loop: Header=BB6_3768 Depth=3
	v_or_b32_sdwa v6, v7, s39 dst_sel:DWORD dst_unused:UNUSED_PAD src0_sel:BYTE_3 src1_sel:DWORD
	v_cmp_eq_u64_e32 vcc, 0, v[50:51]
	v_cndmask_b32_e32 v14, v6, v14, vcc
; %bb.4872:                             ;   in Loop: Header=BB6_3768 Depth=3
	s_or_b64 exec, exec, s[30:31]
	v_lshrrev_b32_e32 v12, 24, v1
	v_lshrrev_b32_e32 v6, 24, v9
	s_and_b64 vcc, exec, s[28:29]
	v_cmp_lt_u64_e64 s[30:31], s[42:43], v[0:1]
	s_cbranch_vccnz .LBB6_4890
; %bb.4873:                             ;   in Loop: Header=BB6_3768 Depth=3
	v_mov_b32_e32 v15, 0
	v_mov_b32_e32 v7, 0
	s_and_saveexec_b64 s[68:69], s[30:31]
	s_cbranch_execz .LBB6_4881
; %bb.4874:                             ;   in Loop: Header=BB6_3768 Depth=3
	v_cmp_ne_u32_e32 vcc, s97, v12
	v_bfrev_b32_e32 v7, 1
	s_and_saveexec_b64 s[70:71], vcc
	s_cbranch_execz .LBB6_4880
; %bb.4875:                             ;   in Loop: Header=BB6_3768 Depth=3
	v_and_b32_e32 v7, 0x7c000000, v1
	v_bfe_u32 v49, v1, 24, 2
	v_cmp_ne_u32_e32 vcc, s37, v7
                                        ; implicit-def: $vgpr7
	s_and_saveexec_b64 s[72:73], vcc
	s_xor_b64 s[72:73], exec, s[72:73]
	s_cbranch_execz .LBB6_4877
; %bb.4876:                             ;   in Loop: Header=BB6_3768 Depth=3
	v_ffbh_u32_e32 v50, v49
	v_bfe_u32 v7, v1, 26, 5
	v_min_u32_e32 v50, 32, v50
	v_subrev_u32_e32 v52, 29, v50
	v_sub_u32_e32 v50, 30, v50
	v_cmp_eq_u32_e32 vcc, 0, v7
	v_lshlrev_b64 v[52:53], v52, v[12:13]
	v_cndmask_b32_e32 v7, v7, v50, vcc
	v_bfrev_b32_e32 v50, 28
	v_and_b32_e32 v52, 3, v52
	v_lshl_add_u32 v7, v7, 23, v50
	v_cndmask_b32_e32 v49, v49, v52, vcc
	v_and_or_b32 v7, v1, s96, v7
	v_lshl_or_b32 v7, v49, 21, v7
                                        ; implicit-def: $vgpr49
.LBB6_4877:                             ;   in Loop: Header=BB6_3768 Depth=3
	s_andn2_saveexec_b64 s[72:73], s[72:73]
; %bb.4878:                             ;   in Loop: Header=BB6_3768 Depth=3
	v_cmp_lt_i64_e32 vcc, -1, v[0:1]
	v_mov_b32_e32 v7, 0xc7600000
	v_mov_b32_e32 v50, 0x47600000
	v_cndmask_b32_e32 v7, v7, v50, vcc
	v_cmp_eq_u32_e32 vcc, 0, v49
	v_mov_b32_e32 v49, 0x7f800001
	v_cndmask_b32_e32 v7, v49, v7, vcc
; %bb.4879:                             ;   in Loop: Header=BB6_3768 Depth=3
	s_or_b64 exec, exec, s[72:73]
.LBB6_4880:                             ;   in Loop: Header=BB6_3768 Depth=3
	s_or_b64 exec, exec, s[70:71]
.LBB6_4881:                             ;   in Loop: Header=BB6_3768 Depth=3
	s_or_b64 exec, exec, s[68:69]
	v_cmp_lt_u64_e32 vcc, s[42:43], v[8:9]
	s_and_saveexec_b64 s[68:69], vcc
	s_cbranch_execz .LBB6_4889
; %bb.4882:                             ;   in Loop: Header=BB6_3768 Depth=3
	v_cmp_ne_u32_e32 vcc, s97, v6
	v_bfrev_b32_e32 v15, 1
	s_and_saveexec_b64 s[70:71], vcc
	s_cbranch_execz .LBB6_4888
; %bb.4883:                             ;   in Loop: Header=BB6_3768 Depth=3
	v_and_b32_e32 v15, 0x7c000000, v9
	v_bfe_u32 v49, v9, 24, 2
	v_cmp_ne_u32_e32 vcc, s37, v15
                                        ; implicit-def: $vgpr15
	s_and_saveexec_b64 s[72:73], vcc
	s_xor_b64 s[72:73], exec, s[72:73]
	s_cbranch_execz .LBB6_4885
; %bb.4884:                             ;   in Loop: Header=BB6_3768 Depth=3
	v_ffbh_u32_e32 v50, v49
	v_bfe_u32 v15, v9, 26, 5
	v_min_u32_e32 v50, 32, v50
	v_subrev_u32_e32 v52, 29, v50
	v_sub_u32_e32 v50, 30, v50
	v_cmp_eq_u32_e32 vcc, 0, v15
	v_lshlrev_b64 v[52:53], v52, v[6:7]
	v_cndmask_b32_e32 v15, v15, v50, vcc
	v_bfrev_b32_e32 v50, 28
	v_and_b32_e32 v52, 3, v52
	v_lshl_add_u32 v15, v15, 23, v50
	v_cndmask_b32_e32 v49, v49, v52, vcc
	v_and_or_b32 v15, v9, s96, v15
	v_lshl_or_b32 v15, v49, 21, v15
                                        ; implicit-def: $vgpr49
.LBB6_4885:                             ;   in Loop: Header=BB6_3768 Depth=3
	s_andn2_saveexec_b64 s[72:73], s[72:73]
; %bb.4886:                             ;   in Loop: Header=BB6_3768 Depth=3
	v_cmp_lt_i64_e32 vcc, -1, v[8:9]
	v_mov_b32_e32 v15, 0xc7600000
	v_mov_b32_e32 v50, 0x47600000
	v_cndmask_b32_e32 v15, v15, v50, vcc
	v_cmp_eq_u32_e32 vcc, 0, v49
	v_mov_b32_e32 v49, 0x7f800001
	v_cndmask_b32_e32 v15, v49, v15, vcc
; %bb.4887:                             ;   in Loop: Header=BB6_3768 Depth=3
	s_or_b64 exec, exec, s[72:73]
.LBB6_4888:                             ;   in Loop: Header=BB6_3768 Depth=3
	s_or_b64 exec, exec, s[70:71]
.LBB6_4889:                             ;   in Loop: Header=BB6_3768 Depth=3
	s_or_b64 exec, exec, s[68:69]
	v_max_f32_e32 v15, v15, v15
	v_max_f32_e32 v7, v7, v7
	;; [unrolled: 1-line block ×3, first 2 shown]
	s_branch .LBB6_4908
.LBB6_4890:                             ;   in Loop: Header=BB6_3768 Depth=3
                                        ; implicit-def: $vgpr7
	s_cbranch_execz .LBB6_4908
; %bb.4891:                             ;   in Loop: Header=BB6_3768 Depth=3
	v_mov_b32_e32 v15, 0
	v_mov_b32_e32 v7, 0
	s_and_saveexec_b64 s[68:69], s[30:31]
	s_cbranch_execz .LBB6_4899
; %bb.4892:                             ;   in Loop: Header=BB6_3768 Depth=3
	v_cmp_ne_u32_e32 vcc, s97, v12
	v_bfrev_b32_e32 v7, 1
	s_and_saveexec_b64 s[30:31], vcc
	s_cbranch_execz .LBB6_4898
; %bb.4893:                             ;   in Loop: Header=BB6_3768 Depth=3
	v_and_b32_e32 v7, 0x7c000000, v1
	v_bfe_u32 v49, v1, 24, 2
	v_cmp_ne_u32_e32 vcc, s37, v7
                                        ; implicit-def: $vgpr7
	s_and_saveexec_b64 s[70:71], vcc
	s_xor_b64 s[70:71], exec, s[70:71]
	s_cbranch_execz .LBB6_4895
; %bb.4894:                             ;   in Loop: Header=BB6_3768 Depth=3
	v_ffbh_u32_e32 v7, v49
	v_min_u32_e32 v7, 32, v7
	v_subrev_u32_e32 v50, 29, v7
	v_bfe_u32 v0, v1, 26, 5
	v_lshlrev_b64 v[52:53], v50, v[12:13]
	v_sub_u32_e32 v7, 30, v7
	v_and_b32_e32 v12, 3, v52
	v_cmp_eq_u32_e32 vcc, 0, v0
	v_cndmask_b32_e32 v0, v0, v7, vcc
	v_cndmask_b32_e32 v7, v49, v12, vcc
	v_bfrev_b32_e32 v12, 28
	v_lshl_add_u32 v0, v0, 23, v12
	v_and_or_b32 v0, v1, s96, v0
	v_lshl_or_b32 v7, v7, 21, v0
                                        ; implicit-def: $vgpr49
.LBB6_4895:                             ;   in Loop: Header=BB6_3768 Depth=3
	s_andn2_saveexec_b64 s[70:71], s[70:71]
; %bb.4896:                             ;   in Loop: Header=BB6_3768 Depth=3
	v_cmp_lt_i64_e32 vcc, -1, v[0:1]
	v_mov_b32_e32 v0, 0xc7600000
	v_mov_b32_e32 v1, 0x47600000
	v_cndmask_b32_e32 v0, v0, v1, vcc
	v_cmp_eq_u32_e32 vcc, 0, v49
	v_mov_b32_e32 v1, 0x7f800001
	v_cndmask_b32_e32 v7, v1, v0, vcc
; %bb.4897:                             ;   in Loop: Header=BB6_3768 Depth=3
	s_or_b64 exec, exec, s[70:71]
.LBB6_4898:                             ;   in Loop: Header=BB6_3768 Depth=3
	s_or_b64 exec, exec, s[30:31]
.LBB6_4899:                             ;   in Loop: Header=BB6_3768 Depth=3
	s_or_b64 exec, exec, s[68:69]
	v_cmp_lt_u64_e32 vcc, s[42:43], v[8:9]
	s_and_saveexec_b64 s[30:31], vcc
	s_cbranch_execz .LBB6_4907
; %bb.4900:                             ;   in Loop: Header=BB6_3768 Depth=3
	v_cmp_ne_u32_e32 vcc, s97, v6
	v_bfrev_b32_e32 v15, 1
	s_and_saveexec_b64 s[68:69], vcc
	s_cbranch_execz .LBB6_4906
; %bb.4901:                             ;   in Loop: Header=BB6_3768 Depth=3
	v_and_b32_e32 v1, 0x7c000000, v9
	v_bfe_u32 v0, v9, 24, 2
	v_cmp_ne_u32_e32 vcc, s37, v1
                                        ; implicit-def: $vgpr15
	s_and_saveexec_b64 s[70:71], vcc
	s_xor_b64 s[70:71], exec, s[70:71]
	s_cbranch_execz .LBB6_4903
; %bb.4902:                             ;   in Loop: Header=BB6_3768 Depth=3
	v_ffbh_u32_e32 v8, v0
	v_min_u32_e32 v8, 32, v8
	v_bfe_u32 v1, v9, 26, 5
	v_subrev_u32_e32 v12, 29, v8
	v_lshlrev_b64 v[52:53], v12, v[6:7]
	v_sub_u32_e32 v6, 30, v8
	v_cmp_eq_u32_e32 vcc, 0, v1
	v_cndmask_b32_e32 v1, v1, v6, vcc
	v_bfrev_b32_e32 v6, 28
	v_and_b32_e32 v8, 3, v52
	v_lshl_add_u32 v1, v1, 23, v6
	v_cndmask_b32_e32 v0, v0, v8, vcc
	v_and_or_b32 v1, v9, s96, v1
	v_lshl_or_b32 v15, v0, 21, v1
                                        ; implicit-def: $vgpr0
.LBB6_4903:                             ;   in Loop: Header=BB6_3768 Depth=3
	s_andn2_saveexec_b64 s[70:71], s[70:71]
; %bb.4904:                             ;   in Loop: Header=BB6_3768 Depth=3
	v_cmp_lt_i64_e32 vcc, -1, v[8:9]
	v_mov_b32_e32 v1, 0xc7600000
	v_mov_b32_e32 v6, 0x47600000
	v_cndmask_b32_e32 v1, v1, v6, vcc
	v_cmp_eq_u32_e32 vcc, 0, v0
	v_mov_b32_e32 v0, 0x7f800001
	v_cndmask_b32_e32 v15, v0, v1, vcc
; %bb.4905:                             ;   in Loop: Header=BB6_3768 Depth=3
	s_or_b64 exec, exec, s[70:71]
.LBB6_4906:                             ;   in Loop: Header=BB6_3768 Depth=3
	s_or_b64 exec, exec, s[68:69]
.LBB6_4907:                             ;   in Loop: Header=BB6_3768 Depth=3
	s_or_b64 exec, exec, s[30:31]
	v_max_f32_e32 v0, v15, v15
	v_max_f32_e32 v1, v7, v7
	v_min_f32_e32 v7, v1, v0
.LBB6_4908:                             ;   in Loop: Header=BB6_3768 Depth=3
	v_and_b32_sdwa v6, v7, s97 dst_sel:DWORD dst_unused:UNUSED_PAD src0_sel:BYTE_3 src1_sel:DWORD
	v_and_b32_e32 v0, 0x7f800000, v7
	v_mov_b32_e32 v1, v51
	v_and_b32_e32 v50, 0x7fffff, v7
	v_or_b32_e32 v12, 0x7b, v6
	v_cmp_ne_u64_e32 vcc, s[52:53], v[0:1]
	s_and_saveexec_b64 s[30:31], vcc
	s_xor_b64 s[68:69], exec, s[30:31]
	s_cbranch_execz .LBB6_4936
; %bb.4909:                             ;   in Loop: Header=BB6_3768 Depth=3
	v_and_b32_e32 v0, 0x7fffffff, v7
	v_mov_b32_e32 v1, v51
	v_cmp_gt_u64_e32 vcc, s[54:55], v[0:1]
	s_and_saveexec_b64 s[70:71], vcc
	s_cbranch_execz .LBB6_4917
; %bb.4910:                             ;   in Loop: Header=BB6_3768 Depth=3
	v_cmp_ne_u32_e32 vcc, 0, v7
	v_mov_b32_e32 v12, 0
	s_and_saveexec_b64 s[72:73], vcc
	s_cbranch_execz .LBB6_4916
; %bb.4911:                             ;   in Loop: Header=BB6_3768 Depth=3
	v_bfe_u32 v0, v7, 23, 8
	v_cmp_eq_u32_e32 vcc, 0, v0
	v_add_u32_e32 v1, 0xffffff81, v0
	v_cmp_gt_u32_e64 s[30:31], s38, v0
	v_sub_u32_e32 v0, 0x71, v0
	v_mov_b32_e32 v8, 0xffffff82
	v_cndmask_b32_e64 v0, 0, v0, s[30:31]
	v_cndmask_b32_e32 v12, v1, v8, vcc
	v_mov_b32_e32 v1, 0x70
	v_cndmask_b32_e32 v15, v0, v1, vcc
	v_add_u32_e32 v0, 21, v15
	v_or_b32_e32 v7, 0x800000, v50
	v_lshlrev_b64 v[0:1], v0, -1
	v_cndmask_b32_e32 v50, v7, v50, vcc
	v_not_b32_e32 v1, v1
	v_not_b32_e32 v0, v0
	v_add_u32_e32 v7, 20, v15
	v_and_b32_e32 v1, 0, v1
	v_and_b32_e32 v0, v50, v0
	v_lshlrev_b64 v[8:9], v7, 1
	v_cmp_eq_u64_e32 vcc, v[0:1], v[8:9]
	v_lshrrev_b64 v[0:1], v15, v[50:51]
	v_lshrrev_b32_e32 v7, 23, v0
	v_add3_u32 v9, v15, v12, v7
	v_bfe_u32 v7, v0, 21, 1
	v_add_u32_e32 v7, -1, v7
	v_cndmask_b32_e32 v7, 0, v7, vcc
	v_add_u32_e32 v7, v7, v0
	v_and_b32_e32 v7, 0x1fffff, v7
	v_add_co_u32_e32 v0, vcc, v7, v0
	v_add_u32_e32 v8, 14, v9
	v_addc_co_u32_e32 v1, vcc, 0, v1, vcc
	v_cmp_ne_u32_e32 vcc, 0, v8
                                        ; implicit-def: $vgpr7
	s_and_saveexec_b64 s[30:31], vcc
	s_xor_b64 s[30:31], exec, s[30:31]
; %bb.4912:                             ;   in Loop: Header=BB6_3768 Depth=3
	v_add_u32_e32 v7, 15, v9
	v_cmp_lt_u64_e32 vcc, s[56:57], v[0:1]
	v_cndmask_b32_e32 v7, v8, v7, vcc
	v_cndmask_b32_e64 v8, 0, 1, vcc
	v_lshrrev_b64 v[0:1], v8, v[0:1]
; %bb.4913:                             ;   in Loop: Header=BB6_3768 Depth=3
	s_andn2_saveexec_b64 vcc, s[30:31]
; %bb.4914:                             ;   in Loop: Header=BB6_3768 Depth=3
	v_bfe_u32 v7, v0, 23, 1
; %bb.4915:                             ;   in Loop: Header=BB6_3768 Depth=3
	s_or_b64 exec, exec, vcc
	v_lshrrev_b64 v[0:1], 21, v[0:1]
	v_cmp_gt_i32_e32 vcc, 32, v7
	v_cndmask_b32_e32 v1, 0, v1, vcc
	v_cndmask_b32_e32 v0, 3, v0, vcc
	v_cmp_eq_u64_e64 s[30:31], 0, v[0:1]
	v_min_i32_e32 v1, 31, v7
	v_lshlrev_b32_e32 v1, 2, v1
	v_cmp_eq_u32_e32 vcc, 0, v7
	v_and_b32_e32 v1, 0xfc, v1
	v_and_or_b32 v0, v0, 3, v1
	s_and_b64 vcc, vcc, s[30:31]
	v_cndmask_b32_e64 v0, v0, 0, vcc
	v_or_b32_e32 v12, v0, v6
.LBB6_4916:                             ;   in Loop: Header=BB6_3768 Depth=3
	s_or_b64 exec, exec, s[72:73]
.LBB6_4917:                             ;   in Loop: Header=BB6_3768 Depth=3
	s_or_b64 exec, exec, s[70:71]
                                        ; implicit-def: $vgpr7
	s_andn2_saveexec_b64 s[30:31], s[68:69]
	s_cbranch_execnz .LBB6_4937
.LBB6_4918:                             ;   in Loop: Header=BB6_3768 Depth=3
	s_or_b64 exec, exec, s[30:31]
	s_and_b64 vcc, exec, s[28:29]
	v_cmp_ne_u16_sdwa s[30:31], v2, v51 src0_sel:BYTE_0 src1_sel:DWORD
	s_cbranch_vccnz .LBB6_4938
.LBB6_4919:                             ;   in Loop: Header=BB6_3768 Depth=3
	v_mov_b32_e32 v1, 0
	v_mov_b32_e32 v0, 0
	s_and_saveexec_b64 s[68:69], s[30:31]
	s_cbranch_execz .LBB6_4927
; %bb.4920:                             ;   in Loop: Header=BB6_3768 Depth=3
	v_cmp_ne_u16_sdwa vcc, sext(v2), s94 src0_sel:BYTE_0 src1_sel:DWORD
	v_bfrev_b32_e32 v0, 1
	s_and_saveexec_b64 s[70:71], vcc
	s_cbranch_execz .LBB6_4926
; %bb.4921:                             ;   in Loop: Header=BB6_3768 Depth=3
	v_and_b32_e32 v0, 0x7c, v2
	v_and_b32_e32 v6, 3, v2
	v_cmp_ne_u32_e32 vcc, s95, v0
                                        ; implicit-def: $vgpr0
	s_and_saveexec_b64 s[72:73], vcc
	s_xor_b64 s[72:73], exec, s[72:73]
	s_cbranch_execz .LBB6_4923
; %bb.4922:                             ;   in Loop: Header=BB6_3768 Depth=3
	v_ffbh_u32_e32 v7, v6
	v_min_u32_e32 v7, 32, v7
	v_subrev_u32_e32 v8, 29, v7
	v_bfe_u32 v0, v2, 2, 5
	v_lshlrev_b64 v[8:9], v8, v[2:3]
	v_sub_u32_e32 v7, 30, v7
	v_and_b32_e32 v8, 3, v8
	v_cmp_eq_u32_e32 vcc, 0, v0
	v_cndmask_b32_e32 v0, v0, v7, vcc
	v_cndmask_b32_e32 v6, v6, v8, vcc
	v_bfrev_b32_e32 v8, 28
	v_lshlrev_b32_e32 v7, 24, v2
	v_lshl_add_u32 v0, v0, 23, v8
	v_and_or_b32 v0, v7, s96, v0
	v_lshl_or_b32 v0, v6, 21, v0
                                        ; implicit-def: $vgpr6
.LBB6_4923:                             ;   in Loop: Header=BB6_3768 Depth=3
	s_andn2_saveexec_b64 s[72:73], s[72:73]
; %bb.4924:                             ;   in Loop: Header=BB6_3768 Depth=3
	v_mov_b32_e32 v0, -1
	v_cmp_gt_i16_sdwa vcc, sext(v2), v0 src0_sel:BYTE_0 src1_sel:DWORD
	v_mov_b32_e32 v0, 0xc7600000
	v_mov_b32_e32 v7, 0x47600000
	v_cndmask_b32_e32 v0, v0, v7, vcc
	v_cmp_eq_u32_e32 vcc, 0, v6
	v_mov_b32_e32 v6, 0x7f800001
	v_cndmask_b32_e32 v0, v6, v0, vcc
; %bb.4925:                             ;   in Loop: Header=BB6_3768 Depth=3
	s_or_b64 exec, exec, s[72:73]
.LBB6_4926:                             ;   in Loop: Header=BB6_3768 Depth=3
	s_or_b64 exec, exec, s[70:71]
.LBB6_4927:                             ;   in Loop: Header=BB6_3768 Depth=3
	s_or_b64 exec, exec, s[68:69]
	v_cmp_ne_u16_sdwa vcc, sext(v10), v51 src0_sel:BYTE_0 src1_sel:DWORD
	s_and_saveexec_b64 s[68:69], vcc
	s_cbranch_execz .LBB6_4935
; %bb.4928:                             ;   in Loop: Header=BB6_3768 Depth=3
	v_cmp_ne_u16_sdwa vcc, sext(v10), s94 src0_sel:BYTE_0 src1_sel:DWORD
	v_bfrev_b32_e32 v1, 1
	s_and_saveexec_b64 s[70:71], vcc
	s_cbranch_execz .LBB6_4934
; %bb.4929:                             ;   in Loop: Header=BB6_3768 Depth=3
	v_and_b32_e32 v1, 0x7c, v10
	v_and_b32_e32 v6, 3, v10
	v_cmp_ne_u32_e32 vcc, s95, v1
                                        ; implicit-def: $vgpr1
	s_and_saveexec_b64 s[72:73], vcc
	s_xor_b64 s[72:73], exec, s[72:73]
	s_cbranch_execz .LBB6_4931
; %bb.4930:                             ;   in Loop: Header=BB6_3768 Depth=3
	v_ffbh_u32_e32 v7, v6
	v_min_u32_e32 v7, 32, v7
	v_subrev_u32_e32 v8, 29, v7
	v_bfe_u32 v1, v10, 2, 5
	v_lshlrev_b64 v[8:9], v8, v[10:11]
	v_sub_u32_e32 v7, 30, v7
	v_and_b32_e32 v8, 3, v8
	v_cmp_eq_u32_e32 vcc, 0, v1
	v_cndmask_b32_e32 v1, v1, v7, vcc
	v_cndmask_b32_e32 v6, v6, v8, vcc
	v_bfrev_b32_e32 v8, 28
	v_lshlrev_b32_e32 v7, 24, v10
	v_lshl_add_u32 v1, v1, 23, v8
	v_and_or_b32 v1, v7, s96, v1
	v_lshl_or_b32 v1, v6, 21, v1
                                        ; implicit-def: $vgpr6
.LBB6_4931:                             ;   in Loop: Header=BB6_3768 Depth=3
	s_andn2_saveexec_b64 s[72:73], s[72:73]
; %bb.4932:                             ;   in Loop: Header=BB6_3768 Depth=3
	v_mov_b32_e32 v1, -1
	v_cmp_gt_i16_sdwa vcc, sext(v10), v1 src0_sel:BYTE_0 src1_sel:DWORD
	v_mov_b32_e32 v1, 0xc7600000
	v_mov_b32_e32 v7, 0x47600000
	v_cndmask_b32_e32 v1, v1, v7, vcc
	v_cmp_eq_u32_e32 vcc, 0, v6
	v_mov_b32_e32 v6, 0x7f800001
	v_cndmask_b32_e32 v1, v6, v1, vcc
; %bb.4933:                             ;   in Loop: Header=BB6_3768 Depth=3
	s_or_b64 exec, exec, s[72:73]
.LBB6_4934:                             ;   in Loop: Header=BB6_3768 Depth=3
	s_or_b64 exec, exec, s[70:71]
.LBB6_4935:                             ;   in Loop: Header=BB6_3768 Depth=3
	s_or_b64 exec, exec, s[68:69]
	v_max_f32_e32 v1, v1, v1
	v_max_f32_e32 v0, v0, v0
	;; [unrolled: 1-line block ×3, first 2 shown]
	s_branch .LBB6_4956
.LBB6_4936:                             ;   in Loop: Header=BB6_3768 Depth=3
	s_andn2_saveexec_b64 s[30:31], s[68:69]
	s_cbranch_execz .LBB6_4918
.LBB6_4937:                             ;   in Loop: Header=BB6_3768 Depth=3
	v_or_b32_sdwa v0, v7, s39 dst_sel:DWORD dst_unused:UNUSED_PAD src0_sel:BYTE_3 src1_sel:DWORD
	v_cmp_eq_u64_e32 vcc, 0, v[50:51]
	v_cndmask_b32_e32 v12, v0, v12, vcc
	s_or_b64 exec, exec, s[30:31]
	s_and_b64 vcc, exec, s[28:29]
	v_cmp_ne_u16_sdwa s[30:31], v2, v51 src0_sel:BYTE_0 src1_sel:DWORD
	s_cbranch_vccz .LBB6_4919
.LBB6_4938:                             ;   in Loop: Header=BB6_3768 Depth=3
                                        ; implicit-def: $vgpr0
	s_cbranch_execz .LBB6_4956
; %bb.4939:                             ;   in Loop: Header=BB6_3768 Depth=3
	v_mov_b32_e32 v1, 0
	v_mov_b32_e32 v0, 0
	s_and_saveexec_b64 s[68:69], s[30:31]
	s_cbranch_execz .LBB6_4947
; %bb.4940:                             ;   in Loop: Header=BB6_3768 Depth=3
	v_cmp_ne_u16_sdwa vcc, sext(v2), s94 src0_sel:BYTE_0 src1_sel:DWORD
	v_bfrev_b32_e32 v0, 1
	s_and_saveexec_b64 s[30:31], vcc
	s_cbranch_execz .LBB6_4946
; %bb.4941:                             ;   in Loop: Header=BB6_3768 Depth=3
	v_and_b32_e32 v0, 0x7c, v2
	v_and_b32_e32 v6, 3, v2
	v_cmp_ne_u32_e32 vcc, s95, v0
                                        ; implicit-def: $vgpr0
	s_and_saveexec_b64 s[70:71], vcc
	s_xor_b64 s[70:71], exec, s[70:71]
	s_cbranch_execz .LBB6_4943
; %bb.4942:                             ;   in Loop: Header=BB6_3768 Depth=3
	v_ffbh_u32_e32 v7, v6
	v_min_u32_e32 v7, 32, v7
	v_subrev_u32_e32 v8, 29, v7
	v_bfe_u32 v0, v2, 2, 5
	v_lshlrev_b64 v[8:9], v8, v[2:3]
	v_sub_u32_e32 v7, 30, v7
	v_and_b32_e32 v8, 3, v8
	v_cmp_eq_u32_e32 vcc, 0, v0
	v_cndmask_b32_e32 v0, v0, v7, vcc
	v_cndmask_b32_e32 v6, v6, v8, vcc
	v_bfrev_b32_e32 v8, 28
	v_lshlrev_b32_e32 v7, 24, v2
	v_lshl_add_u32 v0, v0, 23, v8
	v_and_or_b32 v0, v7, s96, v0
	v_lshl_or_b32 v0, v6, 21, v0
                                        ; implicit-def: $vgpr6
.LBB6_4943:                             ;   in Loop: Header=BB6_3768 Depth=3
	s_andn2_saveexec_b64 s[70:71], s[70:71]
; %bb.4944:                             ;   in Loop: Header=BB6_3768 Depth=3
	v_mov_b32_e32 v0, -1
	v_cmp_gt_i16_sdwa vcc, sext(v2), v0 src0_sel:BYTE_0 src1_sel:DWORD
	v_mov_b32_e32 v0, 0xc7600000
	v_mov_b32_e32 v7, 0x47600000
	v_cndmask_b32_e32 v0, v0, v7, vcc
	v_cmp_eq_u32_e32 vcc, 0, v6
	v_mov_b32_e32 v6, 0x7f800001
	v_cndmask_b32_e32 v0, v6, v0, vcc
; %bb.4945:                             ;   in Loop: Header=BB6_3768 Depth=3
	s_or_b64 exec, exec, s[70:71]
.LBB6_4946:                             ;   in Loop: Header=BB6_3768 Depth=3
	s_or_b64 exec, exec, s[30:31]
.LBB6_4947:                             ;   in Loop: Header=BB6_3768 Depth=3
	s_or_b64 exec, exec, s[68:69]
	v_cmp_ne_u16_sdwa vcc, sext(v10), v51 src0_sel:BYTE_0 src1_sel:DWORD
	s_and_saveexec_b64 s[30:31], vcc
	s_cbranch_execz .LBB6_4955
; %bb.4948:                             ;   in Loop: Header=BB6_3768 Depth=3
	v_cmp_ne_u16_sdwa vcc, sext(v10), s94 src0_sel:BYTE_0 src1_sel:DWORD
	v_bfrev_b32_e32 v1, 1
	s_and_saveexec_b64 s[68:69], vcc
	s_cbranch_execz .LBB6_4954
; %bb.4949:                             ;   in Loop: Header=BB6_3768 Depth=3
	v_and_b32_e32 v1, 0x7c, v10
	v_and_b32_e32 v6, 3, v10
	v_cmp_ne_u32_e32 vcc, s95, v1
                                        ; implicit-def: $vgpr1
	s_and_saveexec_b64 s[70:71], vcc
	s_xor_b64 s[70:71], exec, s[70:71]
	s_cbranch_execz .LBB6_4951
; %bb.4950:                             ;   in Loop: Header=BB6_3768 Depth=3
	v_ffbh_u32_e32 v7, v6
	v_min_u32_e32 v7, 32, v7
	v_subrev_u32_e32 v8, 29, v7
	v_bfe_u32 v1, v10, 2, 5
	v_lshlrev_b64 v[8:9], v8, v[10:11]
	v_sub_u32_e32 v7, 30, v7
	v_and_b32_e32 v8, 3, v8
	v_cmp_eq_u32_e32 vcc, 0, v1
	v_cndmask_b32_e32 v1, v1, v7, vcc
	v_cndmask_b32_e32 v6, v6, v8, vcc
	v_bfrev_b32_e32 v8, 28
	v_lshlrev_b32_e32 v7, 24, v10
	v_lshl_add_u32 v1, v1, 23, v8
	v_and_or_b32 v1, v7, s96, v1
	v_lshl_or_b32 v1, v6, 21, v1
                                        ; implicit-def: $vgpr6
.LBB6_4951:                             ;   in Loop: Header=BB6_3768 Depth=3
	s_andn2_saveexec_b64 s[70:71], s[70:71]
; %bb.4952:                             ;   in Loop: Header=BB6_3768 Depth=3
	v_mov_b32_e32 v1, -1
	v_cmp_gt_i16_sdwa vcc, sext(v10), v1 src0_sel:BYTE_0 src1_sel:DWORD
	v_mov_b32_e32 v1, 0xc7600000
	v_mov_b32_e32 v7, 0x47600000
	v_cndmask_b32_e32 v1, v1, v7, vcc
	v_cmp_eq_u32_e32 vcc, 0, v6
	v_mov_b32_e32 v6, 0x7f800001
	v_cndmask_b32_e32 v1, v6, v1, vcc
; %bb.4953:                             ;   in Loop: Header=BB6_3768 Depth=3
	s_or_b64 exec, exec, s[70:71]
.LBB6_4954:                             ;   in Loop: Header=BB6_3768 Depth=3
	s_or_b64 exec, exec, s[68:69]
.LBB6_4955:                             ;   in Loop: Header=BB6_3768 Depth=3
	s_or_b64 exec, exec, s[30:31]
	v_max_f32_e32 v1, v1, v1
	v_max_f32_e32 v0, v0, v0
	v_min_f32_e32 v0, v0, v1
.LBB6_4956:                             ;   in Loop: Header=BB6_3768 Depth=3
	v_and_b32_sdwa v6, v0, s97 dst_sel:DWORD dst_unused:UNUSED_PAD src0_sel:BYTE_3 src1_sel:DWORD
	v_and_b32_e32 v8, 0x7f800000, v0
	v_mov_b32_e32 v9, v51
	v_and_b32_e32 v50, 0x7fffff, v0
	v_or_b32_e32 v15, 0x7b, v6
	v_cmp_ne_u64_e32 vcc, s[52:53], v[8:9]
	s_and_saveexec_b64 s[30:31], vcc
	s_xor_b64 s[68:69], exec, s[30:31]
	s_cbranch_execz .LBB6_4966
; %bb.4957:                             ;   in Loop: Header=BB6_3768 Depth=3
	v_and_b32_e32 v8, 0x7fffffff, v0
	v_mov_b32_e32 v9, v51
	v_cmp_gt_u64_e32 vcc, s[54:55], v[8:9]
	s_and_saveexec_b64 s[70:71], vcc
	s_cbranch_execz .LBB6_4965
; %bb.4958:                             ;   in Loop: Header=BB6_3768 Depth=3
	v_cmp_ne_u32_e32 vcc, 0, v0
	v_mov_b32_e32 v15, 0
	s_and_saveexec_b64 s[72:73], vcc
	s_cbranch_execz .LBB6_4964
; %bb.4959:                             ;   in Loop: Header=BB6_3768 Depth=3
	v_bfe_u32 v0, v0, 23, 8
	v_cmp_eq_u32_e32 vcc, 0, v0
	v_add_u32_e32 v1, 0xffffff81, v0
	v_cmp_gt_u32_e64 s[30:31], s38, v0
	v_sub_u32_e32 v0, 0x71, v0
	v_mov_b32_e32 v8, 0xffffff82
	v_cndmask_b32_e64 v0, 0, v0, s[30:31]
	v_cndmask_b32_e32 v15, v1, v8, vcc
	v_mov_b32_e32 v1, 0x70
	v_cndmask_b32_e32 v49, v0, v1, vcc
	v_add_u32_e32 v0, 21, v49
	v_or_b32_e32 v7, 0x800000, v50
	v_lshlrev_b64 v[0:1], v0, -1
	v_cndmask_b32_e32 v50, v7, v50, vcc
	v_not_b32_e32 v1, v1
	v_not_b32_e32 v0, v0
	v_add_u32_e32 v7, 20, v49
	v_and_b32_e32 v1, 0, v1
	v_and_b32_e32 v0, v50, v0
	v_lshlrev_b64 v[8:9], v7, 1
	v_cmp_eq_u64_e32 vcc, v[0:1], v[8:9]
	v_lshrrev_b64 v[0:1], v49, v[50:51]
	v_lshrrev_b32_e32 v7, 23, v0
	v_add3_u32 v9, v49, v15, v7
	v_bfe_u32 v7, v0, 21, 1
	v_add_u32_e32 v7, -1, v7
	v_cndmask_b32_e32 v7, 0, v7, vcc
	v_add_u32_e32 v7, v7, v0
	v_and_b32_e32 v7, 0x1fffff, v7
	v_add_co_u32_e32 v0, vcc, v7, v0
	v_add_u32_e32 v8, 14, v9
	v_addc_co_u32_e32 v1, vcc, 0, v1, vcc
	v_cmp_ne_u32_e32 vcc, 0, v8
                                        ; implicit-def: $vgpr7
	s_and_saveexec_b64 s[30:31], vcc
	s_xor_b64 s[30:31], exec, s[30:31]
; %bb.4960:                             ;   in Loop: Header=BB6_3768 Depth=3
	v_add_u32_e32 v7, 15, v9
	v_cmp_lt_u64_e32 vcc, s[56:57], v[0:1]
	v_cndmask_b32_e32 v7, v8, v7, vcc
	v_cndmask_b32_e64 v8, 0, 1, vcc
	v_lshrrev_b64 v[0:1], v8, v[0:1]
; %bb.4961:                             ;   in Loop: Header=BB6_3768 Depth=3
	s_andn2_saveexec_b64 vcc, s[30:31]
; %bb.4962:                             ;   in Loop: Header=BB6_3768 Depth=3
	v_bfe_u32 v7, v0, 23, 1
; %bb.4963:                             ;   in Loop: Header=BB6_3768 Depth=3
	s_or_b64 exec, exec, vcc
	v_lshrrev_b64 v[0:1], 21, v[0:1]
	v_cmp_gt_i32_e32 vcc, 32, v7
	v_cndmask_b32_e32 v1, 0, v1, vcc
	v_cndmask_b32_e32 v0, 3, v0, vcc
	v_cmp_eq_u64_e64 s[30:31], 0, v[0:1]
	v_min_i32_e32 v1, 31, v7
	v_cmp_eq_u32_e32 vcc, 0, v7
	v_lshlrev_b32_e32 v1, 2, v1
	v_and_or_b32 v0, v0, 3, v1
	s_and_b64 vcc, vcc, s[30:31]
	v_cndmask_b32_e64 v0, v0, 0, vcc
	v_or_b32_e32 v15, v0, v6
.LBB6_4964:                             ;   in Loop: Header=BB6_3768 Depth=3
	s_or_b64 exec, exec, s[72:73]
.LBB6_4965:                             ;   in Loop: Header=BB6_3768 Depth=3
	s_or_b64 exec, exec, s[70:71]
                                        ; implicit-def: $vgpr0
.LBB6_4966:                             ;   in Loop: Header=BB6_3768 Depth=3
	s_andn2_saveexec_b64 s[30:31], s[68:69]
; %bb.4967:                             ;   in Loop: Header=BB6_3768 Depth=3
	v_or_b32_sdwa v0, v0, s39 dst_sel:DWORD dst_unused:UNUSED_PAD src0_sel:BYTE_3 src1_sel:DWORD
	v_cmp_eq_u64_e32 vcc, 0, v[50:51]
	v_cndmask_b32_e32 v15, v0, v15, vcc
; %bb.4968:                             ;   in Loop: Header=BB6_3768 Depth=3
	s_or_b64 exec, exec, s[30:31]
	v_lshrrev_b16_e32 v50, 8, v2
	v_lshrrev_b16_e32 v0, 8, v10
	s_and_b64 vcc, exec, s[28:29]
	v_cmp_ne_u16_e64 s[30:31], 0, v50
	s_cbranch_vccnz .LBB6_4986
; %bb.4969:                             ;   in Loop: Header=BB6_3768 Depth=3
	v_mov_b32_e32 v1, 0
	v_mov_b32_e32 v6, 0
	s_and_saveexec_b64 s[68:69], s[30:31]
	s_cbranch_execz .LBB6_4977
; %bb.4970:                             ;   in Loop: Header=BB6_3768 Depth=3
	v_cmp_ne_u16_e32 vcc, s97, v50
	v_bfrev_b32_e32 v6, 1
	s_and_saveexec_b64 s[70:71], vcc
	s_cbranch_execz .LBB6_4976
; %bb.4971:                             ;   in Loop: Header=BB6_3768 Depth=3
	v_and_b32_e32 v6, 0x7c, v50
	v_and_b32_e32 v7, 3, v50
	v_cmp_ne_u32_e32 vcc, s95, v6
                                        ; implicit-def: $vgpr6
	s_and_saveexec_b64 s[72:73], vcc
	s_xor_b64 s[72:73], exec, s[72:73]
	s_cbranch_execz .LBB6_4973
; %bb.4972:                             ;   in Loop: Header=BB6_3768 Depth=3
	v_ffbh_u32_e32 v8, v7
	v_min_u32_e32 v49, 32, v8
	v_subrev_u32_e32 v8, 29, v49
	v_bfe_u32 v6, v50, 2, 5
	v_lshlrev_b64 v[8:9], v8, v[50:51]
	v_sub_u32_e32 v9, 30, v49
	v_cmp_eq_u32_e32 vcc, 0, v6
	v_and_b32_e32 v8, 3, v8
	v_cndmask_b32_e32 v6, v6, v9, vcc
	v_bfrev_b32_e32 v9, 28
	v_cndmask_b32_e32 v7, v7, v8, vcc
	v_lshlrev_b32_e32 v8, 16, v2
	v_lshl_add_u32 v6, v6, 23, v9
	v_and_or_b32 v6, v8, s96, v6
	v_lshl_or_b32 v6, v7, 21, v6
                                        ; implicit-def: $vgpr7
.LBB6_4973:                             ;   in Loop: Header=BB6_3768 Depth=3
	s_andn2_saveexec_b64 s[72:73], s[72:73]
; %bb.4974:                             ;   in Loop: Header=BB6_3768 Depth=3
	v_cmp_lt_i16_e32 vcc, -1, v2
	v_mov_b32_e32 v6, 0xc7600000
	v_mov_b32_e32 v8, 0x47600000
	v_cndmask_b32_e32 v6, v6, v8, vcc
	v_cmp_eq_u32_e32 vcc, 0, v7
	v_mov_b32_e32 v7, 0x7f800001
	v_cndmask_b32_e32 v6, v7, v6, vcc
; %bb.4975:                             ;   in Loop: Header=BB6_3768 Depth=3
	s_or_b64 exec, exec, s[72:73]
.LBB6_4976:                             ;   in Loop: Header=BB6_3768 Depth=3
	s_or_b64 exec, exec, s[70:71]
.LBB6_4977:                             ;   in Loop: Header=BB6_3768 Depth=3
	s_or_b64 exec, exec, s[68:69]
	v_cmp_ne_u16_e32 vcc, 0, v0
	s_and_saveexec_b64 s[68:69], vcc
	s_cbranch_execz .LBB6_4985
; %bb.4978:                             ;   in Loop: Header=BB6_3768 Depth=3
	v_cmp_ne_u16_e32 vcc, s97, v0
	v_bfrev_b32_e32 v1, 1
	s_and_saveexec_b64 s[70:71], vcc
	s_cbranch_execz .LBB6_4984
; %bb.4979:                             ;   in Loop: Header=BB6_3768 Depth=3
	v_and_b32_e32 v1, 0x7c, v0
	v_and_b32_e32 v7, 3, v0
	v_cmp_ne_u32_e32 vcc, s95, v1
                                        ; implicit-def: $vgpr1
	s_and_saveexec_b64 s[72:73], vcc
	s_xor_b64 s[72:73], exec, s[72:73]
	s_cbranch_execz .LBB6_4981
; %bb.4980:                             ;   in Loop: Header=BB6_3768 Depth=3
	v_ffbh_u32_e32 v8, v7
	v_min_u32_e32 v52, 32, v8
	v_mov_b32_e32 v1, v51
	v_bfe_u32 v49, v0, 2, 5
	v_subrev_u32_e32 v8, 29, v52
	v_lshlrev_b64 v[8:9], v8, v[0:1]
	v_sub_u32_e32 v1, 30, v52
	v_cmp_eq_u32_e32 vcc, 0, v49
	v_and_b32_e32 v8, 3, v8
	v_cndmask_b32_e32 v1, v49, v1, vcc
	v_bfrev_b32_e32 v9, 28
	v_cndmask_b32_e32 v7, v7, v8, vcc
	v_lshlrev_b32_e32 v8, 16, v10
	v_lshl_add_u32 v1, v1, 23, v9
	v_and_or_b32 v1, v8, s96, v1
	v_lshl_or_b32 v1, v7, 21, v1
                                        ; implicit-def: $vgpr7
.LBB6_4981:                             ;   in Loop: Header=BB6_3768 Depth=3
	s_andn2_saveexec_b64 s[72:73], s[72:73]
; %bb.4982:                             ;   in Loop: Header=BB6_3768 Depth=3
	v_cmp_lt_i16_e32 vcc, -1, v10
	v_mov_b32_e32 v1, 0xc7600000
	v_mov_b32_e32 v8, 0x47600000
	v_cndmask_b32_e32 v1, v1, v8, vcc
	v_cmp_eq_u32_e32 vcc, 0, v7
	v_mov_b32_e32 v7, 0x7f800001
	v_cndmask_b32_e32 v1, v7, v1, vcc
; %bb.4983:                             ;   in Loop: Header=BB6_3768 Depth=3
	s_or_b64 exec, exec, s[72:73]
.LBB6_4984:                             ;   in Loop: Header=BB6_3768 Depth=3
	s_or_b64 exec, exec, s[70:71]
.LBB6_4985:                             ;   in Loop: Header=BB6_3768 Depth=3
	s_or_b64 exec, exec, s[68:69]
	v_max_f32_e32 v1, v1, v1
	v_max_f32_e32 v6, v6, v6
	;; [unrolled: 1-line block ×3, first 2 shown]
	s_branch .LBB6_5004
.LBB6_4986:                             ;   in Loop: Header=BB6_3768 Depth=3
                                        ; implicit-def: $vgpr1
	s_cbranch_execz .LBB6_5004
; %bb.4987:                             ;   in Loop: Header=BB6_3768 Depth=3
	v_mov_b32_e32 v1, 0
	v_mov_b32_e32 v6, 0
	s_and_saveexec_b64 s[68:69], s[30:31]
	s_cbranch_execz .LBB6_4995
; %bb.4988:                             ;   in Loop: Header=BB6_3768 Depth=3
	v_cmp_ne_u16_e32 vcc, s97, v50
	v_bfrev_b32_e32 v6, 1
	s_and_saveexec_b64 s[30:31], vcc
	s_cbranch_execz .LBB6_4994
; %bb.4989:                             ;   in Loop: Header=BB6_3768 Depth=3
	v_and_b32_e32 v6, 0x7c, v50
	v_and_b32_e32 v7, 3, v50
	v_cmp_ne_u32_e32 vcc, s95, v6
                                        ; implicit-def: $vgpr6
	s_and_saveexec_b64 s[70:71], vcc
	s_xor_b64 s[70:71], exec, s[70:71]
	s_cbranch_execz .LBB6_4991
; %bb.4990:                             ;   in Loop: Header=BB6_3768 Depth=3
	v_ffbh_u32_e32 v8, v7
	v_min_u32_e32 v49, 32, v8
	v_subrev_u32_e32 v8, 29, v49
	v_bfe_u32 v6, v50, 2, 5
	v_lshlrev_b64 v[8:9], v8, v[50:51]
	v_sub_u32_e32 v9, 30, v49
	v_cmp_eq_u32_e32 vcc, 0, v6
	v_and_b32_e32 v8, 3, v8
	v_cndmask_b32_e32 v6, v6, v9, vcc
	v_bfrev_b32_e32 v9, 28
	v_cndmask_b32_e32 v7, v7, v8, vcc
	v_lshlrev_b32_e32 v8, 16, v2
	v_lshl_add_u32 v6, v6, 23, v9
	v_and_or_b32 v6, v8, s96, v6
	v_lshl_or_b32 v6, v7, 21, v6
                                        ; implicit-def: $vgpr7
.LBB6_4991:                             ;   in Loop: Header=BB6_3768 Depth=3
	s_andn2_saveexec_b64 s[70:71], s[70:71]
; %bb.4992:                             ;   in Loop: Header=BB6_3768 Depth=3
	v_cmp_lt_i16_e32 vcc, -1, v2
	v_mov_b32_e32 v6, 0xc7600000
	v_mov_b32_e32 v8, 0x47600000
	v_cndmask_b32_e32 v6, v6, v8, vcc
	v_cmp_eq_u32_e32 vcc, 0, v7
	v_mov_b32_e32 v7, 0x7f800001
	v_cndmask_b32_e32 v6, v7, v6, vcc
; %bb.4993:                             ;   in Loop: Header=BB6_3768 Depth=3
	s_or_b64 exec, exec, s[70:71]
.LBB6_4994:                             ;   in Loop: Header=BB6_3768 Depth=3
	s_or_b64 exec, exec, s[30:31]
.LBB6_4995:                             ;   in Loop: Header=BB6_3768 Depth=3
	s_or_b64 exec, exec, s[68:69]
	v_cmp_ne_u16_e32 vcc, 0, v0
	s_and_saveexec_b64 s[30:31], vcc
	s_cbranch_execz .LBB6_5003
; %bb.4996:                             ;   in Loop: Header=BB6_3768 Depth=3
	v_cmp_ne_u16_e32 vcc, s97, v0
	v_bfrev_b32_e32 v1, 1
	s_and_saveexec_b64 s[68:69], vcc
	s_cbranch_execz .LBB6_5002
; %bb.4997:                             ;   in Loop: Header=BB6_3768 Depth=3
	v_and_b32_e32 v1, 0x7c, v0
	v_and_b32_e32 v7, 3, v0
	v_cmp_ne_u32_e32 vcc, s95, v1
                                        ; implicit-def: $vgpr1
	s_and_saveexec_b64 s[70:71], vcc
	s_xor_b64 s[70:71], exec, s[70:71]
	s_cbranch_execz .LBB6_4999
; %bb.4998:                             ;   in Loop: Header=BB6_3768 Depth=3
	v_ffbh_u32_e32 v9, v7
	v_min_u32_e32 v9, 32, v9
	v_mov_b32_e32 v1, v51
	v_subrev_u32_e32 v49, 29, v9
	v_bfe_u32 v8, v0, 2, 5
	v_lshlrev_b64 v[0:1], v49, v[0:1]
	v_sub_u32_e32 v1, 30, v9
	v_cmp_eq_u32_e32 vcc, 0, v8
	v_and_b32_e32 v0, 3, v0
	v_cndmask_b32_e32 v1, v8, v1, vcc
	v_bfrev_b32_e32 v8, 28
	v_cndmask_b32_e32 v0, v7, v0, vcc
	v_lshlrev_b32_e32 v7, 16, v10
	v_lshl_add_u32 v1, v1, 23, v8
	v_and_or_b32 v1, v7, s96, v1
	v_lshl_or_b32 v1, v0, 21, v1
                                        ; implicit-def: $vgpr7
.LBB6_4999:                             ;   in Loop: Header=BB6_3768 Depth=3
	s_andn2_saveexec_b64 s[70:71], s[70:71]
; %bb.5000:                             ;   in Loop: Header=BB6_3768 Depth=3
	v_cmp_lt_i16_e32 vcc, -1, v10
	v_mov_b32_e32 v0, 0xc7600000
	v_mov_b32_e32 v1, 0x47600000
	v_cndmask_b32_e32 v0, v0, v1, vcc
	v_cmp_eq_u32_e32 vcc, 0, v7
	v_mov_b32_e32 v1, 0x7f800001
	v_cndmask_b32_e32 v1, v1, v0, vcc
; %bb.5001:                             ;   in Loop: Header=BB6_3768 Depth=3
	s_or_b64 exec, exec, s[70:71]
.LBB6_5002:                             ;   in Loop: Header=BB6_3768 Depth=3
	s_or_b64 exec, exec, s[68:69]
.LBB6_5003:                             ;   in Loop: Header=BB6_3768 Depth=3
	s_or_b64 exec, exec, s[30:31]
	v_max_f32_e32 v0, v1, v1
	v_max_f32_e32 v1, v6, v6
	v_min_f32_e32 v1, v1, v0
.LBB6_5004:                             ;   in Loop: Header=BB6_3768 Depth=3
	v_and_b32_sdwa v6, v1, s97 dst_sel:DWORD dst_unused:UNUSED_PAD src0_sel:BYTE_3 src1_sel:DWORD
	v_and_b32_e32 v8, 0x7f800000, v1
	v_mov_b32_e32 v9, v51
	v_and_b32_e32 v50, 0x7fffff, v1
	v_or_b32_e32 v49, 0x7b, v6
	v_cmp_ne_u64_e32 vcc, s[52:53], v[8:9]
	s_and_saveexec_b64 s[30:31], vcc
	s_xor_b64 s[68:69], exec, s[30:31]
	s_cbranch_execz .LBB6_5014
; %bb.5005:                             ;   in Loop: Header=BB6_3768 Depth=3
	v_and_b32_e32 v8, 0x7fffffff, v1
	v_mov_b32_e32 v9, v51
	v_cmp_gt_u64_e32 vcc, s[54:55], v[8:9]
	s_and_saveexec_b64 s[70:71], vcc
	s_cbranch_execz .LBB6_5013
; %bb.5006:                             ;   in Loop: Header=BB6_3768 Depth=3
	v_cmp_ne_u32_e32 vcc, 0, v1
	v_mov_b32_e32 v49, 0
	s_and_saveexec_b64 s[72:73], vcc
	s_cbranch_execz .LBB6_5012
; %bb.5007:                             ;   in Loop: Header=BB6_3768 Depth=3
	v_bfe_u32 v0, v1, 23, 8
	v_cmp_eq_u32_e32 vcc, 0, v0
	v_add_u32_e32 v1, 0xffffff81, v0
	v_cmp_gt_u32_e64 s[30:31], s38, v0
	v_sub_u32_e32 v0, 0x71, v0
	v_mov_b32_e32 v8, 0xffffff82
	v_cndmask_b32_e64 v0, 0, v0, s[30:31]
	v_cndmask_b32_e32 v49, v1, v8, vcc
	v_mov_b32_e32 v1, 0x70
	v_cndmask_b32_e32 v52, v0, v1, vcc
	v_add_u32_e32 v0, 21, v52
	v_or_b32_e32 v7, 0x800000, v50
	v_lshlrev_b64 v[0:1], v0, -1
	v_cndmask_b32_e32 v50, v7, v50, vcc
	v_not_b32_e32 v1, v1
	v_not_b32_e32 v0, v0
	v_add_u32_e32 v7, 20, v52
	v_and_b32_e32 v1, 0, v1
	v_and_b32_e32 v0, v50, v0
	v_lshlrev_b64 v[8:9], v7, 1
	v_cmp_eq_u64_e32 vcc, v[0:1], v[8:9]
	v_lshrrev_b64 v[0:1], v52, v[50:51]
	v_lshrrev_b32_e32 v7, 23, v0
	v_add3_u32 v9, v52, v49, v7
	v_bfe_u32 v7, v0, 21, 1
	v_add_u32_e32 v7, -1, v7
	v_cndmask_b32_e32 v7, 0, v7, vcc
	v_add_u32_e32 v7, v7, v0
	v_and_b32_e32 v7, 0x1fffff, v7
	v_add_co_u32_e32 v0, vcc, v7, v0
	v_add_u32_e32 v8, 14, v9
	v_addc_co_u32_e32 v1, vcc, 0, v1, vcc
	v_cmp_ne_u32_e32 vcc, 0, v8
                                        ; implicit-def: $vgpr7
	s_and_saveexec_b64 s[30:31], vcc
	s_xor_b64 s[30:31], exec, s[30:31]
; %bb.5008:                             ;   in Loop: Header=BB6_3768 Depth=3
	v_add_u32_e32 v7, 15, v9
	v_cmp_lt_u64_e32 vcc, s[56:57], v[0:1]
	v_cndmask_b32_e32 v7, v8, v7, vcc
	v_cndmask_b32_e64 v8, 0, 1, vcc
	v_lshrrev_b64 v[0:1], v8, v[0:1]
; %bb.5009:                             ;   in Loop: Header=BB6_3768 Depth=3
	s_andn2_saveexec_b64 vcc, s[30:31]
; %bb.5010:                             ;   in Loop: Header=BB6_3768 Depth=3
	v_bfe_u32 v7, v0, 23, 1
; %bb.5011:                             ;   in Loop: Header=BB6_3768 Depth=3
	s_or_b64 exec, exec, vcc
	v_lshrrev_b64 v[0:1], 21, v[0:1]
	v_cmp_gt_i32_e32 vcc, 32, v7
	v_cndmask_b32_e32 v1, 0, v1, vcc
	v_cndmask_b32_e32 v0, 3, v0, vcc
	v_cmp_eq_u64_e64 s[30:31], 0, v[0:1]
	v_min_i32_e32 v1, 31, v7
	v_cmp_eq_u32_e32 vcc, 0, v7
	v_lshlrev_b32_e32 v1, 2, v1
	v_and_or_b32 v0, v0, 3, v1
	s_and_b64 vcc, vcc, s[30:31]
	v_cndmask_b32_e64 v0, v0, 0, vcc
	v_or_b32_e32 v49, v0, v6
.LBB6_5012:                             ;   in Loop: Header=BB6_3768 Depth=3
	s_or_b64 exec, exec, s[72:73]
.LBB6_5013:                             ;   in Loop: Header=BB6_3768 Depth=3
	s_or_b64 exec, exec, s[70:71]
                                        ; implicit-def: $vgpr1
.LBB6_5014:                             ;   in Loop: Header=BB6_3768 Depth=3
	s_andn2_saveexec_b64 s[30:31], s[68:69]
; %bb.5015:                             ;   in Loop: Header=BB6_3768 Depth=3
	v_or_b32_sdwa v0, v1, s39 dst_sel:DWORD dst_unused:UNUSED_PAD src0_sel:BYTE_3 src1_sel:DWORD
	v_cmp_eq_u64_e32 vcc, 0, v[50:51]
	v_cndmask_b32_e32 v49, v0, v49, vcc
; %bb.5016:                             ;   in Loop: Header=BB6_3768 Depth=3
	s_or_b64 exec, exec, s[30:31]
	v_lshrrev_b32_e32 v6, 16, v2
	v_lshrrev_b32_e32 v0, 16, v10
	s_and_b64 vcc, exec, s[28:29]
	v_cmp_ne_u16_sdwa s[30:31], v6, v51 src0_sel:BYTE_0 src1_sel:DWORD
	s_cbranch_vccnz .LBB6_5034
; %bb.5017:                             ;   in Loop: Header=BB6_3768 Depth=3
	v_mov_b32_e32 v7, 0
	v_mov_b32_e32 v1, 0
	s_and_saveexec_b64 s[68:69], s[30:31]
	s_cbranch_execz .LBB6_5025
; %bb.5018:                             ;   in Loop: Header=BB6_3768 Depth=3
	v_cmp_ne_u16_sdwa vcc, v6, s97 src0_sel:BYTE_0 src1_sel:DWORD
	v_bfrev_b32_e32 v1, 1
	s_and_saveexec_b64 s[70:71], vcc
	s_cbranch_execz .LBB6_5024
; %bb.5019:                             ;   in Loop: Header=BB6_3768 Depth=3
	v_and_b32_e32 v1, 0x7c0000, v2
	v_bfe_u32 v8, v2, 16, 2
	v_cmp_ne_u32_e32 vcc, s36, v1
                                        ; implicit-def: $vgpr1
	s_and_saveexec_b64 s[72:73], vcc
	s_xor_b64 s[72:73], exec, s[72:73]
	s_cbranch_execz .LBB6_5021
; %bb.5020:                             ;   in Loop: Header=BB6_3768 Depth=3
	v_ffbh_u32_e32 v9, v8
	v_min_u32_e32 v9, 32, v9
	v_subrev_u32_e32 v50, 29, v9
	v_bfe_u32 v1, v2, 18, 5
	v_lshlrev_b64 v[52:53], v50, v[6:7]
	v_sub_u32_e32 v9, 30, v9
	v_and_b32_e32 v50, 3, v52
	v_cmp_eq_u32_e32 vcc, 0, v1
	v_cndmask_b32_e32 v1, v1, v9, vcc
	v_cndmask_b32_e32 v8, v8, v50, vcc
	v_bfrev_b32_e32 v50, 28
	v_lshlrev_b32_e32 v9, 24, v6
	v_lshl_add_u32 v1, v1, 23, v50
	v_and_or_b32 v1, v9, s96, v1
	v_lshl_or_b32 v1, v8, 21, v1
                                        ; implicit-def: $vgpr8
.LBB6_5021:                             ;   in Loop: Header=BB6_3768 Depth=3
	s_andn2_saveexec_b64 s[72:73], s[72:73]
; %bb.5022:                             ;   in Loop: Header=BB6_3768 Depth=3
	v_mov_b32_e32 v1, -1
	v_cmp_gt_i16_sdwa vcc, sext(v6), v1 src0_sel:BYTE_0 src1_sel:DWORD
	v_mov_b32_e32 v1, 0xc7600000
	v_mov_b32_e32 v9, 0x47600000
	v_cndmask_b32_e32 v1, v1, v9, vcc
	v_cmp_eq_u32_e32 vcc, 0, v8
	v_mov_b32_e32 v8, 0x7f800001
	v_cndmask_b32_e32 v1, v8, v1, vcc
; %bb.5023:                             ;   in Loop: Header=BB6_3768 Depth=3
	s_or_b64 exec, exec, s[72:73]
.LBB6_5024:                             ;   in Loop: Header=BB6_3768 Depth=3
	s_or_b64 exec, exec, s[70:71]
.LBB6_5025:                             ;   in Loop: Header=BB6_3768 Depth=3
	s_or_b64 exec, exec, s[68:69]
	v_cmp_ne_u16_sdwa vcc, v0, v51 src0_sel:BYTE_0 src1_sel:DWORD
	s_and_saveexec_b64 s[68:69], vcc
	s_cbranch_execz .LBB6_5033
; %bb.5026:                             ;   in Loop: Header=BB6_3768 Depth=3
	v_cmp_ne_u16_sdwa vcc, v0, s97 src0_sel:BYTE_0 src1_sel:DWORD
	v_bfrev_b32_e32 v7, 1
	s_and_saveexec_b64 s[70:71], vcc
	s_cbranch_execz .LBB6_5032
; %bb.5027:                             ;   in Loop: Header=BB6_3768 Depth=3
	v_and_b32_e32 v7, 0x7c0000, v10
	v_bfe_u32 v8, v10, 16, 2
	v_cmp_ne_u32_e32 vcc, s36, v7
                                        ; implicit-def: $vgpr7
	s_and_saveexec_b64 s[72:73], vcc
	s_xor_b64 s[72:73], exec, s[72:73]
	s_cbranch_execz .LBB6_5029
; %bb.5028:                             ;   in Loop: Header=BB6_3768 Depth=3
	v_ffbh_u32_e32 v9, v8
	v_min_u32_e32 v9, 32, v9
	v_subrev_u32_e32 v50, 29, v9
	v_bfe_u32 v7, v10, 18, 5
	v_lshlrev_b64 v[52:53], v50, v[0:1]
	v_sub_u32_e32 v9, 30, v9
	v_and_b32_e32 v50, 3, v52
	v_cmp_eq_u32_e32 vcc, 0, v7
	v_cndmask_b32_e32 v7, v7, v9, vcc
	v_cndmask_b32_e32 v8, v8, v50, vcc
	v_bfrev_b32_e32 v50, 28
	v_lshlrev_b32_e32 v9, 24, v0
	v_lshl_add_u32 v7, v7, 23, v50
	v_and_or_b32 v7, v9, s96, v7
	v_lshl_or_b32 v7, v8, 21, v7
                                        ; implicit-def: $vgpr8
.LBB6_5029:                             ;   in Loop: Header=BB6_3768 Depth=3
	s_andn2_saveexec_b64 s[72:73], s[72:73]
; %bb.5030:                             ;   in Loop: Header=BB6_3768 Depth=3
	v_mov_b32_e32 v7, -1
	v_cmp_gt_i16_sdwa vcc, sext(v0), v7 src0_sel:BYTE_0 src1_sel:DWORD
	v_mov_b32_e32 v7, 0xc7600000
	v_mov_b32_e32 v9, 0x47600000
	v_cndmask_b32_e32 v7, v7, v9, vcc
	v_cmp_eq_u32_e32 vcc, 0, v8
	v_mov_b32_e32 v8, 0x7f800001
	v_cndmask_b32_e32 v7, v8, v7, vcc
; %bb.5031:                             ;   in Loop: Header=BB6_3768 Depth=3
	s_or_b64 exec, exec, s[72:73]
.LBB6_5032:                             ;   in Loop: Header=BB6_3768 Depth=3
	s_or_b64 exec, exec, s[70:71]
.LBB6_5033:                             ;   in Loop: Header=BB6_3768 Depth=3
	s_or_b64 exec, exec, s[68:69]
	v_max_f32_e32 v7, v7, v7
	v_max_f32_e32 v1, v1, v1
	;; [unrolled: 1-line block ×3, first 2 shown]
	s_branch .LBB6_5052
.LBB6_5034:                             ;   in Loop: Header=BB6_3768 Depth=3
                                        ; implicit-def: $vgpr1
	s_cbranch_execz .LBB6_5052
; %bb.5035:                             ;   in Loop: Header=BB6_3768 Depth=3
	v_mov_b32_e32 v7, 0
	v_mov_b32_e32 v1, 0
	s_and_saveexec_b64 s[68:69], s[30:31]
	s_cbranch_execz .LBB6_5043
; %bb.5036:                             ;   in Loop: Header=BB6_3768 Depth=3
	v_cmp_ne_u16_sdwa vcc, v6, s97 src0_sel:BYTE_0 src1_sel:DWORD
	v_bfrev_b32_e32 v1, 1
	s_and_saveexec_b64 s[30:31], vcc
	s_cbranch_execz .LBB6_5042
; %bb.5037:                             ;   in Loop: Header=BB6_3768 Depth=3
	v_and_b32_e32 v1, 0x7c0000, v2
	v_bfe_u32 v8, v2, 16, 2
	v_cmp_ne_u32_e32 vcc, s36, v1
                                        ; implicit-def: $vgpr1
	s_and_saveexec_b64 s[70:71], vcc
	s_xor_b64 s[70:71], exec, s[70:71]
	s_cbranch_execz .LBB6_5039
; %bb.5038:                             ;   in Loop: Header=BB6_3768 Depth=3
	v_ffbh_u32_e32 v9, v8
	v_bfe_u32 v1, v2, 18, 5
	v_min_u32_e32 v9, 32, v9
	v_subrev_u32_e32 v50, 29, v9
	v_sub_u32_e32 v9, 30, v9
	v_cmp_eq_u32_e32 vcc, 0, v1
	v_lshlrev_b64 v[52:53], v50, v[6:7]
	v_cndmask_b32_e32 v1, v1, v9, vcc
	v_bfrev_b32_e32 v9, 28
	v_and_b32_e32 v50, 3, v52
	v_lshlrev_b32_e32 v6, 24, v6
	v_lshl_add_u32 v1, v1, 23, v9
	v_cndmask_b32_e32 v8, v8, v50, vcc
	v_and_or_b32 v1, v6, s96, v1
	v_lshl_or_b32 v1, v8, 21, v1
                                        ; implicit-def: $vgpr8
                                        ; implicit-def: $vgpr6
.LBB6_5039:                             ;   in Loop: Header=BB6_3768 Depth=3
	s_andn2_saveexec_b64 s[70:71], s[70:71]
; %bb.5040:                             ;   in Loop: Header=BB6_3768 Depth=3
	v_mov_b32_e32 v1, -1
	v_cmp_gt_i16_sdwa vcc, sext(v6), v1 src0_sel:BYTE_0 src1_sel:DWORD
	v_mov_b32_e32 v1, 0xc7600000
	v_mov_b32_e32 v6, 0x47600000
	v_cndmask_b32_e32 v1, v1, v6, vcc
	v_cmp_eq_u32_e32 vcc, 0, v8
	v_mov_b32_e32 v6, 0x7f800001
	v_cndmask_b32_e32 v1, v6, v1, vcc
; %bb.5041:                             ;   in Loop: Header=BB6_3768 Depth=3
	s_or_b64 exec, exec, s[70:71]
.LBB6_5042:                             ;   in Loop: Header=BB6_3768 Depth=3
	s_or_b64 exec, exec, s[30:31]
.LBB6_5043:                             ;   in Loop: Header=BB6_3768 Depth=3
	s_or_b64 exec, exec, s[68:69]
	v_cmp_ne_u16_sdwa vcc, v0, v51 src0_sel:BYTE_0 src1_sel:DWORD
	s_and_saveexec_b64 s[30:31], vcc
	s_cbranch_execz .LBB6_5051
; %bb.5044:                             ;   in Loop: Header=BB6_3768 Depth=3
	v_cmp_ne_u16_sdwa vcc, v0, s97 src0_sel:BYTE_0 src1_sel:DWORD
	v_bfrev_b32_e32 v7, 1
	s_and_saveexec_b64 s[68:69], vcc
	s_cbranch_execz .LBB6_5050
; %bb.5045:                             ;   in Loop: Header=BB6_3768 Depth=3
	v_and_b32_e32 v7, 0x7c0000, v10
	v_bfe_u32 v6, v10, 16, 2
	v_cmp_ne_u32_e32 vcc, s36, v7
                                        ; implicit-def: $vgpr7
	s_and_saveexec_b64 s[70:71], vcc
	s_xor_b64 s[70:71], exec, s[70:71]
	s_cbranch_execz .LBB6_5047
; %bb.5046:                             ;   in Loop: Header=BB6_3768 Depth=3
	v_ffbh_u32_e32 v8, v6
	v_min_u32_e32 v50, 32, v8
	v_subrev_u32_e32 v8, 29, v50
	v_bfe_u32 v7, v10, 18, 5
	v_lshlrev_b64 v[8:9], v8, v[0:1]
	v_sub_u32_e32 v9, 30, v50
	v_and_b32_e32 v8, 3, v8
	v_cmp_eq_u32_e32 vcc, 0, v7
	v_cndmask_b32_e32 v7, v7, v9, vcc
	v_cndmask_b32_e32 v6, v6, v8, vcc
	v_bfrev_b32_e32 v8, 28
	v_lshlrev_b32_e32 v0, 24, v0
	v_lshl_add_u32 v7, v7, 23, v8
	v_and_or_b32 v0, v0, s96, v7
	v_lshl_or_b32 v7, v6, 21, v0
                                        ; implicit-def: $vgpr6
                                        ; implicit-def: $vgpr0
.LBB6_5047:                             ;   in Loop: Header=BB6_3768 Depth=3
	s_andn2_saveexec_b64 s[70:71], s[70:71]
; %bb.5048:                             ;   in Loop: Header=BB6_3768 Depth=3
	v_mov_b32_e32 v7, -1
	v_cmp_gt_i16_sdwa vcc, sext(v0), v7 src0_sel:BYTE_0 src1_sel:DWORD
	v_mov_b32_e32 v0, 0xc7600000
	v_mov_b32_e32 v7, 0x47600000
	v_cndmask_b32_e32 v0, v0, v7, vcc
	v_cmp_eq_u32_e32 vcc, 0, v6
	v_mov_b32_e32 v6, 0x7f800001
	v_cndmask_b32_e32 v7, v6, v0, vcc
; %bb.5049:                             ;   in Loop: Header=BB6_3768 Depth=3
	s_or_b64 exec, exec, s[70:71]
.LBB6_5050:                             ;   in Loop: Header=BB6_3768 Depth=3
	s_or_b64 exec, exec, s[68:69]
.LBB6_5051:                             ;   in Loop: Header=BB6_3768 Depth=3
	s_or_b64 exec, exec, s[30:31]
	v_max_f32_e32 v0, v7, v7
	v_max_f32_e32 v1, v1, v1
	v_min_f32_e32 v1, v1, v0
.LBB6_5052:                             ;   in Loop: Header=BB6_3768 Depth=3
	v_and_b32_sdwa v6, v1, s97 dst_sel:DWORD dst_unused:UNUSED_PAD src0_sel:BYTE_3 src1_sel:DWORD
	v_and_b32_e32 v8, 0x7f800000, v1
	v_mov_b32_e32 v9, v51
	v_and_b32_e32 v50, 0x7fffff, v1
	v_or_b32_e32 v52, 0x7b, v6
	v_cmp_ne_u64_e32 vcc, s[52:53], v[8:9]
	s_and_saveexec_b64 s[30:31], vcc
	s_xor_b64 s[68:69], exec, s[30:31]
	s_cbranch_execz .LBB6_5062
; %bb.5053:                             ;   in Loop: Header=BB6_3768 Depth=3
	v_and_b32_e32 v8, 0x7fffffff, v1
	v_mov_b32_e32 v9, v51
	v_cmp_gt_u64_e32 vcc, s[54:55], v[8:9]
	s_and_saveexec_b64 s[70:71], vcc
	s_cbranch_execz .LBB6_5061
; %bb.5054:                             ;   in Loop: Header=BB6_3768 Depth=3
	v_cmp_ne_u32_e32 vcc, 0, v1
	v_mov_b32_e32 v52, 0
	s_and_saveexec_b64 s[72:73], vcc
	s_cbranch_execz .LBB6_5060
; %bb.5055:                             ;   in Loop: Header=BB6_3768 Depth=3
	v_bfe_u32 v0, v1, 23, 8
	v_cmp_eq_u32_e32 vcc, 0, v0
	v_add_u32_e32 v1, 0xffffff81, v0
	v_cmp_gt_u32_e64 s[30:31], s38, v0
	v_sub_u32_e32 v0, 0x71, v0
	v_mov_b32_e32 v8, 0xffffff82
	v_cndmask_b32_e64 v0, 0, v0, s[30:31]
	v_cndmask_b32_e32 v52, v1, v8, vcc
	v_mov_b32_e32 v1, 0x70
	v_cndmask_b32_e32 v53, v0, v1, vcc
	v_add_u32_e32 v0, 21, v53
	v_or_b32_e32 v7, 0x800000, v50
	v_lshlrev_b64 v[0:1], v0, -1
	v_cndmask_b32_e32 v50, v7, v50, vcc
	v_not_b32_e32 v1, v1
	v_not_b32_e32 v0, v0
	v_add_u32_e32 v7, 20, v53
	v_and_b32_e32 v1, 0, v1
	v_and_b32_e32 v0, v50, v0
	v_lshlrev_b64 v[8:9], v7, 1
	v_cmp_eq_u64_e32 vcc, v[0:1], v[8:9]
	v_lshrrev_b64 v[0:1], v53, v[50:51]
	v_lshrrev_b32_e32 v7, 23, v0
	v_add3_u32 v9, v53, v52, v7
	v_bfe_u32 v7, v0, 21, 1
	v_add_u32_e32 v7, -1, v7
	v_cndmask_b32_e32 v7, 0, v7, vcc
	v_add_u32_e32 v7, v7, v0
	v_and_b32_e32 v7, 0x1fffff, v7
	v_add_co_u32_e32 v0, vcc, v7, v0
	v_add_u32_e32 v8, 14, v9
	v_addc_co_u32_e32 v1, vcc, 0, v1, vcc
	v_cmp_ne_u32_e32 vcc, 0, v8
                                        ; implicit-def: $vgpr7
	s_and_saveexec_b64 s[30:31], vcc
	s_xor_b64 s[30:31], exec, s[30:31]
; %bb.5056:                             ;   in Loop: Header=BB6_3768 Depth=3
	v_add_u32_e32 v7, 15, v9
	v_cmp_lt_u64_e32 vcc, s[56:57], v[0:1]
	v_cndmask_b32_e32 v7, v8, v7, vcc
	v_cndmask_b32_e64 v8, 0, 1, vcc
	v_lshrrev_b64 v[0:1], v8, v[0:1]
; %bb.5057:                             ;   in Loop: Header=BB6_3768 Depth=3
	s_andn2_saveexec_b64 vcc, s[30:31]
; %bb.5058:                             ;   in Loop: Header=BB6_3768 Depth=3
	v_bfe_u32 v7, v0, 23, 1
; %bb.5059:                             ;   in Loop: Header=BB6_3768 Depth=3
	s_or_b64 exec, exec, vcc
	v_lshrrev_b64 v[0:1], 21, v[0:1]
	v_cmp_gt_i32_e32 vcc, 32, v7
	v_cndmask_b32_e32 v1, 0, v1, vcc
	v_cndmask_b32_e32 v0, 3, v0, vcc
	v_cmp_eq_u64_e64 s[30:31], 0, v[0:1]
	v_min_i32_e32 v1, 31, v7
	v_cmp_eq_u32_e32 vcc, 0, v7
	v_lshlrev_b32_e32 v1, 2, v1
	v_and_or_b32 v0, v0, 3, v1
	s_and_b64 vcc, vcc, s[30:31]
	v_cndmask_b32_e64 v0, v0, 0, vcc
	v_or_b32_e32 v52, v0, v6
.LBB6_5060:                             ;   in Loop: Header=BB6_3768 Depth=3
	s_or_b64 exec, exec, s[72:73]
.LBB6_5061:                             ;   in Loop: Header=BB6_3768 Depth=3
	s_or_b64 exec, exec, s[70:71]
                                        ; implicit-def: $vgpr1
.LBB6_5062:                             ;   in Loop: Header=BB6_3768 Depth=3
	s_andn2_saveexec_b64 s[30:31], s[68:69]
; %bb.5063:                             ;   in Loop: Header=BB6_3768 Depth=3
	v_or_b32_sdwa v0, v1, s39 dst_sel:DWORD dst_unused:UNUSED_PAD src0_sel:BYTE_3 src1_sel:DWORD
	v_cmp_eq_u64_e32 vcc, 0, v[50:51]
	v_cndmask_b32_e32 v52, v0, v52, vcc
; %bb.5064:                             ;   in Loop: Header=BB6_3768 Depth=3
	s_or_b64 exec, exec, s[30:31]
	v_lshrrev_b32_e32 v6, 24, v2
	v_lshrrev_b32_e32 v0, 24, v10
	s_and_b64 vcc, exec, s[28:29]
	v_cmp_lt_u32_e64 s[30:31], s43, v2
	s_cbranch_vccnz .LBB6_5082
; %bb.5065:                             ;   in Loop: Header=BB6_3768 Depth=3
	v_mov_b32_e32 v7, 0
	v_mov_b32_e32 v1, 0
	s_and_saveexec_b64 s[68:69], s[30:31]
	s_cbranch_execz .LBB6_5073
; %bb.5066:                             ;   in Loop: Header=BB6_3768 Depth=3
	v_cmp_ne_u32_e32 vcc, s97, v6
	v_bfrev_b32_e32 v1, 1
	s_and_saveexec_b64 s[70:71], vcc
	s_cbranch_execz .LBB6_5072
; %bb.5067:                             ;   in Loop: Header=BB6_3768 Depth=3
	v_and_b32_e32 v1, 0x7c000000, v2
	v_bfe_u32 v8, v2, 24, 2
	v_cmp_ne_u32_e32 vcc, s37, v1
                                        ; implicit-def: $vgpr1
	s_and_saveexec_b64 s[72:73], vcc
	s_xor_b64 s[72:73], exec, s[72:73]
	s_cbranch_execz .LBB6_5069
; %bb.5068:                             ;   in Loop: Header=BB6_3768 Depth=3
	v_ffbh_u32_e32 v9, v8
	v_bfe_u32 v1, v2, 26, 5
	v_min_u32_e32 v9, 32, v9
	v_subrev_u32_e32 v50, 29, v9
	v_sub_u32_e32 v9, 30, v9
	v_cmp_eq_u32_e32 vcc, 0, v1
	v_lshlrev_b64 v[54:55], v50, v[6:7]
	v_cndmask_b32_e32 v1, v1, v9, vcc
	v_bfrev_b32_e32 v9, 28
	v_and_b32_e32 v50, 3, v54
	v_lshl_add_u32 v1, v1, 23, v9
	v_cndmask_b32_e32 v8, v8, v50, vcc
	v_and_or_b32 v1, v2, s96, v1
	v_lshl_or_b32 v1, v8, 21, v1
                                        ; implicit-def: $vgpr8
.LBB6_5069:                             ;   in Loop: Header=BB6_3768 Depth=3
	s_andn2_saveexec_b64 s[72:73], s[72:73]
; %bb.5070:                             ;   in Loop: Header=BB6_3768 Depth=3
	v_cmp_lt_i32_e32 vcc, -1, v2
	v_mov_b32_e32 v1, 0xc7600000
	v_mov_b32_e32 v9, 0x47600000
	v_cndmask_b32_e32 v1, v1, v9, vcc
	v_cmp_eq_u32_e32 vcc, 0, v8
	v_mov_b32_e32 v8, 0x7f800001
	v_cndmask_b32_e32 v1, v8, v1, vcc
; %bb.5071:                             ;   in Loop: Header=BB6_3768 Depth=3
	s_or_b64 exec, exec, s[72:73]
.LBB6_5072:                             ;   in Loop: Header=BB6_3768 Depth=3
	s_or_b64 exec, exec, s[70:71]
.LBB6_5073:                             ;   in Loop: Header=BB6_3768 Depth=3
	s_or_b64 exec, exec, s[68:69]
	v_cmp_lt_u32_e32 vcc, s43, v10
	s_and_saveexec_b64 s[68:69], vcc
	s_cbranch_execz .LBB6_5081
; %bb.5074:                             ;   in Loop: Header=BB6_3768 Depth=3
	v_cmp_ne_u32_e32 vcc, s97, v0
	v_bfrev_b32_e32 v7, 1
	s_and_saveexec_b64 s[70:71], vcc
	s_cbranch_execz .LBB6_5080
; %bb.5075:                             ;   in Loop: Header=BB6_3768 Depth=3
	v_and_b32_e32 v7, 0x7c000000, v10
	v_bfe_u32 v8, v10, 24, 2
	v_cmp_ne_u32_e32 vcc, s37, v7
                                        ; implicit-def: $vgpr7
	s_and_saveexec_b64 s[72:73], vcc
	s_xor_b64 s[72:73], exec, s[72:73]
	s_cbranch_execz .LBB6_5077
; %bb.5076:                             ;   in Loop: Header=BB6_3768 Depth=3
	v_ffbh_u32_e32 v9, v8
	v_bfe_u32 v7, v10, 26, 5
	v_min_u32_e32 v9, 32, v9
	v_subrev_u32_e32 v50, 29, v9
	v_sub_u32_e32 v9, 30, v9
	v_cmp_eq_u32_e32 vcc, 0, v7
	v_lshlrev_b64 v[54:55], v50, v[0:1]
	v_cndmask_b32_e32 v7, v7, v9, vcc
	v_bfrev_b32_e32 v9, 28
	v_and_b32_e32 v50, 3, v54
	v_lshl_add_u32 v7, v7, 23, v9
	v_cndmask_b32_e32 v8, v8, v50, vcc
	v_and_or_b32 v7, v10, s96, v7
	v_lshl_or_b32 v7, v8, 21, v7
                                        ; implicit-def: $vgpr8
.LBB6_5077:                             ;   in Loop: Header=BB6_3768 Depth=3
	s_andn2_saveexec_b64 s[72:73], s[72:73]
; %bb.5078:                             ;   in Loop: Header=BB6_3768 Depth=3
	v_cmp_lt_i32_e32 vcc, -1, v10
	v_mov_b32_e32 v7, 0xc7600000
	v_mov_b32_e32 v9, 0x47600000
	v_cndmask_b32_e32 v7, v7, v9, vcc
	v_cmp_eq_u32_e32 vcc, 0, v8
	v_mov_b32_e32 v8, 0x7f800001
	v_cndmask_b32_e32 v7, v8, v7, vcc
; %bb.5079:                             ;   in Loop: Header=BB6_3768 Depth=3
	s_or_b64 exec, exec, s[72:73]
.LBB6_5080:                             ;   in Loop: Header=BB6_3768 Depth=3
	s_or_b64 exec, exec, s[70:71]
.LBB6_5081:                             ;   in Loop: Header=BB6_3768 Depth=3
	s_or_b64 exec, exec, s[68:69]
	v_max_f32_e32 v7, v7, v7
	v_max_f32_e32 v1, v1, v1
	;; [unrolled: 1-line block ×3, first 2 shown]
	s_branch .LBB6_5100
.LBB6_5082:                             ;   in Loop: Header=BB6_3768 Depth=3
                                        ; implicit-def: $vgpr1
	s_cbranch_execz .LBB6_5100
; %bb.5083:                             ;   in Loop: Header=BB6_3768 Depth=3
	v_mov_b32_e32 v7, 0
	v_mov_b32_e32 v1, 0
	s_and_saveexec_b64 s[68:69], s[30:31]
	s_cbranch_execz .LBB6_5091
; %bb.5084:                             ;   in Loop: Header=BB6_3768 Depth=3
	v_cmp_ne_u32_e32 vcc, s97, v6
	v_bfrev_b32_e32 v1, 1
	s_and_saveexec_b64 s[30:31], vcc
	s_cbranch_execz .LBB6_5090
; %bb.5085:                             ;   in Loop: Header=BB6_3768 Depth=3
	v_and_b32_e32 v1, 0x7c000000, v2
	v_bfe_u32 v8, v2, 24, 2
	v_cmp_ne_u32_e32 vcc, s37, v1
                                        ; implicit-def: $vgpr1
	s_and_saveexec_b64 s[70:71], vcc
	s_xor_b64 s[70:71], exec, s[70:71]
	s_cbranch_execz .LBB6_5087
; %bb.5086:                             ;   in Loop: Header=BB6_3768 Depth=3
	v_ffbh_u32_e32 v9, v8
	v_min_u32_e32 v9, 32, v9
	v_subrev_u32_e32 v50, 29, v9
	v_bfe_u32 v1, v2, 26, 5
	v_lshlrev_b64 v[54:55], v50, v[6:7]
	v_sub_u32_e32 v6, 30, v9
	v_and_b32_e32 v9, 3, v54
	v_cmp_eq_u32_e32 vcc, 0, v1
	v_cndmask_b32_e32 v1, v1, v6, vcc
	v_cndmask_b32_e32 v6, v8, v9, vcc
	v_bfrev_b32_e32 v8, 28
	v_lshl_add_u32 v1, v1, 23, v8
	v_and_or_b32 v1, v2, s96, v1
	v_lshl_or_b32 v1, v6, 21, v1
                                        ; implicit-def: $vgpr8
.LBB6_5087:                             ;   in Loop: Header=BB6_3768 Depth=3
	s_andn2_saveexec_b64 s[70:71], s[70:71]
; %bb.5088:                             ;   in Loop: Header=BB6_3768 Depth=3
	v_cmp_lt_i32_e32 vcc, -1, v2
	v_mov_b32_e32 v1, 0xc7600000
	v_mov_b32_e32 v6, 0x47600000
	v_cndmask_b32_e32 v1, v1, v6, vcc
	v_cmp_eq_u32_e32 vcc, 0, v8
	v_mov_b32_e32 v6, 0x7f800001
	v_cndmask_b32_e32 v1, v6, v1, vcc
; %bb.5089:                             ;   in Loop: Header=BB6_3768 Depth=3
	s_or_b64 exec, exec, s[70:71]
.LBB6_5090:                             ;   in Loop: Header=BB6_3768 Depth=3
	s_or_b64 exec, exec, s[30:31]
.LBB6_5091:                             ;   in Loop: Header=BB6_3768 Depth=3
	s_or_b64 exec, exec, s[68:69]
	v_cmp_lt_u32_e32 vcc, s43, v10
	s_and_saveexec_b64 s[30:31], vcc
	s_cbranch_execz .LBB6_5099
; %bb.5092:                             ;   in Loop: Header=BB6_3768 Depth=3
	v_cmp_ne_u32_e32 vcc, s97, v0
	v_bfrev_b32_e32 v7, 1
	s_and_saveexec_b64 s[68:69], vcc
	s_cbranch_execz .LBB6_5098
; %bb.5093:                             ;   in Loop: Header=BB6_3768 Depth=3
	v_and_b32_e32 v7, 0x7c000000, v10
	v_bfe_u32 v6, v10, 24, 2
	v_cmp_ne_u32_e32 vcc, s37, v7
                                        ; implicit-def: $vgpr7
	s_and_saveexec_b64 s[70:71], vcc
	s_xor_b64 s[70:71], exec, s[70:71]
	s_cbranch_execz .LBB6_5095
; %bb.5094:                             ;   in Loop: Header=BB6_3768 Depth=3
	v_ffbh_u32_e32 v8, v6
	v_min_u32_e32 v50, 32, v8
	v_bfe_u32 v7, v10, 26, 5
	v_subrev_u32_e32 v8, 29, v50
	v_lshlrev_b64 v[8:9], v8, v[0:1]
	v_sub_u32_e32 v0, 30, v50
	v_cmp_eq_u32_e32 vcc, 0, v7
	v_cndmask_b32_e32 v0, v7, v0, vcc
	v_bfrev_b32_e32 v7, 28
	v_and_b32_e32 v8, 3, v8
	v_lshl_add_u32 v0, v0, 23, v7
	v_cndmask_b32_e32 v6, v6, v8, vcc
	v_and_or_b32 v0, v10, s96, v0
	v_lshl_or_b32 v7, v6, 21, v0
                                        ; implicit-def: $vgpr6
.LBB6_5095:                             ;   in Loop: Header=BB6_3768 Depth=3
	s_andn2_saveexec_b64 s[70:71], s[70:71]
; %bb.5096:                             ;   in Loop: Header=BB6_3768 Depth=3
	v_cmp_lt_i32_e32 vcc, -1, v10
	v_mov_b32_e32 v0, 0xc7600000
	v_mov_b32_e32 v7, 0x47600000
	v_cndmask_b32_e32 v0, v0, v7, vcc
	v_cmp_eq_u32_e32 vcc, 0, v6
	v_mov_b32_e32 v6, 0x7f800001
	v_cndmask_b32_e32 v7, v6, v0, vcc
; %bb.5097:                             ;   in Loop: Header=BB6_3768 Depth=3
	s_or_b64 exec, exec, s[70:71]
.LBB6_5098:                             ;   in Loop: Header=BB6_3768 Depth=3
	s_or_b64 exec, exec, s[68:69]
.LBB6_5099:                             ;   in Loop: Header=BB6_3768 Depth=3
	s_or_b64 exec, exec, s[30:31]
	v_max_f32_e32 v0, v7, v7
	v_max_f32_e32 v1, v1, v1
	v_min_f32_e32 v1, v1, v0
.LBB6_5100:                             ;   in Loop: Header=BB6_3768 Depth=3
	v_and_b32_sdwa v6, v1, s97 dst_sel:DWORD dst_unused:UNUSED_PAD src0_sel:BYTE_3 src1_sel:DWORD
	v_and_b32_e32 v8, 0x7f800000, v1
	v_mov_b32_e32 v9, v51
	v_and_b32_e32 v50, 0x7fffff, v1
	v_or_b32_e32 v53, 0x7b, v6
	v_cmp_ne_u64_e32 vcc, s[52:53], v[8:9]
	s_and_saveexec_b64 s[30:31], vcc
	s_xor_b64 s[68:69], exec, s[30:31]
	s_cbranch_execz .LBB6_5110
; %bb.5101:                             ;   in Loop: Header=BB6_3768 Depth=3
	v_and_b32_e32 v8, 0x7fffffff, v1
	v_mov_b32_e32 v9, v51
	v_cmp_gt_u64_e32 vcc, s[54:55], v[8:9]
	s_and_saveexec_b64 s[70:71], vcc
	s_cbranch_execz .LBB6_5109
; %bb.5102:                             ;   in Loop: Header=BB6_3768 Depth=3
	v_cmp_ne_u32_e32 vcc, 0, v1
	v_mov_b32_e32 v53, 0
	s_and_saveexec_b64 s[72:73], vcc
	s_cbranch_execz .LBB6_5108
; %bb.5103:                             ;   in Loop: Header=BB6_3768 Depth=3
	v_bfe_u32 v0, v1, 23, 8
	v_cmp_eq_u32_e32 vcc, 0, v0
	v_add_u32_e32 v1, 0xffffff81, v0
	v_cmp_gt_u32_e64 s[30:31], s38, v0
	v_sub_u32_e32 v0, 0x71, v0
	v_mov_b32_e32 v8, 0xffffff82
	v_cndmask_b32_e64 v0, 0, v0, s[30:31]
	v_cndmask_b32_e32 v53, v1, v8, vcc
	v_mov_b32_e32 v1, 0x70
	v_cndmask_b32_e32 v54, v0, v1, vcc
	v_add_u32_e32 v0, 21, v54
	v_or_b32_e32 v7, 0x800000, v50
	v_lshlrev_b64 v[0:1], v0, -1
	v_cndmask_b32_e32 v50, v7, v50, vcc
	v_not_b32_e32 v1, v1
	v_not_b32_e32 v0, v0
	v_add_u32_e32 v7, 20, v54
	v_and_b32_e32 v1, 0, v1
	v_and_b32_e32 v0, v50, v0
	v_lshlrev_b64 v[8:9], v7, 1
	v_cmp_eq_u64_e32 vcc, v[0:1], v[8:9]
	v_lshrrev_b64 v[0:1], v54, v[50:51]
	v_lshrrev_b32_e32 v7, 23, v0
	v_add3_u32 v9, v54, v53, v7
	v_bfe_u32 v7, v0, 21, 1
	v_add_u32_e32 v7, -1, v7
	v_cndmask_b32_e32 v7, 0, v7, vcc
	v_add_u32_e32 v7, v7, v0
	v_and_b32_e32 v7, 0x1fffff, v7
	v_add_co_u32_e32 v0, vcc, v7, v0
	v_add_u32_e32 v8, 14, v9
	v_addc_co_u32_e32 v1, vcc, 0, v1, vcc
	v_cmp_ne_u32_e32 vcc, 0, v8
                                        ; implicit-def: $vgpr7
	s_and_saveexec_b64 s[30:31], vcc
	s_xor_b64 s[30:31], exec, s[30:31]
; %bb.5104:                             ;   in Loop: Header=BB6_3768 Depth=3
	v_add_u32_e32 v7, 15, v9
	v_cmp_lt_u64_e32 vcc, s[56:57], v[0:1]
	v_cndmask_b32_e32 v7, v8, v7, vcc
	v_cndmask_b32_e64 v8, 0, 1, vcc
	v_lshrrev_b64 v[0:1], v8, v[0:1]
; %bb.5105:                             ;   in Loop: Header=BB6_3768 Depth=3
	s_andn2_saveexec_b64 vcc, s[30:31]
; %bb.5106:                             ;   in Loop: Header=BB6_3768 Depth=3
	v_bfe_u32 v7, v0, 23, 1
; %bb.5107:                             ;   in Loop: Header=BB6_3768 Depth=3
	s_or_b64 exec, exec, vcc
	v_lshrrev_b64 v[0:1], 21, v[0:1]
	v_cmp_gt_i32_e32 vcc, 32, v7
	v_cndmask_b32_e32 v1, 0, v1, vcc
	v_cndmask_b32_e32 v0, 3, v0, vcc
	v_cmp_eq_u64_e64 s[30:31], 0, v[0:1]
	v_min_i32_e32 v1, 31, v7
	v_cmp_eq_u32_e32 vcc, 0, v7
	v_lshlrev_b32_e32 v1, 2, v1
	v_and_or_b32 v0, v0, 3, v1
	s_and_b64 vcc, vcc, s[30:31]
	v_cndmask_b32_e64 v0, v0, 0, vcc
	v_or_b32_e32 v53, v0, v6
.LBB6_5108:                             ;   in Loop: Header=BB6_3768 Depth=3
	s_or_b64 exec, exec, s[72:73]
.LBB6_5109:                             ;   in Loop: Header=BB6_3768 Depth=3
	s_or_b64 exec, exec, s[70:71]
                                        ; implicit-def: $vgpr1
.LBB6_5110:                             ;   in Loop: Header=BB6_3768 Depth=3
	s_andn2_saveexec_b64 s[30:31], s[68:69]
; %bb.5111:                             ;   in Loop: Header=BB6_3768 Depth=3
	v_or_b32_sdwa v0, v1, s39 dst_sel:DWORD dst_unused:UNUSED_PAD src0_sel:BYTE_3 src1_sel:DWORD
	v_cmp_eq_u64_e32 vcc, 0, v[50:51]
	v_cndmask_b32_e32 v53, v0, v53, vcc
; %bb.5112:                             ;   in Loop: Header=BB6_3768 Depth=3
	s_or_b64 exec, exec, s[30:31]
	v_mov_b32_e32 v50, v3
	v_mov_b32_e32 v0, v11
	;; [unrolled: 1-line block ×3, first 2 shown]
	s_and_b64 vcc, exec, s[28:29]
	v_cmp_ne_u16_sdwa s[30:31], v3, v51 src0_sel:BYTE_0 src1_sel:DWORD
	s_cbranch_vccnz .LBB6_5130
; %bb.5113:                             ;   in Loop: Header=BB6_3768 Depth=3
	v_mov_b32_e32 v7, 0
	v_mov_b32_e32 v6, 0
	s_and_saveexec_b64 s[68:69], s[30:31]
	s_cbranch_execz .LBB6_5121
; %bb.5114:                             ;   in Loop: Header=BB6_3768 Depth=3
	v_cmp_ne_u16_sdwa vcc, v3, s97 src0_sel:BYTE_0 src1_sel:DWORD
	v_bfrev_b32_e32 v6, 1
	s_and_saveexec_b64 s[70:71], vcc
	s_cbranch_execz .LBB6_5120
; %bb.5115:                             ;   in Loop: Header=BB6_3768 Depth=3
	v_and_b32_e32 v6, 0x7c, v3
	v_and_b32_e32 v8, 3, v3
	v_cmp_ne_u32_e32 vcc, s95, v6
                                        ; implicit-def: $vgpr6
	s_and_saveexec_b64 s[72:73], vcc
	s_xor_b64 s[72:73], exec, s[72:73]
	s_cbranch_execz .LBB6_5117
; %bb.5116:                             ;   in Loop: Header=BB6_3768 Depth=3
	v_ffbh_u32_e32 v9, v8
	v_min_u32_e32 v9, 32, v9
	v_subrev_u32_e32 v54, 29, v9
	v_bfe_u32 v6, v3, 2, 5
	v_lshlrev_b64 v[54:55], v54, v[50:51]
	v_sub_u32_e32 v9, 30, v9
	v_and_b32_e32 v54, 3, v54
	v_cmp_eq_u32_e32 vcc, 0, v6
	v_cndmask_b32_e32 v6, v6, v9, vcc
	v_cndmask_b32_e32 v8, v8, v54, vcc
	v_bfrev_b32_e32 v54, 28
	v_lshlrev_b32_e32 v9, 24, v3
	v_lshl_add_u32 v6, v6, 23, v54
	v_and_or_b32 v6, v9, s96, v6
	v_lshl_or_b32 v6, v8, 21, v6
                                        ; implicit-def: $vgpr8
.LBB6_5117:                             ;   in Loop: Header=BB6_3768 Depth=3
	s_andn2_saveexec_b64 s[72:73], s[72:73]
; %bb.5118:                             ;   in Loop: Header=BB6_3768 Depth=3
	v_mov_b32_e32 v6, -1
	v_cmp_gt_i16_sdwa vcc, sext(v3), v6 src0_sel:BYTE_0 src1_sel:DWORD
	v_mov_b32_e32 v6, 0xc7600000
	v_mov_b32_e32 v9, 0x47600000
	v_cndmask_b32_e32 v6, v6, v9, vcc
	v_cmp_eq_u32_e32 vcc, 0, v8
	v_mov_b32_e32 v8, 0x7f800001
	v_cndmask_b32_e32 v6, v8, v6, vcc
; %bb.5119:                             ;   in Loop: Header=BB6_3768 Depth=3
	s_or_b64 exec, exec, s[72:73]
.LBB6_5120:                             ;   in Loop: Header=BB6_3768 Depth=3
	s_or_b64 exec, exec, s[70:71]
.LBB6_5121:                             ;   in Loop: Header=BB6_3768 Depth=3
	s_or_b64 exec, exec, s[68:69]
	v_cmp_ne_u16_sdwa vcc, v11, v51 src0_sel:BYTE_0 src1_sel:DWORD
	s_and_saveexec_b64 s[68:69], vcc
	s_cbranch_execz .LBB6_5129
; %bb.5122:                             ;   in Loop: Header=BB6_3768 Depth=3
	v_cmp_ne_u16_sdwa vcc, v11, s97 src0_sel:BYTE_0 src1_sel:DWORD
	v_bfrev_b32_e32 v7, 1
	s_and_saveexec_b64 s[70:71], vcc
	s_cbranch_execz .LBB6_5128
; %bb.5123:                             ;   in Loop: Header=BB6_3768 Depth=3
	v_and_b32_e32 v7, 0x7c, v11
	v_and_b32_e32 v8, 3, v11
	v_cmp_ne_u32_e32 vcc, s95, v7
                                        ; implicit-def: $vgpr7
	s_and_saveexec_b64 s[72:73], vcc
	s_xor_b64 s[72:73], exec, s[72:73]
	s_cbranch_execz .LBB6_5125
; %bb.5124:                             ;   in Loop: Header=BB6_3768 Depth=3
	v_ffbh_u32_e32 v9, v8
	v_min_u32_e32 v9, 32, v9
	v_subrev_u32_e32 v54, 29, v9
	v_bfe_u32 v7, v11, 2, 5
	v_lshlrev_b64 v[54:55], v54, v[0:1]
	v_sub_u32_e32 v9, 30, v9
	v_and_b32_e32 v54, 3, v54
	v_cmp_eq_u32_e32 vcc, 0, v7
	v_cndmask_b32_e32 v7, v7, v9, vcc
	v_cndmask_b32_e32 v8, v8, v54, vcc
	v_bfrev_b32_e32 v54, 28
	v_lshlrev_b32_e32 v9, 24, v11
	v_lshl_add_u32 v7, v7, 23, v54
	v_and_or_b32 v7, v9, s96, v7
	v_lshl_or_b32 v7, v8, 21, v7
                                        ; implicit-def: $vgpr8
.LBB6_5125:                             ;   in Loop: Header=BB6_3768 Depth=3
	s_andn2_saveexec_b64 s[72:73], s[72:73]
; %bb.5126:                             ;   in Loop: Header=BB6_3768 Depth=3
	v_mov_b32_e32 v7, -1
	v_cmp_gt_i16_sdwa vcc, sext(v11), v7 src0_sel:BYTE_0 src1_sel:DWORD
	v_mov_b32_e32 v7, 0xc7600000
	v_mov_b32_e32 v9, 0x47600000
	v_cndmask_b32_e32 v7, v7, v9, vcc
	v_cmp_eq_u32_e32 vcc, 0, v8
	v_mov_b32_e32 v8, 0x7f800001
	v_cndmask_b32_e32 v7, v8, v7, vcc
; %bb.5127:                             ;   in Loop: Header=BB6_3768 Depth=3
	s_or_b64 exec, exec, s[72:73]
.LBB6_5128:                             ;   in Loop: Header=BB6_3768 Depth=3
	s_or_b64 exec, exec, s[70:71]
.LBB6_5129:                             ;   in Loop: Header=BB6_3768 Depth=3
	s_or_b64 exec, exec, s[68:69]
	v_max_f32_e32 v7, v7, v7
	v_max_f32_e32 v6, v6, v6
	;; [unrolled: 1-line block ×3, first 2 shown]
	s_branch .LBB6_5148
.LBB6_5130:                             ;   in Loop: Header=BB6_3768 Depth=3
                                        ; implicit-def: $vgpr8
	s_cbranch_execz .LBB6_5148
; %bb.5131:                             ;   in Loop: Header=BB6_3768 Depth=3
	v_mov_b32_e32 v7, 0
	v_mov_b32_e32 v6, 0
	s_and_saveexec_b64 s[68:69], s[30:31]
	s_cbranch_execz .LBB6_5139
; %bb.5132:                             ;   in Loop: Header=BB6_3768 Depth=3
	v_cmp_ne_u16_sdwa vcc, v3, s97 src0_sel:BYTE_0 src1_sel:DWORD
	v_bfrev_b32_e32 v6, 1
	s_and_saveexec_b64 s[30:31], vcc
	s_cbranch_execz .LBB6_5138
; %bb.5133:                             ;   in Loop: Header=BB6_3768 Depth=3
	v_and_b32_e32 v6, 0x7c, v3
	v_and_b32_e32 v8, 3, v3
	v_cmp_ne_u32_e32 vcc, s95, v6
                                        ; implicit-def: $vgpr6
	s_and_saveexec_b64 s[70:71], vcc
	s_xor_b64 s[70:71], exec, s[70:71]
	s_cbranch_execz .LBB6_5135
; %bb.5134:                             ;   in Loop: Header=BB6_3768 Depth=3
	v_ffbh_u32_e32 v9, v8
	v_min_u32_e32 v9, 32, v9
	v_subrev_u32_e32 v54, 29, v9
	v_bfe_u32 v6, v3, 2, 5
	v_lshlrev_b64 v[54:55], v54, v[50:51]
	v_sub_u32_e32 v9, 30, v9
	v_and_b32_e32 v54, 3, v54
	v_cmp_eq_u32_e32 vcc, 0, v6
	v_cndmask_b32_e32 v6, v6, v9, vcc
	v_cndmask_b32_e32 v8, v8, v54, vcc
	v_bfrev_b32_e32 v54, 28
	v_lshlrev_b32_e32 v9, 24, v3
	v_lshl_add_u32 v6, v6, 23, v54
	v_and_or_b32 v6, v9, s96, v6
	v_lshl_or_b32 v6, v8, 21, v6
                                        ; implicit-def: $vgpr8
.LBB6_5135:                             ;   in Loop: Header=BB6_3768 Depth=3
	s_andn2_saveexec_b64 s[70:71], s[70:71]
; %bb.5136:                             ;   in Loop: Header=BB6_3768 Depth=3
	v_mov_b32_e32 v6, -1
	v_cmp_gt_i16_sdwa vcc, sext(v3), v6 src0_sel:BYTE_0 src1_sel:DWORD
	v_mov_b32_e32 v6, 0xc7600000
	v_mov_b32_e32 v9, 0x47600000
	v_cndmask_b32_e32 v6, v6, v9, vcc
	v_cmp_eq_u32_e32 vcc, 0, v8
	v_mov_b32_e32 v8, 0x7f800001
	v_cndmask_b32_e32 v6, v8, v6, vcc
; %bb.5137:                             ;   in Loop: Header=BB6_3768 Depth=3
	s_or_b64 exec, exec, s[70:71]
.LBB6_5138:                             ;   in Loop: Header=BB6_3768 Depth=3
	s_or_b64 exec, exec, s[30:31]
.LBB6_5139:                             ;   in Loop: Header=BB6_3768 Depth=3
	s_or_b64 exec, exec, s[68:69]
	v_cmp_ne_u16_sdwa vcc, v11, v51 src0_sel:BYTE_0 src1_sel:DWORD
	s_and_saveexec_b64 s[30:31], vcc
	s_cbranch_execz .LBB6_5147
; %bb.5140:                             ;   in Loop: Header=BB6_3768 Depth=3
	v_cmp_ne_u16_sdwa vcc, v11, s97 src0_sel:BYTE_0 src1_sel:DWORD
	v_bfrev_b32_e32 v7, 1
	s_and_saveexec_b64 s[68:69], vcc
	s_cbranch_execz .LBB6_5146
; %bb.5141:                             ;   in Loop: Header=BB6_3768 Depth=3
	v_and_b32_e32 v7, 0x7c, v11
	v_and_b32_e32 v8, 3, v11
	v_cmp_ne_u32_e32 vcc, s95, v7
                                        ; implicit-def: $vgpr7
	s_and_saveexec_b64 s[70:71], vcc
	s_xor_b64 s[70:71], exec, s[70:71]
	s_cbranch_execz .LBB6_5143
; %bb.5142:                             ;   in Loop: Header=BB6_3768 Depth=3
	v_ffbh_u32_e32 v9, v8
	v_min_u32_e32 v9, 32, v9
	v_subrev_u32_e32 v54, 29, v9
	v_bfe_u32 v7, v11, 2, 5
	v_lshlrev_b64 v[54:55], v54, v[0:1]
	v_sub_u32_e32 v1, 30, v9
	v_and_b32_e32 v9, 3, v54
	v_cmp_eq_u32_e32 vcc, 0, v7
	v_cndmask_b32_e32 v1, v7, v1, vcc
	v_cndmask_b32_e32 v7, v8, v9, vcc
	v_bfrev_b32_e32 v9, 28
	v_lshlrev_b32_e32 v8, 24, v11
	v_lshl_add_u32 v1, v1, 23, v9
	v_and_or_b32 v1, v8, s96, v1
	v_lshl_or_b32 v7, v7, 21, v1
                                        ; implicit-def: $vgpr8
.LBB6_5143:                             ;   in Loop: Header=BB6_3768 Depth=3
	s_andn2_saveexec_b64 s[70:71], s[70:71]
; %bb.5144:                             ;   in Loop: Header=BB6_3768 Depth=3
	v_mov_b32_e32 v1, -1
	v_cmp_gt_i16_sdwa vcc, sext(v11), v1 src0_sel:BYTE_0 src1_sel:DWORD
	v_mov_b32_e32 v1, 0xc7600000
	v_mov_b32_e32 v7, 0x47600000
	v_cndmask_b32_e32 v1, v1, v7, vcc
	v_cmp_eq_u32_e32 vcc, 0, v8
	v_mov_b32_e32 v7, 0x7f800001
	v_cndmask_b32_e32 v7, v7, v1, vcc
; %bb.5145:                             ;   in Loop: Header=BB6_3768 Depth=3
	s_or_b64 exec, exec, s[70:71]
.LBB6_5146:                             ;   in Loop: Header=BB6_3768 Depth=3
	s_or_b64 exec, exec, s[68:69]
.LBB6_5147:                             ;   in Loop: Header=BB6_3768 Depth=3
	s_or_b64 exec, exec, s[30:31]
	v_max_f32_e32 v1, v7, v7
	v_max_f32_e32 v6, v6, v6
	v_min_f32_e32 v8, v6, v1
.LBB6_5148:                             ;   in Loop: Header=BB6_3768 Depth=3
	v_and_b32_sdwa v1, v8, s97 dst_sel:DWORD dst_unused:UNUSED_PAD src0_sel:BYTE_3 src1_sel:DWORD
	v_and_b32_e32 v42, 0x7f800000, v8
	v_mov_b32_e32 v43, v51
	v_and_b32_e32 v6, 0x7fffff, v8
	v_mov_b32_e32 v7, v51
	v_or_b32_e32 v54, 0x7b, v1
	v_cmp_ne_u64_e32 vcc, s[52:53], v[42:43]
	s_and_saveexec_b64 s[30:31], vcc
	s_xor_b64 s[68:69], exec, s[30:31]
	s_cbranch_execz .LBB6_5158
; %bb.5149:                             ;   in Loop: Header=BB6_3768 Depth=3
	v_and_b32_e32 v42, 0x7fffffff, v8
	v_mov_b32_e32 v43, v51
	v_cmp_gt_u64_e32 vcc, s[54:55], v[42:43]
	s_and_saveexec_b64 s[70:71], vcc
	s_cbranch_execz .LBB6_5157
; %bb.5150:                             ;   in Loop: Header=BB6_3768 Depth=3
	v_cmp_ne_u32_e32 vcc, 0, v8
	v_mov_b32_e32 v54, 0
	s_and_saveexec_b64 s[72:73], vcc
	s_cbranch_execz .LBB6_5156
; %bb.5151:                             ;   in Loop: Header=BB6_3768 Depth=3
	v_bfe_u32 v8, v8, 23, 8
	v_cmp_eq_u32_e32 vcc, 0, v8
	v_add_u32_e32 v9, 0xffffff81, v8
	v_cmp_gt_u32_e64 s[30:31], s38, v8
	v_sub_u32_e32 v8, 0x71, v8
	v_mov_b32_e32 v55, 0xffffff82
	v_cndmask_b32_e64 v8, 0, v8, s[30:31]
	v_cndmask_b32_e32 v42, v9, v55, vcc
	v_mov_b32_e32 v9, 0x70
	v_cndmask_b32_e32 v43, v8, v9, vcc
	v_add_u32_e32 v8, 21, v43
	v_or_b32_e32 v54, 0x800000, v6
	v_lshlrev_b64 v[8:9], v8, -1
	v_cndmask_b32_e32 v6, v54, v6, vcc
	v_not_b32_e32 v9, v9
	v_not_b32_e32 v8, v8
	v_add_u32_e32 v54, 20, v43
	v_and_b32_e32 v9, 0, v9
	v_and_b32_e32 v8, v6, v8
	v_lshlrev_b64 v[54:55], v54, 1
	v_lshrrev_b64 v[6:7], v43, v[6:7]
	v_cmp_eq_u64_e32 vcc, v[8:9], v[54:55]
	v_lshrrev_b32_e32 v8, 23, v6
	v_add3_u32 v54, v43, v42, v8
	v_bfe_u32 v8, v6, 21, 1
	v_add_u32_e32 v8, -1, v8
	v_cndmask_b32_e32 v8, 0, v8, vcc
	v_add_u32_e32 v8, v8, v6
	v_and_b32_e32 v8, 0x1fffff, v8
	v_add_co_u32_e32 v6, vcc, v8, v6
	v_add_u32_e32 v9, 14, v54
	v_addc_co_u32_e32 v7, vcc, 0, v7, vcc
	v_cmp_ne_u32_e32 vcc, 0, v9
                                        ; implicit-def: $vgpr8
	s_and_saveexec_b64 s[30:31], vcc
	s_xor_b64 s[30:31], exec, s[30:31]
; %bb.5152:                             ;   in Loop: Header=BB6_3768 Depth=3
	v_add_u32_e32 v8, 15, v54
	v_cmp_lt_u64_e32 vcc, s[56:57], v[6:7]
	v_cndmask_b32_e32 v8, v9, v8, vcc
	v_cndmask_b32_e64 v9, 0, 1, vcc
	v_lshrrev_b64 v[6:7], v9, v[6:7]
; %bb.5153:                             ;   in Loop: Header=BB6_3768 Depth=3
	s_andn2_saveexec_b64 vcc, s[30:31]
; %bb.5154:                             ;   in Loop: Header=BB6_3768 Depth=3
	v_bfe_u32 v8, v6, 23, 1
; %bb.5155:                             ;   in Loop: Header=BB6_3768 Depth=3
	s_or_b64 exec, exec, vcc
	v_lshrrev_b64 v[6:7], 21, v[6:7]
	v_cmp_gt_i32_e32 vcc, 32, v8
	v_cndmask_b32_e32 v7, 0, v7, vcc
	v_cndmask_b32_e32 v6, 3, v6, vcc
	v_cmp_eq_u64_e64 s[30:31], 0, v[6:7]
	v_min_i32_e32 v7, 31, v8
	v_cmp_eq_u32_e32 vcc, 0, v8
	v_lshlrev_b32_e32 v7, 2, v7
	v_and_or_b32 v6, v6, 3, v7
	s_and_b64 vcc, vcc, s[30:31]
	v_cndmask_b32_e64 v6, v6, 0, vcc
	v_or_b32_e32 v54, v6, v1
.LBB6_5156:                             ;   in Loop: Header=BB6_3768 Depth=3
	s_or_b64 exec, exec, s[72:73]
.LBB6_5157:                             ;   in Loop: Header=BB6_3768 Depth=3
	s_or_b64 exec, exec, s[70:71]
                                        ; implicit-def: $vgpr8
                                        ; implicit-def: $vgpr6_vgpr7
.LBB6_5158:                             ;   in Loop: Header=BB6_3768 Depth=3
	s_andn2_saveexec_b64 s[30:31], s[68:69]
; %bb.5159:                             ;   in Loop: Header=BB6_3768 Depth=3
	v_or_b32_sdwa v1, v8, s39 dst_sel:DWORD dst_unused:UNUSED_PAD src0_sel:BYTE_3 src1_sel:DWORD
	v_cmp_eq_u64_e32 vcc, 0, v[6:7]
	v_cndmask_b32_e32 v54, v1, v54, vcc
; %bb.5160:                             ;   in Loop: Header=BB6_3768 Depth=3
	s_or_b64 exec, exec, s[30:31]
	v_lshrrev_b16_e32 v8, 8, v50
	v_lshrrev_b16_e32 v6, 8, v0
	s_and_b64 vcc, exec, s[28:29]
	v_cmp_ne_u16_e64 s[30:31], 0, v8
	s_cbranch_vccnz .LBB6_5178
; %bb.5161:                             ;   in Loop: Header=BB6_3768 Depth=3
	v_mov_b32_e32 v7, 0
	v_mov_b32_e32 v1, 0
	s_and_saveexec_b64 s[68:69], s[30:31]
	s_cbranch_execz .LBB6_5169
; %bb.5162:                             ;   in Loop: Header=BB6_3768 Depth=3
	v_cmp_ne_u16_e32 vcc, s97, v8
	v_bfrev_b32_e32 v1, 1
	s_and_saveexec_b64 s[70:71], vcc
	s_cbranch_execz .LBB6_5168
; %bb.5163:                             ;   in Loop: Header=BB6_3768 Depth=3
	v_and_b32_e32 v1, 0x7c, v8
	v_and_b32_e32 v55, 3, v8
	v_cmp_ne_u32_e32 vcc, s95, v1
                                        ; implicit-def: $vgpr1
	s_and_saveexec_b64 s[72:73], vcc
	s_xor_b64 s[72:73], exec, s[72:73]
	s_cbranch_execz .LBB6_5165
; %bb.5164:                             ;   in Loop: Header=BB6_3768 Depth=3
	v_ffbh_u32_e32 v42, v55
	v_min_u32_e32 v44, 32, v42
	v_mov_b32_e32 v9, v51
	v_subrev_u32_e32 v42, 29, v44
	v_bfe_u32 v1, v8, 2, 5
	v_lshlrev_b64 v[42:43], v42, v[8:9]
	v_sub_u32_e32 v9, 30, v44
	v_and_b32_e32 v42, 3, v42
	v_cmp_eq_u32_e32 vcc, 0, v1
	v_cndmask_b32_e32 v1, v1, v9, vcc
	v_cndmask_b32_e32 v9, v55, v42, vcc
	v_bfrev_b32_e32 v42, 28
	v_lshlrev_b32_e32 v55, 16, v50
	v_lshl_add_u32 v1, v1, 23, v42
	v_and_or_b32 v1, v55, s96, v1
	v_accvgpr_read_b32 v44, a11
	v_lshl_or_b32 v1, v9, 21, v1
                                        ; implicit-def: $vgpr55
.LBB6_5165:                             ;   in Loop: Header=BB6_3768 Depth=3
	s_andn2_saveexec_b64 s[72:73], s[72:73]
; %bb.5166:                             ;   in Loop: Header=BB6_3768 Depth=3
	v_cmp_lt_i16_e32 vcc, -1, v50
	v_mov_b32_e32 v1, 0xc7600000
	v_mov_b32_e32 v9, 0x47600000
	v_cndmask_b32_e32 v1, v1, v9, vcc
	v_cmp_eq_u32_e32 vcc, 0, v55
	v_mov_b32_e32 v9, 0x7f800001
	v_cndmask_b32_e32 v1, v9, v1, vcc
; %bb.5167:                             ;   in Loop: Header=BB6_3768 Depth=3
	s_or_b64 exec, exec, s[72:73]
.LBB6_5168:                             ;   in Loop: Header=BB6_3768 Depth=3
	s_or_b64 exec, exec, s[70:71]
.LBB6_5169:                             ;   in Loop: Header=BB6_3768 Depth=3
	s_or_b64 exec, exec, s[68:69]
	v_cmp_ne_u16_e32 vcc, 0, v6
	s_and_saveexec_b64 s[68:69], vcc
	s_cbranch_execz .LBB6_5177
; %bb.5170:                             ;   in Loop: Header=BB6_3768 Depth=3
	v_cmp_ne_u16_e32 vcc, s97, v6
	v_bfrev_b32_e32 v7, 1
	s_and_saveexec_b64 s[70:71], vcc
	s_cbranch_execz .LBB6_5176
; %bb.5171:                             ;   in Loop: Header=BB6_3768 Depth=3
	v_and_b32_e32 v7, 0x7c, v6
	v_and_b32_e32 v9, 3, v6
	v_cmp_ne_u32_e32 vcc, s95, v7
                                        ; implicit-def: $vgpr7
	s_and_saveexec_b64 s[72:73], vcc
	s_xor_b64 s[72:73], exec, s[72:73]
	s_cbranch_execz .LBB6_5173
; %bb.5172:                             ;   in Loop: Header=BB6_3768 Depth=3
	v_ffbh_u32_e32 v42, v9
	v_min_u32_e32 v44, 32, v42
	v_mov_b32_e32 v7, v51
	v_subrev_u32_e32 v42, 29, v44
	v_bfe_u32 v55, v6, 2, 5
	v_lshlrev_b64 v[42:43], v42, v[6:7]
	v_sub_u32_e32 v7, 30, v44
	v_and_b32_e32 v42, 3, v42
	v_cmp_eq_u32_e32 vcc, 0, v55
	v_cndmask_b32_e32 v7, v55, v7, vcc
	v_cndmask_b32_e32 v9, v9, v42, vcc
	v_bfrev_b32_e32 v42, 28
	v_lshlrev_b32_e32 v55, 16, v0
	v_lshl_add_u32 v7, v7, 23, v42
	v_and_or_b32 v7, v55, s96, v7
	v_accvgpr_read_b32 v44, a11
	v_lshl_or_b32 v7, v9, 21, v7
                                        ; implicit-def: $vgpr9
.LBB6_5173:                             ;   in Loop: Header=BB6_3768 Depth=3
	s_andn2_saveexec_b64 s[72:73], s[72:73]
; %bb.5174:                             ;   in Loop: Header=BB6_3768 Depth=3
	v_cmp_lt_i16_e32 vcc, -1, v0
	v_mov_b32_e32 v7, 0xc7600000
	v_mov_b32_e32 v55, 0x47600000
	v_cndmask_b32_e32 v7, v7, v55, vcc
	v_cmp_eq_u32_e32 vcc, 0, v9
	v_mov_b32_e32 v9, 0x7f800001
	v_cndmask_b32_e32 v7, v9, v7, vcc
; %bb.5175:                             ;   in Loop: Header=BB6_3768 Depth=3
	s_or_b64 exec, exec, s[72:73]
.LBB6_5176:                             ;   in Loop: Header=BB6_3768 Depth=3
	s_or_b64 exec, exec, s[70:71]
.LBB6_5177:                             ;   in Loop: Header=BB6_3768 Depth=3
	s_or_b64 exec, exec, s[68:69]
	v_max_f32_e32 v7, v7, v7
	v_max_f32_e32 v1, v1, v1
	;; [unrolled: 1-line block ×3, first 2 shown]
	s_branch .LBB6_5196
.LBB6_5178:                             ;   in Loop: Header=BB6_3768 Depth=3
                                        ; implicit-def: $vgpr1
	s_cbranch_execz .LBB6_5196
; %bb.5179:                             ;   in Loop: Header=BB6_3768 Depth=3
	v_mov_b32_e32 v7, 0
	v_mov_b32_e32 v9, 0
	s_and_saveexec_b64 s[68:69], s[30:31]
	s_cbranch_execz .LBB6_5187
; %bb.5180:                             ;   in Loop: Header=BB6_3768 Depth=3
	v_cmp_ne_u16_e32 vcc, s97, v8
	v_bfrev_b32_e32 v9, 1
	s_and_saveexec_b64 s[30:31], vcc
	s_cbranch_execz .LBB6_5186
; %bb.5181:                             ;   in Loop: Header=BB6_3768 Depth=3
	v_and_b32_e32 v9, 0x7c, v8
	v_and_b32_e32 v1, 3, v8
	v_cmp_ne_u32_e32 vcc, s95, v9
                                        ; implicit-def: $vgpr9
	s_and_saveexec_b64 s[70:71], vcc
	s_xor_b64 s[70:71], exec, s[70:71]
	s_cbranch_execz .LBB6_5183
; %bb.5182:                             ;   in Loop: Header=BB6_3768 Depth=3
	v_ffbh_u32_e32 v42, v1
	v_min_u32_e32 v42, 32, v42
	v_mov_b32_e32 v9, v51
	v_subrev_u32_e32 v43, 29, v42
	v_bfe_u32 v55, v8, 2, 5
	v_lshlrev_b64 v[8:9], v43, v[8:9]
	v_sub_u32_e32 v9, 30, v42
	v_and_b32_e32 v8, 3, v8
	v_cmp_eq_u32_e32 vcc, 0, v55
	v_cndmask_b32_e32 v9, v55, v9, vcc
	v_cndmask_b32_e32 v1, v1, v8, vcc
	v_lshlrev_b32_e32 v8, 16, v50
	v_bfrev_b32_e32 v50, 28
	v_lshl_add_u32 v9, v9, 23, v50
	v_and_or_b32 v8, v8, s96, v9
	v_lshl_or_b32 v9, v1, 21, v8
                                        ; implicit-def: $vgpr1
.LBB6_5183:                             ;   in Loop: Header=BB6_3768 Depth=3
	s_andn2_saveexec_b64 s[70:71], s[70:71]
; %bb.5184:                             ;   in Loop: Header=BB6_3768 Depth=3
	v_cmp_lt_i16_e32 vcc, -1, v50
	v_mov_b32_e32 v8, 0xc7600000
	v_mov_b32_e32 v9, 0x47600000
	v_cndmask_b32_e32 v8, v8, v9, vcc
	v_cmp_eq_u32_e32 vcc, 0, v1
	v_mov_b32_e32 v1, 0x7f800001
	v_cndmask_b32_e32 v9, v1, v8, vcc
; %bb.5185:                             ;   in Loop: Header=BB6_3768 Depth=3
	s_or_b64 exec, exec, s[70:71]
.LBB6_5186:                             ;   in Loop: Header=BB6_3768 Depth=3
	s_or_b64 exec, exec, s[30:31]
.LBB6_5187:                             ;   in Loop: Header=BB6_3768 Depth=3
	s_or_b64 exec, exec, s[68:69]
	v_cmp_ne_u16_e32 vcc, 0, v6
	s_and_saveexec_b64 s[30:31], vcc
	s_cbranch_execz .LBB6_5195
; %bb.5188:                             ;   in Loop: Header=BB6_3768 Depth=3
	v_cmp_ne_u16_e32 vcc, s97, v6
	v_bfrev_b32_e32 v7, 1
	s_and_saveexec_b64 s[68:69], vcc
	s_cbranch_execz .LBB6_5194
; %bb.5189:                             ;   in Loop: Header=BB6_3768 Depth=3
	v_and_b32_e32 v1, 0x7c, v6
	v_and_b32_e32 v8, 3, v6
	v_cmp_ne_u32_e32 vcc, s95, v1
                                        ; implicit-def: $vgpr7
	s_and_saveexec_b64 s[70:71], vcc
	s_xor_b64 s[70:71], exec, s[70:71]
	s_cbranch_execz .LBB6_5191
; %bb.5190:                             ;   in Loop: Header=BB6_3768 Depth=3
	v_ffbh_u32_e32 v50, v8
	v_min_u32_e32 v50, 32, v50
	v_mov_b32_e32 v7, v51
	v_subrev_u32_e32 v55, 29, v50
	v_bfe_u32 v1, v6, 2, 5
	v_lshlrev_b64 v[6:7], v55, v[6:7]
	v_sub_u32_e32 v7, 30, v50
	v_cmp_eq_u32_e32 vcc, 0, v1
	v_cndmask_b32_e32 v1, v1, v7, vcc
	v_bfrev_b32_e32 v7, 28
	v_and_b32_e32 v6, 3, v6
	v_lshlrev_b32_e32 v0, 16, v0
	v_lshl_add_u32 v1, v1, 23, v7
	v_cndmask_b32_e32 v6, v8, v6, vcc
	v_and_or_b32 v0, v0, s96, v1
	v_lshl_or_b32 v7, v6, 21, v0
                                        ; implicit-def: $vgpr8
                                        ; implicit-def: $vgpr0_vgpr1
.LBB6_5191:                             ;   in Loop: Header=BB6_3768 Depth=3
	s_andn2_saveexec_b64 s[70:71], s[70:71]
; %bb.5192:                             ;   in Loop: Header=BB6_3768 Depth=3
	v_cmp_lt_i16_e32 vcc, -1, v0
	v_mov_b32_e32 v0, 0xc7600000
	v_mov_b32_e32 v1, 0x47600000
	v_cndmask_b32_e32 v0, v0, v1, vcc
	v_cmp_eq_u32_e32 vcc, 0, v8
	v_mov_b32_e32 v1, 0x7f800001
	v_cndmask_b32_e32 v7, v1, v0, vcc
; %bb.5193:                             ;   in Loop: Header=BB6_3768 Depth=3
	s_or_b64 exec, exec, s[70:71]
.LBB6_5194:                             ;   in Loop: Header=BB6_3768 Depth=3
	s_or_b64 exec, exec, s[68:69]
.LBB6_5195:                             ;   in Loop: Header=BB6_3768 Depth=3
	s_or_b64 exec, exec, s[30:31]
	v_max_f32_e32 v0, v7, v7
	v_max_f32_e32 v1, v9, v9
	v_min_f32_e32 v1, v1, v0
.LBB6_5196:                             ;   in Loop: Header=BB6_3768 Depth=3
	v_and_b32_sdwa v6, v1, s97 dst_sel:DWORD dst_unused:UNUSED_PAD src0_sel:BYTE_3 src1_sel:DWORD
	v_and_b32_e32 v8, 0x7f800000, v1
	v_mov_b32_e32 v9, v51
	v_and_b32_e32 v50, 0x7fffff, v1
	v_or_b32_e32 v7, 0x7b, v6
	v_cmp_ne_u64_e32 vcc, s[52:53], v[8:9]
	s_and_saveexec_b64 s[30:31], vcc
	s_xor_b64 s[68:69], exec, s[30:31]
	s_cbranch_execz .LBB6_5206
; %bb.5197:                             ;   in Loop: Header=BB6_3768 Depth=3
	v_and_b32_e32 v8, 0x7fffffff, v1
	v_mov_b32_e32 v9, v51
	v_cmp_gt_u64_e32 vcc, s[54:55], v[8:9]
	s_and_saveexec_b64 s[70:71], vcc
	s_cbranch_execz .LBB6_5205
; %bb.5198:                             ;   in Loop: Header=BB6_3768 Depth=3
	v_cmp_ne_u32_e32 vcc, 0, v1
	v_mov_b32_e32 v7, 0
	s_and_saveexec_b64 s[72:73], vcc
	s_cbranch_execz .LBB6_5204
; %bb.5199:                             ;   in Loop: Header=BB6_3768 Depth=3
	v_bfe_u32 v0, v1, 23, 8
	v_cmp_eq_u32_e32 vcc, 0, v0
	v_add_u32_e32 v1, 0xffffff81, v0
	v_cmp_gt_u32_e64 s[30:31], s38, v0
	v_sub_u32_e32 v0, 0x71, v0
	v_mov_b32_e32 v8, 0xffffff82
	v_cndmask_b32_e64 v0, 0, v0, s[30:31]
	v_cndmask_b32_e32 v55, v1, v8, vcc
	v_mov_b32_e32 v1, 0x70
	v_cndmask_b32_e32 v42, v0, v1, vcc
	v_add_u32_e32 v0, 21, v42
	v_or_b32_e32 v7, 0x800000, v50
	v_lshlrev_b64 v[0:1], v0, -1
	v_cndmask_b32_e32 v50, v7, v50, vcc
	v_not_b32_e32 v1, v1
	v_not_b32_e32 v0, v0
	v_add_u32_e32 v7, 20, v42
	v_and_b32_e32 v1, 0, v1
	v_and_b32_e32 v0, v50, v0
	v_lshlrev_b64 v[8:9], v7, 1
	v_cmp_eq_u64_e32 vcc, v[0:1], v[8:9]
	v_lshrrev_b64 v[0:1], v42, v[50:51]
	v_lshrrev_b32_e32 v7, 23, v0
	v_add3_u32 v9, v42, v55, v7
	v_bfe_u32 v7, v0, 21, 1
	v_add_u32_e32 v7, -1, v7
	v_cndmask_b32_e32 v7, 0, v7, vcc
	v_add_u32_e32 v7, v7, v0
	v_and_b32_e32 v7, 0x1fffff, v7
	v_add_co_u32_e32 v0, vcc, v7, v0
	v_add_u32_e32 v8, 14, v9
	v_addc_co_u32_e32 v1, vcc, 0, v1, vcc
	v_cmp_ne_u32_e32 vcc, 0, v8
                                        ; implicit-def: $vgpr7
	s_and_saveexec_b64 s[30:31], vcc
	s_xor_b64 s[30:31], exec, s[30:31]
; %bb.5200:                             ;   in Loop: Header=BB6_3768 Depth=3
	v_add_u32_e32 v7, 15, v9
	v_cmp_lt_u64_e32 vcc, s[56:57], v[0:1]
	v_cndmask_b32_e32 v7, v8, v7, vcc
	v_cndmask_b32_e64 v8, 0, 1, vcc
	v_lshrrev_b64 v[0:1], v8, v[0:1]
; %bb.5201:                             ;   in Loop: Header=BB6_3768 Depth=3
	s_andn2_saveexec_b64 vcc, s[30:31]
; %bb.5202:                             ;   in Loop: Header=BB6_3768 Depth=3
	v_bfe_u32 v7, v0, 23, 1
; %bb.5203:                             ;   in Loop: Header=BB6_3768 Depth=3
	s_or_b64 exec, exec, vcc
	v_lshrrev_b64 v[0:1], 21, v[0:1]
	v_cmp_gt_i32_e32 vcc, 32, v7
	v_cndmask_b32_e32 v1, 0, v1, vcc
	v_cndmask_b32_e32 v0, 3, v0, vcc
	v_cmp_eq_u64_e64 s[30:31], 0, v[0:1]
	v_min_i32_e32 v1, 31, v7
	v_cmp_eq_u32_e32 vcc, 0, v7
	v_lshlrev_b32_e32 v1, 2, v1
	v_and_or_b32 v0, v0, 3, v1
	s_and_b64 vcc, vcc, s[30:31]
	v_cndmask_b32_e64 v0, v0, 0, vcc
	v_or_b32_e32 v7, v0, v6
.LBB6_5204:                             ;   in Loop: Header=BB6_3768 Depth=3
	s_or_b64 exec, exec, s[72:73]
.LBB6_5205:                             ;   in Loop: Header=BB6_3768 Depth=3
	s_or_b64 exec, exec, s[70:71]
                                        ; implicit-def: $vgpr1
.LBB6_5206:                             ;   in Loop: Header=BB6_3768 Depth=3
	s_andn2_saveexec_b64 s[30:31], s[68:69]
; %bb.5207:                             ;   in Loop: Header=BB6_3768 Depth=3
	v_or_b32_sdwa v0, v1, s39 dst_sel:DWORD dst_unused:UNUSED_PAD src0_sel:BYTE_3 src1_sel:DWORD
	v_cmp_eq_u64_e32 vcc, 0, v[50:51]
	v_cndmask_b32_e32 v7, v0, v7, vcc
; %bb.5208:                             ;   in Loop: Header=BB6_3768 Depth=3
	s_or_b64 exec, exec, s[30:31]
	v_lshrrev_b32_e32 v6, 16, v3
	v_lshrrev_b32_e32 v0, 16, v11
	s_and_b64 vcc, exec, s[28:29]
	v_cmp_ne_u16_sdwa s[30:31], v6, v51 src0_sel:BYTE_0 src1_sel:DWORD
	s_cbranch_vccnz .LBB6_5226
; %bb.5209:                             ;   in Loop: Header=BB6_3768 Depth=3
	v_mov_b32_e32 v8, 0
	v_mov_b32_e32 v1, 0
	s_and_saveexec_b64 s[68:69], s[30:31]
	s_cbranch_execz .LBB6_5217
; %bb.5210:                             ;   in Loop: Header=BB6_3768 Depth=3
	v_cmp_ne_u16_sdwa vcc, v6, s97 src0_sel:BYTE_0 src1_sel:DWORD
	v_bfrev_b32_e32 v1, 1
	s_and_saveexec_b64 s[70:71], vcc
	s_cbranch_execz .LBB6_5216
; %bb.5211:                             ;   in Loop: Header=BB6_3768 Depth=3
	v_and_b32_e32 v1, 0x7c0000, v3
	v_bfe_u32 v9, v3, 16, 2
	v_cmp_ne_u32_e32 vcc, s36, v1
                                        ; implicit-def: $vgpr1
	s_and_saveexec_b64 s[72:73], vcc
	s_xor_b64 s[72:73], exec, s[72:73]
	s_cbranch_execz .LBB6_5213
; %bb.5212:                             ;   in Loop: Header=BB6_3768 Depth=3
	v_ffbh_u32_e32 v50, v9
	v_min_u32_e32 v50, 32, v50
	v_subrev_u32_e32 v55, 29, v50
	v_bfe_u32 v1, v3, 18, 5
	v_lshlrev_b64 v[42:43], v55, v[6:7]
	v_sub_u32_e32 v50, 30, v50
	v_and_b32_e32 v55, 3, v42
	v_cmp_eq_u32_e32 vcc, 0, v1
	v_cndmask_b32_e32 v1, v1, v50, vcc
	v_cndmask_b32_e32 v9, v9, v55, vcc
	v_bfrev_b32_e32 v55, 28
	v_lshlrev_b32_e32 v50, 24, v6
	v_lshl_add_u32 v1, v1, 23, v55
	v_and_or_b32 v1, v50, s96, v1
	v_lshl_or_b32 v1, v9, 21, v1
                                        ; implicit-def: $vgpr9
.LBB6_5213:                             ;   in Loop: Header=BB6_3768 Depth=3
	s_andn2_saveexec_b64 s[72:73], s[72:73]
; %bb.5214:                             ;   in Loop: Header=BB6_3768 Depth=3
	v_mov_b32_e32 v1, -1
	v_cmp_gt_i16_sdwa vcc, sext(v6), v1 src0_sel:BYTE_0 src1_sel:DWORD
	v_mov_b32_e32 v1, 0xc7600000
	v_mov_b32_e32 v50, 0x47600000
	v_cndmask_b32_e32 v1, v1, v50, vcc
	v_cmp_eq_u32_e32 vcc, 0, v9
	v_mov_b32_e32 v9, 0x7f800001
	v_cndmask_b32_e32 v1, v9, v1, vcc
; %bb.5215:                             ;   in Loop: Header=BB6_3768 Depth=3
	s_or_b64 exec, exec, s[72:73]
.LBB6_5216:                             ;   in Loop: Header=BB6_3768 Depth=3
	s_or_b64 exec, exec, s[70:71]
.LBB6_5217:                             ;   in Loop: Header=BB6_3768 Depth=3
	s_or_b64 exec, exec, s[68:69]
	v_cmp_ne_u16_sdwa vcc, v0, v51 src0_sel:BYTE_0 src1_sel:DWORD
	s_and_saveexec_b64 s[68:69], vcc
	s_cbranch_execz .LBB6_5225
; %bb.5218:                             ;   in Loop: Header=BB6_3768 Depth=3
	v_cmp_ne_u16_sdwa vcc, v0, s97 src0_sel:BYTE_0 src1_sel:DWORD
	v_bfrev_b32_e32 v8, 1
	s_and_saveexec_b64 s[70:71], vcc
	s_cbranch_execz .LBB6_5224
; %bb.5219:                             ;   in Loop: Header=BB6_3768 Depth=3
	v_and_b32_e32 v8, 0x7c0000, v11
	v_bfe_u32 v9, v11, 16, 2
	v_cmp_ne_u32_e32 vcc, s36, v8
                                        ; implicit-def: $vgpr8
	s_and_saveexec_b64 s[72:73], vcc
	s_xor_b64 s[72:73], exec, s[72:73]
	s_cbranch_execz .LBB6_5221
; %bb.5220:                             ;   in Loop: Header=BB6_3768 Depth=3
	v_ffbh_u32_e32 v50, v9
	v_min_u32_e32 v50, 32, v50
	v_subrev_u32_e32 v55, 29, v50
	v_bfe_u32 v8, v11, 18, 5
	v_lshlrev_b64 v[42:43], v55, v[0:1]
	v_sub_u32_e32 v50, 30, v50
	v_and_b32_e32 v55, 3, v42
	v_cmp_eq_u32_e32 vcc, 0, v8
	v_cndmask_b32_e32 v8, v8, v50, vcc
	v_cndmask_b32_e32 v9, v9, v55, vcc
	v_bfrev_b32_e32 v55, 28
	v_lshlrev_b32_e32 v50, 24, v0
	v_lshl_add_u32 v8, v8, 23, v55
	v_and_or_b32 v8, v50, s96, v8
	v_lshl_or_b32 v8, v9, 21, v8
                                        ; implicit-def: $vgpr9
.LBB6_5221:                             ;   in Loop: Header=BB6_3768 Depth=3
	s_andn2_saveexec_b64 s[72:73], s[72:73]
; %bb.5222:                             ;   in Loop: Header=BB6_3768 Depth=3
	v_mov_b32_e32 v8, -1
	v_cmp_gt_i16_sdwa vcc, sext(v0), v8 src0_sel:BYTE_0 src1_sel:DWORD
	v_mov_b32_e32 v8, 0xc7600000
	v_mov_b32_e32 v50, 0x47600000
	v_cndmask_b32_e32 v8, v8, v50, vcc
	v_cmp_eq_u32_e32 vcc, 0, v9
	v_mov_b32_e32 v9, 0x7f800001
	v_cndmask_b32_e32 v8, v9, v8, vcc
; %bb.5223:                             ;   in Loop: Header=BB6_3768 Depth=3
	s_or_b64 exec, exec, s[72:73]
.LBB6_5224:                             ;   in Loop: Header=BB6_3768 Depth=3
	s_or_b64 exec, exec, s[70:71]
.LBB6_5225:                             ;   in Loop: Header=BB6_3768 Depth=3
	s_or_b64 exec, exec, s[68:69]
	v_max_f32_e32 v8, v8, v8
	v_max_f32_e32 v1, v1, v1
	;; [unrolled: 1-line block ×3, first 2 shown]
	s_branch .LBB6_5244
.LBB6_5226:                             ;   in Loop: Header=BB6_3768 Depth=3
                                        ; implicit-def: $vgpr1
	s_cbranch_execz .LBB6_5244
; %bb.5227:                             ;   in Loop: Header=BB6_3768 Depth=3
	v_mov_b32_e32 v8, 0
	v_mov_b32_e32 v1, 0
	s_and_saveexec_b64 s[68:69], s[30:31]
	s_cbranch_execz .LBB6_5235
; %bb.5228:                             ;   in Loop: Header=BB6_3768 Depth=3
	v_cmp_ne_u16_sdwa vcc, v6, s97 src0_sel:BYTE_0 src1_sel:DWORD
	v_bfrev_b32_e32 v1, 1
	s_and_saveexec_b64 s[30:31], vcc
	s_cbranch_execz .LBB6_5234
; %bb.5229:                             ;   in Loop: Header=BB6_3768 Depth=3
	v_and_b32_e32 v1, 0x7c0000, v3
	v_bfe_u32 v9, v3, 16, 2
	v_cmp_ne_u32_e32 vcc, s36, v1
                                        ; implicit-def: $vgpr1
	s_and_saveexec_b64 s[70:71], vcc
	s_xor_b64 s[70:71], exec, s[70:71]
	s_cbranch_execz .LBB6_5231
; %bb.5230:                             ;   in Loop: Header=BB6_3768 Depth=3
	v_ffbh_u32_e32 v50, v9
	v_bfe_u32 v1, v3, 18, 5
	v_min_u32_e32 v50, 32, v50
	v_subrev_u32_e32 v55, 29, v50
	v_sub_u32_e32 v50, 30, v50
	v_cmp_eq_u32_e32 vcc, 0, v1
	v_lshlrev_b64 v[42:43], v55, v[6:7]
	v_cndmask_b32_e32 v1, v1, v50, vcc
	v_bfrev_b32_e32 v50, 28
	v_and_b32_e32 v55, 3, v42
	v_lshlrev_b32_e32 v6, 24, v6
	v_lshl_add_u32 v1, v1, 23, v50
	v_cndmask_b32_e32 v9, v9, v55, vcc
	v_and_or_b32 v1, v6, s96, v1
	v_lshl_or_b32 v1, v9, 21, v1
                                        ; implicit-def: $vgpr9
                                        ; implicit-def: $vgpr6
.LBB6_5231:                             ;   in Loop: Header=BB6_3768 Depth=3
	s_andn2_saveexec_b64 s[70:71], s[70:71]
; %bb.5232:                             ;   in Loop: Header=BB6_3768 Depth=3
	v_mov_b32_e32 v1, -1
	v_cmp_gt_i16_sdwa vcc, sext(v6), v1 src0_sel:BYTE_0 src1_sel:DWORD
	v_mov_b32_e32 v1, 0xc7600000
	v_mov_b32_e32 v6, 0x47600000
	v_cndmask_b32_e32 v1, v1, v6, vcc
	v_cmp_eq_u32_e32 vcc, 0, v9
	v_mov_b32_e32 v6, 0x7f800001
	v_cndmask_b32_e32 v1, v6, v1, vcc
; %bb.5233:                             ;   in Loop: Header=BB6_3768 Depth=3
	s_or_b64 exec, exec, s[70:71]
.LBB6_5234:                             ;   in Loop: Header=BB6_3768 Depth=3
	s_or_b64 exec, exec, s[30:31]
.LBB6_5235:                             ;   in Loop: Header=BB6_3768 Depth=3
	s_or_b64 exec, exec, s[68:69]
	v_cmp_ne_u16_sdwa vcc, v0, v51 src0_sel:BYTE_0 src1_sel:DWORD
	s_and_saveexec_b64 s[30:31], vcc
	s_cbranch_execz .LBB6_5243
; %bb.5236:                             ;   in Loop: Header=BB6_3768 Depth=3
	v_cmp_ne_u16_sdwa vcc, v0, s97 src0_sel:BYTE_0 src1_sel:DWORD
	v_bfrev_b32_e32 v8, 1
	s_and_saveexec_b64 s[68:69], vcc
	s_cbranch_execz .LBB6_5242
; %bb.5237:                             ;   in Loop: Header=BB6_3768 Depth=3
	v_and_b32_e32 v8, 0x7c0000, v11
	v_bfe_u32 v6, v11, 16, 2
	v_cmp_ne_u32_e32 vcc, s36, v8
                                        ; implicit-def: $vgpr8
	s_and_saveexec_b64 s[70:71], vcc
	s_xor_b64 s[70:71], exec, s[70:71]
	s_cbranch_execz .LBB6_5239
; %bb.5238:                             ;   in Loop: Header=BB6_3768 Depth=3
	v_ffbh_u32_e32 v8, v6
	v_min_u32_e32 v55, 32, v8
	v_subrev_u32_e32 v8, 29, v55
	v_bfe_u32 v50, v11, 18, 5
	v_lshlrev_b64 v[8:9], v8, v[0:1]
	v_sub_u32_e32 v9, 30, v55
	v_and_b32_e32 v8, 3, v8
	v_cmp_eq_u32_e32 vcc, 0, v50
	v_cndmask_b32_e32 v9, v50, v9, vcc
	v_cndmask_b32_e32 v6, v6, v8, vcc
	v_bfrev_b32_e32 v8, 28
	v_lshlrev_b32_e32 v0, 24, v0
	v_lshl_add_u32 v8, v9, 23, v8
	v_and_or_b32 v0, v0, s96, v8
	v_lshl_or_b32 v8, v6, 21, v0
                                        ; implicit-def: $vgpr6
                                        ; implicit-def: $vgpr0
.LBB6_5239:                             ;   in Loop: Header=BB6_3768 Depth=3
	s_andn2_saveexec_b64 s[70:71], s[70:71]
; %bb.5240:                             ;   in Loop: Header=BB6_3768 Depth=3
	v_mov_b32_e32 v8, -1
	v_cmp_gt_i16_sdwa vcc, sext(v0), v8 src0_sel:BYTE_0 src1_sel:DWORD
	v_mov_b32_e32 v0, 0xc7600000
	v_mov_b32_e32 v8, 0x47600000
	v_cndmask_b32_e32 v0, v0, v8, vcc
	v_cmp_eq_u32_e32 vcc, 0, v6
	v_mov_b32_e32 v6, 0x7f800001
	v_cndmask_b32_e32 v8, v6, v0, vcc
; %bb.5241:                             ;   in Loop: Header=BB6_3768 Depth=3
	s_or_b64 exec, exec, s[70:71]
.LBB6_5242:                             ;   in Loop: Header=BB6_3768 Depth=3
	s_or_b64 exec, exec, s[68:69]
.LBB6_5243:                             ;   in Loop: Header=BB6_3768 Depth=3
	s_or_b64 exec, exec, s[30:31]
	v_max_f32_e32 v0, v8, v8
	v_max_f32_e32 v1, v1, v1
	v_min_f32_e32 v1, v1, v0
.LBB6_5244:                             ;   in Loop: Header=BB6_3768 Depth=3
	v_and_b32_sdwa v6, v1, s97 dst_sel:DWORD dst_unused:UNUSED_PAD src0_sel:BYTE_3 src1_sel:DWORD
	v_and_b32_e32 v42, 0x7f800000, v1
	v_mov_b32_e32 v43, v51
	v_and_b32_e32 v50, 0x7fffff, v1
	v_or_b32_e32 v8, 0x7b, v6
	v_cmp_ne_u64_e32 vcc, s[52:53], v[42:43]
	s_and_saveexec_b64 s[30:31], vcc
	s_xor_b64 s[68:69], exec, s[30:31]
	s_cbranch_execz .LBB6_5254
; %bb.5245:                             ;   in Loop: Header=BB6_3768 Depth=3
	v_and_b32_e32 v42, 0x7fffffff, v1
	v_mov_b32_e32 v43, v51
	v_cmp_gt_u64_e32 vcc, s[54:55], v[42:43]
	s_and_saveexec_b64 s[70:71], vcc
	s_cbranch_execz .LBB6_5253
; %bb.5246:                             ;   in Loop: Header=BB6_3768 Depth=3
	v_cmp_ne_u32_e32 vcc, 0, v1
	v_mov_b32_e32 v8, 0
	s_and_saveexec_b64 s[72:73], vcc
	s_cbranch_execz .LBB6_5252
; %bb.5247:                             ;   in Loop: Header=BB6_3768 Depth=3
	v_bfe_u32 v0, v1, 23, 8
	v_cmp_eq_u32_e32 vcc, 0, v0
	v_add_u32_e32 v1, 0xffffff81, v0
	v_cmp_gt_u32_e64 s[30:31], s38, v0
	v_sub_u32_e32 v0, 0x71, v0
	v_mov_b32_e32 v9, 0xffffff82
	v_cndmask_b32_e64 v0, 0, v0, s[30:31]
	v_cndmask_b32_e32 v55, v1, v9, vcc
	v_mov_b32_e32 v1, 0x70
	v_cndmask_b32_e32 v42, v0, v1, vcc
	v_add_u32_e32 v0, 21, v42
	v_or_b32_e32 v8, 0x800000, v50
	v_lshlrev_b64 v[0:1], v0, -1
	v_cndmask_b32_e32 v50, v8, v50, vcc
	v_not_b32_e32 v1, v1
	v_not_b32_e32 v0, v0
	v_add_u32_e32 v8, 20, v42
	v_and_b32_e32 v1, 0, v1
	v_and_b32_e32 v0, v50, v0
	v_lshlrev_b64 v[8:9], v8, 1
	v_cmp_eq_u64_e32 vcc, v[0:1], v[8:9]
	v_lshrrev_b64 v[0:1], v42, v[50:51]
	v_lshrrev_b32_e32 v8, 23, v0
	v_add3_u32 v50, v42, v55, v8
	v_bfe_u32 v8, v0, 21, 1
	v_add_u32_e32 v8, -1, v8
	v_cndmask_b32_e32 v8, 0, v8, vcc
	v_add_u32_e32 v8, v8, v0
	v_and_b32_e32 v8, 0x1fffff, v8
	v_add_co_u32_e32 v0, vcc, v8, v0
	v_add_u32_e32 v9, 14, v50
	v_addc_co_u32_e32 v1, vcc, 0, v1, vcc
	v_cmp_ne_u32_e32 vcc, 0, v9
                                        ; implicit-def: $vgpr8
	s_and_saveexec_b64 s[30:31], vcc
	s_xor_b64 s[30:31], exec, s[30:31]
; %bb.5248:                             ;   in Loop: Header=BB6_3768 Depth=3
	v_add_u32_e32 v8, 15, v50
	v_cmp_lt_u64_e32 vcc, s[56:57], v[0:1]
	v_cndmask_b32_e32 v8, v9, v8, vcc
	v_cndmask_b32_e64 v9, 0, 1, vcc
	v_lshrrev_b64 v[0:1], v9, v[0:1]
; %bb.5249:                             ;   in Loop: Header=BB6_3768 Depth=3
	s_andn2_saveexec_b64 vcc, s[30:31]
; %bb.5250:                             ;   in Loop: Header=BB6_3768 Depth=3
	v_bfe_u32 v8, v0, 23, 1
; %bb.5251:                             ;   in Loop: Header=BB6_3768 Depth=3
	s_or_b64 exec, exec, vcc
	v_lshrrev_b64 v[0:1], 21, v[0:1]
	v_cmp_gt_i32_e32 vcc, 32, v8
	v_cndmask_b32_e32 v1, 0, v1, vcc
	v_cndmask_b32_e32 v0, 3, v0, vcc
	v_cmp_eq_u64_e64 s[30:31], 0, v[0:1]
	v_min_i32_e32 v1, 31, v8
	v_cmp_eq_u32_e32 vcc, 0, v8
	v_lshlrev_b32_e32 v1, 2, v1
	v_and_or_b32 v0, v0, 3, v1
	s_and_b64 vcc, vcc, s[30:31]
	v_cndmask_b32_e64 v0, v0, 0, vcc
	v_or_b32_e32 v8, v0, v6
.LBB6_5252:                             ;   in Loop: Header=BB6_3768 Depth=3
	s_or_b64 exec, exec, s[72:73]
.LBB6_5253:                             ;   in Loop: Header=BB6_3768 Depth=3
	s_or_b64 exec, exec, s[70:71]
                                        ; implicit-def: $vgpr1
.LBB6_5254:                             ;   in Loop: Header=BB6_3768 Depth=3
	s_andn2_saveexec_b64 s[30:31], s[68:69]
; %bb.5255:                             ;   in Loop: Header=BB6_3768 Depth=3
	v_or_b32_sdwa v0, v1, s39 dst_sel:DWORD dst_unused:UNUSED_PAD src0_sel:BYTE_3 src1_sel:DWORD
	v_cmp_eq_u64_e32 vcc, 0, v[50:51]
	v_cndmask_b32_e32 v8, v0, v8, vcc
; %bb.5256:                             ;   in Loop: Header=BB6_3768 Depth=3
	s_or_b64 exec, exec, s[30:31]
	v_lshrrev_b32_e32 v6, 24, v3
	v_lshrrev_b32_e32 v0, 24, v11
	s_and_b64 vcc, exec, s[28:29]
	v_cmp_lt_u64_e64 s[28:29], s[42:43], v[2:3]
	s_cbranch_vccnz .LBB6_5274
; %bb.5257:                             ;   in Loop: Header=BB6_3768 Depth=3
	v_mov_b32_e32 v9, 0
	v_mov_b32_e32 v1, 0
	s_and_saveexec_b64 s[30:31], s[28:29]
	s_cbranch_execz .LBB6_5265
; %bb.5258:                             ;   in Loop: Header=BB6_3768 Depth=3
	v_cmp_ne_u32_e32 vcc, s97, v6
	v_bfrev_b32_e32 v1, 1
	s_and_saveexec_b64 s[68:69], vcc
	s_cbranch_execz .LBB6_5264
; %bb.5259:                             ;   in Loop: Header=BB6_3768 Depth=3
	v_and_b32_e32 v1, 0x7c000000, v3
	v_bfe_u32 v50, v3, 24, 2
	v_cmp_ne_u32_e32 vcc, s37, v1
                                        ; implicit-def: $vgpr1
	s_and_saveexec_b64 s[70:71], vcc
	s_xor_b64 s[70:71], exec, s[70:71]
	s_cbranch_execz .LBB6_5261
; %bb.5260:                             ;   in Loop: Header=BB6_3768 Depth=3
	v_ffbh_u32_e32 v55, v50
	v_bfe_u32 v1, v3, 26, 5
	v_min_u32_e32 v55, 32, v55
	v_subrev_u32_e32 v42, 29, v55
	v_sub_u32_e32 v55, 30, v55
	v_cmp_eq_u32_e32 vcc, 0, v1
	v_lshlrev_b64 v[42:43], v42, v[6:7]
	v_cndmask_b32_e32 v1, v1, v55, vcc
	v_bfrev_b32_e32 v55, 28
	v_and_b32_e32 v42, 3, v42
	v_lshl_add_u32 v1, v1, 23, v55
	v_cndmask_b32_e32 v50, v50, v42, vcc
	v_and_or_b32 v1, v3, s96, v1
	v_lshl_or_b32 v1, v50, 21, v1
                                        ; implicit-def: $vgpr50
.LBB6_5261:                             ;   in Loop: Header=BB6_3768 Depth=3
	s_andn2_saveexec_b64 s[70:71], s[70:71]
; %bb.5262:                             ;   in Loop: Header=BB6_3768 Depth=3
	v_cmp_lt_i64_e32 vcc, -1, v[2:3]
	v_mov_b32_e32 v1, 0xc7600000
	v_mov_b32_e32 v55, 0x47600000
	v_cndmask_b32_e32 v1, v1, v55, vcc
	v_cmp_eq_u32_e32 vcc, 0, v50
	v_mov_b32_e32 v50, 0x7f800001
	v_cndmask_b32_e32 v1, v50, v1, vcc
; %bb.5263:                             ;   in Loop: Header=BB6_3768 Depth=3
	s_or_b64 exec, exec, s[70:71]
.LBB6_5264:                             ;   in Loop: Header=BB6_3768 Depth=3
	s_or_b64 exec, exec, s[68:69]
.LBB6_5265:                             ;   in Loop: Header=BB6_3768 Depth=3
	s_or_b64 exec, exec, s[30:31]
	v_cmp_lt_u64_e32 vcc, s[42:43], v[10:11]
	s_and_saveexec_b64 s[30:31], vcc
	s_cbranch_execz .LBB6_5273
; %bb.5266:                             ;   in Loop: Header=BB6_3768 Depth=3
	v_cmp_ne_u32_e32 vcc, s97, v0
	v_bfrev_b32_e32 v9, 1
	s_and_saveexec_b64 s[68:69], vcc
	s_cbranch_execz .LBB6_5272
; %bb.5267:                             ;   in Loop: Header=BB6_3768 Depth=3
	v_and_b32_e32 v9, 0x7c000000, v11
	v_bfe_u32 v50, v11, 24, 2
	v_cmp_ne_u32_e32 vcc, s37, v9
                                        ; implicit-def: $vgpr9
	s_and_saveexec_b64 s[70:71], vcc
	s_xor_b64 s[70:71], exec, s[70:71]
	s_cbranch_execz .LBB6_5269
; %bb.5268:                             ;   in Loop: Header=BB6_3768 Depth=3
	v_ffbh_u32_e32 v55, v50
	v_bfe_u32 v9, v11, 26, 5
	v_min_u32_e32 v55, 32, v55
	v_subrev_u32_e32 v42, 29, v55
	v_sub_u32_e32 v55, 30, v55
	v_cmp_eq_u32_e32 vcc, 0, v9
	v_lshlrev_b64 v[42:43], v42, v[0:1]
	v_cndmask_b32_e32 v9, v9, v55, vcc
	v_bfrev_b32_e32 v55, 28
	v_and_b32_e32 v42, 3, v42
	v_lshl_add_u32 v9, v9, 23, v55
	v_cndmask_b32_e32 v50, v50, v42, vcc
	v_and_or_b32 v9, v11, s96, v9
	v_lshl_or_b32 v9, v50, 21, v9
                                        ; implicit-def: $vgpr50
.LBB6_5269:                             ;   in Loop: Header=BB6_3768 Depth=3
	s_andn2_saveexec_b64 s[70:71], s[70:71]
; %bb.5270:                             ;   in Loop: Header=BB6_3768 Depth=3
	v_cmp_lt_i64_e32 vcc, -1, v[10:11]
	v_mov_b32_e32 v9, 0xc7600000
	v_mov_b32_e32 v55, 0x47600000
	v_cndmask_b32_e32 v9, v9, v55, vcc
	v_cmp_eq_u32_e32 vcc, 0, v50
	v_mov_b32_e32 v50, 0x7f800001
	v_cndmask_b32_e32 v9, v50, v9, vcc
; %bb.5271:                             ;   in Loop: Header=BB6_3768 Depth=3
	s_or_b64 exec, exec, s[70:71]
.LBB6_5272:                             ;   in Loop: Header=BB6_3768 Depth=3
	s_or_b64 exec, exec, s[68:69]
.LBB6_5273:                             ;   in Loop: Header=BB6_3768 Depth=3
	s_or_b64 exec, exec, s[30:31]
	v_max_f32_e32 v9, v9, v9
	v_max_f32_e32 v1, v1, v1
	;; [unrolled: 1-line block ×3, first 2 shown]
	s_branch .LBB6_5292
.LBB6_5274:                             ;   in Loop: Header=BB6_3768 Depth=3
                                        ; implicit-def: $vgpr1
	s_cbranch_execz .LBB6_5292
; %bb.5275:                             ;   in Loop: Header=BB6_3768 Depth=3
	v_mov_b32_e32 v9, 0
	v_mov_b32_e32 v1, 0
	s_and_saveexec_b64 s[30:31], s[28:29]
	s_cbranch_execz .LBB6_5283
; %bb.5276:                             ;   in Loop: Header=BB6_3768 Depth=3
	v_cmp_ne_u32_e32 vcc, s97, v6
	v_bfrev_b32_e32 v1, 1
	s_and_saveexec_b64 s[28:29], vcc
	s_cbranch_execz .LBB6_5282
; %bb.5277:                             ;   in Loop: Header=BB6_3768 Depth=3
	v_and_b32_e32 v1, 0x7c000000, v3
	v_bfe_u32 v50, v3, 24, 2
	v_cmp_ne_u32_e32 vcc, s37, v1
                                        ; implicit-def: $vgpr1
	s_and_saveexec_b64 s[68:69], vcc
	s_xor_b64 s[68:69], exec, s[68:69]
	s_cbranch_execz .LBB6_5279
; %bb.5278:                             ;   in Loop: Header=BB6_3768 Depth=3
	v_ffbh_u32_e32 v2, v50
	v_min_u32_e32 v2, 32, v2
	v_subrev_u32_e32 v55, 29, v2
	v_bfe_u32 v1, v3, 26, 5
	v_lshlrev_b64 v[42:43], v55, v[6:7]
	v_sub_u32_e32 v2, 30, v2
	v_and_b32_e32 v6, 3, v42
	v_cmp_eq_u32_e32 vcc, 0, v1
	v_cndmask_b32_e32 v1, v1, v2, vcc
	v_cndmask_b32_e32 v2, v50, v6, vcc
	v_bfrev_b32_e32 v6, 28
	v_lshl_add_u32 v1, v1, 23, v6
	v_and_or_b32 v1, v3, s96, v1
	v_lshl_or_b32 v1, v2, 21, v1
                                        ; implicit-def: $vgpr50
                                        ; implicit-def: $vgpr2_vgpr3
.LBB6_5279:                             ;   in Loop: Header=BB6_3768 Depth=3
	s_andn2_saveexec_b64 s[68:69], s[68:69]
; %bb.5280:                             ;   in Loop: Header=BB6_3768 Depth=3
	v_cmp_lt_i64_e32 vcc, -1, v[2:3]
	v_mov_b32_e32 v1, 0xc7600000
	v_mov_b32_e32 v2, 0x47600000
	v_cndmask_b32_e32 v1, v1, v2, vcc
	v_cmp_eq_u32_e32 vcc, 0, v50
	v_mov_b32_e32 v2, 0x7f800001
	v_cndmask_b32_e32 v1, v2, v1, vcc
; %bb.5281:                             ;   in Loop: Header=BB6_3768 Depth=3
	s_or_b64 exec, exec, s[68:69]
.LBB6_5282:                             ;   in Loop: Header=BB6_3768 Depth=3
	s_or_b64 exec, exec, s[28:29]
.LBB6_5283:                             ;   in Loop: Header=BB6_3768 Depth=3
	s_or_b64 exec, exec, s[30:31]
	v_cmp_lt_u64_e32 vcc, s[42:43], v[10:11]
	s_and_saveexec_b64 s[28:29], vcc
	s_cbranch_execz .LBB6_5291
; %bb.5284:                             ;   in Loop: Header=BB6_3768 Depth=3
	v_cmp_ne_u32_e32 vcc, s97, v0
	v_bfrev_b32_e32 v9, 1
	s_and_saveexec_b64 s[30:31], vcc
	s_cbranch_execz .LBB6_5290
; %bb.5285:                             ;   in Loop: Header=BB6_3768 Depth=3
	v_and_b32_e32 v3, 0x7c000000, v11
	v_bfe_u32 v2, v11, 24, 2
	v_cmp_ne_u32_e32 vcc, s37, v3
                                        ; implicit-def: $vgpr9
	s_and_saveexec_b64 s[68:69], vcc
	s_xor_b64 s[68:69], exec, s[68:69]
	s_cbranch_execz .LBB6_5287
; %bb.5286:                             ;   in Loop: Header=BB6_3768 Depth=3
	v_ffbh_u32_e32 v6, v2
	v_min_u32_e32 v6, 32, v6
	v_bfe_u32 v3, v11, 26, 5
	v_subrev_u32_e32 v9, 29, v6
	v_lshlrev_b64 v[42:43], v9, v[0:1]
	v_sub_u32_e32 v0, 30, v6
	v_cmp_eq_u32_e32 vcc, 0, v3
	v_cndmask_b32_e32 v0, v3, v0, vcc
	v_bfrev_b32_e32 v3, 28
	v_and_b32_e32 v6, 3, v42
	v_lshl_add_u32 v0, v0, 23, v3
	v_cndmask_b32_e32 v2, v2, v6, vcc
	v_and_or_b32 v0, v11, s96, v0
	v_lshl_or_b32 v9, v2, 21, v0
                                        ; implicit-def: $vgpr2
                                        ; implicit-def: $vgpr10_vgpr11
.LBB6_5287:                             ;   in Loop: Header=BB6_3768 Depth=3
	s_andn2_saveexec_b64 s[68:69], s[68:69]
; %bb.5288:                             ;   in Loop: Header=BB6_3768 Depth=3
	v_cmp_lt_i64_e32 vcc, -1, v[10:11]
	v_mov_b32_e32 v0, 0xc7600000
	v_mov_b32_e32 v3, 0x47600000
	v_cndmask_b32_e32 v0, v0, v3, vcc
	v_cmp_eq_u32_e32 vcc, 0, v2
	v_mov_b32_e32 v2, 0x7f800001
	v_cndmask_b32_e32 v9, v2, v0, vcc
; %bb.5289:                             ;   in Loop: Header=BB6_3768 Depth=3
	s_or_b64 exec, exec, s[68:69]
.LBB6_5290:                             ;   in Loop: Header=BB6_3768 Depth=3
	s_or_b64 exec, exec, s[30:31]
.LBB6_5291:                             ;   in Loop: Header=BB6_3768 Depth=3
	s_or_b64 exec, exec, s[28:29]
	v_max_f32_e32 v0, v9, v9
	v_max_f32_e32 v1, v1, v1
	v_min_f32_e32 v1, v1, v0
.LBB6_5292:                             ;   in Loop: Header=BB6_3768 Depth=3
	v_and_b32_sdwa v2, v1, s97 dst_sel:DWORD dst_unused:UNUSED_PAD src0_sel:BYTE_3 src1_sel:DWORD
	v_and_b32_e32 v10, 0x7f800000, v1
	v_mov_b32_e32 v11, v51
	v_and_b32_e32 v50, 0x7fffff, v1
	v_or_b32_e32 v0, 0x7b, v2
	v_cmp_ne_u64_e32 vcc, s[52:53], v[10:11]
	s_and_saveexec_b64 s[28:29], vcc
	s_xor_b64 s[30:31], exec, s[28:29]
	s_cbranch_execz .LBB6_5302
; %bb.5293:                             ;   in Loop: Header=BB6_3768 Depth=3
	v_and_b32_e32 v10, 0x7fffffff, v1
	v_mov_b32_e32 v11, v51
	v_cmp_gt_u64_e32 vcc, s[54:55], v[10:11]
	s_and_saveexec_b64 s[68:69], vcc
	s_cbranch_execz .LBB6_5301
; %bb.5294:                             ;   in Loop: Header=BB6_3768 Depth=3
	v_cmp_ne_u32_e32 vcc, 0, v1
	v_mov_b32_e32 v0, 0
	s_and_saveexec_b64 s[70:71], vcc
	s_cbranch_execz .LBB6_5300
; %bb.5295:                             ;   in Loop: Header=BB6_3768 Depth=3
	v_bfe_u32 v0, v1, 23, 8
	v_cmp_eq_u32_e32 vcc, 0, v0
	v_add_u32_e32 v1, 0xffffff81, v0
	v_cmp_gt_u32_e64 s[28:29], s38, v0
	v_sub_u32_e32 v0, 0x71, v0
	v_mov_b32_e32 v6, 0xffffff82
	v_cndmask_b32_e64 v0, 0, v0, s[28:29]
	v_cndmask_b32_e32 v6, v1, v6, vcc
	v_mov_b32_e32 v1, 0x70
	v_cndmask_b32_e32 v9, v0, v1, vcc
	v_add_u32_e32 v0, 21, v9
	v_or_b32_e32 v3, 0x800000, v50
	v_lshlrev_b64 v[0:1], v0, -1
	v_cndmask_b32_e32 v50, v3, v50, vcc
	v_not_b32_e32 v1, v1
	v_not_b32_e32 v0, v0
	v_add_u32_e32 v3, 20, v9
	v_and_b32_e32 v1, 0, v1
	v_and_b32_e32 v0, v50, v0
	v_lshlrev_b64 v[10:11], v3, 1
	v_cmp_eq_u64_e32 vcc, v[0:1], v[10:11]
	v_lshrrev_b64 v[0:1], v9, v[50:51]
	v_lshrrev_b32_e32 v3, 23, v0
	v_add3_u32 v9, v9, v6, v3
	v_bfe_u32 v3, v0, 21, 1
	v_add_u32_e32 v3, -1, v3
	v_cndmask_b32_e32 v3, 0, v3, vcc
	v_add_u32_e32 v3, v3, v0
	v_and_b32_e32 v3, 0x1fffff, v3
	v_add_co_u32_e32 v0, vcc, v3, v0
	v_add_u32_e32 v6, 14, v9
	v_addc_co_u32_e32 v1, vcc, 0, v1, vcc
	v_cmp_ne_u32_e32 vcc, 0, v6
                                        ; implicit-def: $vgpr3
	s_and_saveexec_b64 s[28:29], vcc
	s_xor_b64 s[28:29], exec, s[28:29]
; %bb.5296:                             ;   in Loop: Header=BB6_3768 Depth=3
	v_add_u32_e32 v3, 15, v9
	v_cmp_lt_u64_e32 vcc, s[56:57], v[0:1]
	v_cndmask_b32_e32 v3, v6, v3, vcc
	v_cndmask_b32_e64 v6, 0, 1, vcc
	v_lshrrev_b64 v[0:1], v6, v[0:1]
; %bb.5297:                             ;   in Loop: Header=BB6_3768 Depth=3
	s_andn2_saveexec_b64 s[28:29], s[28:29]
; %bb.5298:                             ;   in Loop: Header=BB6_3768 Depth=3
	v_bfe_u32 v3, v0, 23, 1
; %bb.5299:                             ;   in Loop: Header=BB6_3768 Depth=3
	s_or_b64 exec, exec, s[28:29]
	v_lshrrev_b64 v[0:1], 21, v[0:1]
	v_cmp_gt_i32_e32 vcc, 32, v3
	v_cndmask_b32_e32 v1, 0, v1, vcc
	v_cndmask_b32_e32 v0, 3, v0, vcc
	v_cmp_eq_u64_e64 s[28:29], 0, v[0:1]
	v_min_i32_e32 v1, 31, v3
	v_lshlrev_b32_e32 v1, 2, v1
	v_cmp_eq_u32_e32 vcc, 0, v3
	v_and_b32_e32 v1, 0xfc, v1
	v_and_or_b32 v0, v0, 3, v1
	s_and_b64 s[28:29], vcc, s[28:29]
	v_cndmask_b32_e64 v0, v0, 0, s[28:29]
	v_or_b32_e32 v0, v0, v2
.LBB6_5300:                             ;   in Loop: Header=BB6_3768 Depth=3
	s_or_b64 exec, exec, s[70:71]
.LBB6_5301:                             ;   in Loop: Header=BB6_3768 Depth=3
	s_or_b64 exec, exec, s[68:69]
                                        ; implicit-def: $vgpr1
.LBB6_5302:                             ;   in Loop: Header=BB6_3768 Depth=3
	s_andn2_saveexec_b64 s[28:29], s[30:31]
	s_cbranch_execz .LBB6_3767
; %bb.5303:                             ;   in Loop: Header=BB6_3768 Depth=3
	v_or_b32_sdwa v1, v1, s39 dst_sel:DWORD dst_unused:UNUSED_PAD src0_sel:BYTE_3 src1_sel:DWORD
	v_cmp_eq_u64_e32 vcc, 0, v[50:51]
	v_cndmask_b32_e32 v0, v1, v0, vcc
	s_branch .LBB6_3767
.LBB6_5304:                             ;   in Loop: Header=BB6_3679 Depth=2
	s_or_b64 exec, exec, s[66:67]
	s_and_saveexec_b64 vcc, s[68:69]
	s_xor_b64 vcc, exec, vcc
	s_cbranch_execz .LBB6_5306
; %bb.5305:                             ;   in Loop: Header=BB6_3679 Depth=2
	v_mov_b32_e32 v0, 1
	ds_write_b32 v0, v0
	s_trap 2
.LBB6_5306:                             ;   in Loop: Header=BB6_3679 Depth=2
	s_or_b64 exec, exec, s[64:65]
	;;#ASMSTART
	s_wakeup
	;;#ASMEND
.LBB6_5307:                             ;   in Loop: Header=BB6_3679 Depth=2
	s_or_b64 exec, exec, s[34:35]
.LBB6_5308:                             ;   in Loop: Header=BB6_3679 Depth=2
	s_andn2_saveexec_b64 vcc, s[30:31]
	s_cbranch_execz .LBB6_5310
; %bb.5309:                             ;   in Loop: Header=BB6_3679 Depth=2
	s_waitcnt vmcnt(0) lgkmcnt(0)
	buffer_wbinvl1_vol
	s_barrier
.LBB6_5310:                             ;   in Loop: Header=BB6_3679 Depth=2
	s_or_b64 exec, exec, vcc
.LBB6_5311:                             ;   in Loop: Header=BB6_3679 Depth=2
	s_or_b64 exec, exec, s[28:29]
                                        ; implicit-def: $vgpr0
	s_and_saveexec_b64 s[28:29], s[24:25]
	s_xor_b64 s[30:31], exec, s[28:29]
	s_cbranch_execz .LBB6_5315
; %bb.5312:                             ;   in Loop: Header=BB6_3679 Depth=2
	v_and_b32_e32 v1, 16, v46
	v_cmp_lt_i32_e32 vcc, 0, v44
	v_cmp_ne_u32_e64 s[28:29], 0, v1
	v_and_b32_e32 v0, 16, v46
	s_and_b64 vcc, s[28:29], vcc
	s_and_saveexec_b64 s[28:29], vcc
	s_cbranch_execz .LBB6_5314
; %bb.5313:                             ;   in Loop: Header=BB6_3679 Depth=2
	v_mov_b32_e32 v0, 1
	s_waitcnt vmcnt(0) lgkmcnt(0)
	buffer_wbinvl1_vol
.LBB6_5314:                             ;   in Loop: Header=BB6_3679 Depth=2
	s_or_b64 exec, exec, s[28:29]
	s_andn2_saveexec_b64 s[28:29], s[30:31]
	s_cbranch_execz .LBB6_5334
	s_branch .LBB6_5316
.LBB6_5315:                             ;   in Loop: Header=BB6_3679 Depth=2
	s_andn2_saveexec_b64 s[28:29], s[30:31]
	s_cbranch_execz .LBB6_5334
.LBB6_5316:                             ;   in Loop: Header=BB6_3679 Depth=2
	s_and_saveexec_b64 vcc, s[44:45]
	s_xor_b64 s[30:31], exec, vcc
	s_cbranch_execz .LBB6_5331
; %bb.5317:                             ;   in Loop: Header=BB6_3679 Depth=2
	s_and_saveexec_b64 s[34:35], s[16:17]
	s_cbranch_execz .LBB6_5330
; %bb.5318:                             ;   in Loop: Header=BB6_3679 Depth=2
	s_mov_b64 s[66:67], exec
	v_mbcnt_lo_u32_b32 v0, s66, 0
	v_mbcnt_hi_u32_b32 v0, s67, v0
	v_cmp_eq_u32_e32 vcc, 0, v0
	;;#ASMSTART
	s_waitcnt lgkmcnt(0) vmcnt(0)
	;;#ASMEND
	s_and_saveexec_b64 s[64:65], vcc
	s_cbranch_execz .LBB6_5320
; %bb.5319:                             ;   in Loop: Header=BB6_3679 Depth=2
	s_bcnt1_i32_b64 s27, s[66:67]
	v_mov_b32_e32 v50, s27
	ds_add_u64 v0, v[50:51]
	s_trap 2
.LBB6_5320:                             ;   in Loop: Header=BB6_3679 Depth=2
	s_or_b64 exec, exec, s[64:65]
	s_trap 2
	ds_read_b64 v[0:1], v0
	v_accvgpr_read_b32 v2, a28
	v_accvgpr_read_b32 v3, a29
	v_add_co_u32_e32 v2, vcc, v2, v40
	v_addc_co_u32_e32 v3, vcc, 0, v3, vcc
	v_accvgpr_write_b32 a29, v3
	v_accvgpr_write_b32 a28, v2
	s_waitcnt lgkmcnt(0)
	v_cmp_lt_u64_e32 vcc, v[0:1], v[2:3]
	s_and_saveexec_b64 s[64:65], vcc
	s_cbranch_execz .LBB6_5329
; %bb.5321:                             ;   in Loop: Header=BB6_3679 Depth=2
	s_mov_b32 s27, 0
	s_mov_b64 s[66:67], 0
                                        ; implicit-def: $sgpr68_sgpr69
                                        ; implicit-def: $sgpr70_sgpr71
	s_branch .LBB6_5323
.LBB6_5322:                             ;   in Loop: Header=BB6_5323 Depth=3
	s_or_b64 exec, exec, s[74:75]
	s_and_b64 vcc, exec, vcc
	s_or_b64 s[66:67], vcc, s[66:67]
	s_andn2_b64 vcc, s[68:69], exec
	s_and_b64 s[50:51], s[70:71], exec
	s_or_b64 s[68:69], vcc, s[50:51]
	s_andn2_b64 exec, exec, s[66:67]
	s_cbranch_execz .LBB6_5327
.LBB6_5323:                             ;   Parent Loop BB6_47 Depth=1
                                        ;     Parent Loop BB6_3679 Depth=2
                                        ; =>    This Inner Loop Header: Depth=3
	s_add_i32 s27, s27, 1
	s_cmpk_lg_i32 s27, 0x2710
	s_cselect_b64 s[72:73], -1, 0
	s_and_b64 vcc, exec, s[72:73]
                                        ; implicit-def: $sgpr74_sgpr75
	s_cbranch_vccnz .LBB6_5325
; %bb.5324:                             ;   in Loop: Header=BB6_5323 Depth=3
	s_trap 2
	ds_read_b64 v[0:1], v0
	s_andn2_b64 s[72:73], s[72:73], exec
	s_mov_b32 s27, 0
	s_mov_b64 s[74:75], -1
	s_waitcnt vmcnt(0) lgkmcnt(0)
	flat_load_dword v0, v[0:1] glc
	s_waitcnt vmcnt(0) lgkmcnt(0)
	buffer_invl2
	buffer_wbinvl1_vol
	v_cmp_eq_u32_e32 vcc, 0, v0
	s_and_b64 vcc, vcc, exec
	s_or_b64 s[72:73], s[72:73], vcc
.LBB6_5325:                             ;   in Loop: Header=BB6_5323 Depth=3
	s_andn2_b64 s[70:71], s[70:71], exec
	s_and_b64 s[74:75], s[74:75], exec
	s_mov_b64 vcc, -1
	s_or_b64 s[70:71], s[70:71], s[74:75]
	s_and_saveexec_b64 s[74:75], s[72:73]
	s_cbranch_execz .LBB6_5322
; %bb.5326:                             ;   in Loop: Header=BB6_5323 Depth=3
	s_sleep 1
	s_trap 2
	ds_read_b64 v[0:1], v0
	v_accvgpr_read_b32 v2, a28
	v_accvgpr_read_b32 v3, a29
	s_andn2_b64 s[70:71], s[70:71], exec
	s_waitcnt lgkmcnt(0)
	v_cmp_ge_u64_e32 vcc, v[0:1], v[2:3]
	s_orn2_b64 vcc, vcc, exec
	s_branch .LBB6_5322
.LBB6_5327:                             ;   in Loop: Header=BB6_3679 Depth=2
	s_or_b64 exec, exec, s[66:67]
	s_and_saveexec_b64 vcc, s[68:69]
	s_xor_b64 vcc, exec, vcc
	s_cbranch_execz .LBB6_5329
; %bb.5328:                             ;   in Loop: Header=BB6_3679 Depth=2
	v_mov_b32_e32 v0, 1
	ds_write_b32 v0, v0
	s_trap 2
.LBB6_5329:                             ;   in Loop: Header=BB6_3679 Depth=2
	s_or_b64 exec, exec, s[64:65]
	;;#ASMSTART
	s_wakeup
	;;#ASMEND
.LBB6_5330:                             ;   in Loop: Header=BB6_3679 Depth=2
	s_or_b64 exec, exec, s[34:35]
.LBB6_5331:                             ;   in Loop: Header=BB6_3679 Depth=2
	s_andn2_saveexec_b64 vcc, s[30:31]
	s_cbranch_execz .LBB6_5333
; %bb.5332:                             ;   in Loop: Header=BB6_3679 Depth=2
	;;#ASMSTART
	s_waitcnt lgkmcnt(0) vmcnt(0)
	;;#ASMEND
	s_barrier
.LBB6_5333:                             ;   in Loop: Header=BB6_3679 Depth=2
	s_or_b64 exec, exec, vcc
	v_and_b32_e32 v0, 16, v46
.LBB6_5334:                             ;   in Loop: Header=BB6_3679 Depth=2
	s_or_b64 exec, exec, s[28:29]
	v_cmp_ne_u32_e32 vcc, 0, v0
	s_xor_b64 s[28:29], s[12:13], -1
	s_and_b64 vcc, vcc, s[28:29]
	s_and_saveexec_b64 s[28:29], vcc
	s_cbranch_execz .LBB6_5336
; %bb.5335:                             ;   in Loop: Header=BB6_3679 Depth=2
	v_accvgpr_read_b32 v0, a24
	v_accvgpr_read_b32 v1, a25
	v_mov_b32_e32 v2, 1
	flat_store_dword v[0:1], v2
.LBB6_5336:                             ;   in Loop: Header=BB6_3679 Depth=2
	s_or_b64 exec, exec, s[28:29]
	v_and_b32_e32 v0, 48, v46
	v_cmp_ne_u32_e32 vcc, 0, v0
	s_and_saveexec_b64 s[28:29], vcc
	s_cbranch_execz .LBB6_3678
; %bb.5337:                             ;   in Loop: Header=BB6_3679 Depth=2
	v_add_co_u32_e32 v58, vcc, 2, v58
	v_accvgpr_read_b32 v0, a18
	v_addc_co_u32_e32 v59, vcc, 0, v59, vcc
	v_accvgpr_read_b32 v1, a19
	flat_store_dwordx2 v[0:1], v[58:59]
	s_branch .LBB6_3678
.LBB6_5338:                             ;   in Loop: Header=BB6_3679 Depth=2
	s_or_b64 exec, exec, s[64:65]
	v_accvgpr_mov_b32 a13, a3
	v_accvgpr_read_b32 v59, a5
	v_accvgpr_read_b32 v45, a55
	v_accvgpr_mov_b32 a12, a2
	v_accvgpr_read_b32 v58, a4
	v_accvgpr_read_b32 v40, a30
.LBB6_5339:                             ;   in Loop: Header=BB6_3679 Depth=2
	s_or_b64 exec, exec, s[34:35]
	v_lshlrev_b32_e32 v22, 11, v27
	v_cmp_ne_u32_e32 vcc, v44, v22
	s_mov_b64 s[28:29], 0
	v_mov_b32_e32 v8, 0
                                        ; implicit-def: $vgpr3
                                        ; implicit-def: $vgpr2
                                        ; implicit-def: $vgpr0
	s_and_saveexec_b64 s[64:65], vcc
	s_cbranch_execz .LBB6_6117
; %bb.5340:                             ;   in Loop: Header=BB6_3679 Depth=2
	v_lshlrev_b32_e32 v0, 6, v26
	v_accvgpr_read_b32 v2, a46
	v_sub_u32_e32 v0, v2, v0
	v_ashrrev_i32_e32 v2, 31, v0
	v_lshrrev_b32_e32 v2, 26, v2
	v_add_u32_e32 v2, v0, v2
	v_sub_u32_e32 v1, v44, v22
	v_ashrrev_i32_e32 v3, 6, v2
	v_and_b32_e32 v2, 0xffffffc0, v2
	v_sub_u32_e32 v23, v0, v2
	v_ashrrev_i32_e32 v2, 31, v1
	v_lshrrev_b32_e32 v2, 22, v2
	v_add_u32_e32 v2, v1, v2
	v_and_b32_e32 v24, 0xfffffc00, v2
	v_lshlrev_b32_e32 v0, 4, v23
	v_sub_u32_e32 v26, v1, v24
	v_lshl_add_u32 v0, v3, 10, v0
	v_ashrrev_i32_e32 v4, 10, v2
	v_cmp_lt_i32_e64 s[28:29], 15, v26
	v_sub_u32_e32 v27, v1, v0
	v_addc_co_u32_e64 v1, vcc, 0, v4, s[28:29]
	v_sub_u32_e32 v25, v1, v3
	v_cmp_lt_i32_e32 vcc, 15, v27
	s_and_saveexec_b64 s[66:67], vcc
	s_cbranch_execz .LBB6_6114
; %bb.5341:                             ;   in Loop: Header=BB6_3679 Depth=2
	s_trap 2
	ds_read_b128 v[4:7], v0
	v_add_u32_e32 v0, v0, v22
	v_ashrrev_i32_e32 v1, 31, v0
	s_bitcmp1_b32 s27, 0
	s_mov_b64 s[68:69], 0
	s_waitcnt lgkmcnt(0)
	v_add_co_u32_e32 v4, vcc, v4, v0
	v_addc_co_u32_e32 v5, vcc, v5, v1, vcc
	v_add_co_u32_e32 v16, vcc, v6, v0
	v_addc_co_u32_e32 v17, vcc, v7, v1, vcc
	s_cselect_b64 s[70:71], -1, 0
	v_pk_mov_b32 v[18:19], v[4:5], v[4:5] op_sel:[0,1]
	v_pk_mov_b32 v[20:21], v[16:17], v[16:17] op_sel:[0,1]
.LBB6_5342:                             ;   Parent Loop BB6_47 Depth=1
                                        ;     Parent Loop BB6_3679 Depth=2
                                        ; =>    This Loop Header: Depth=3
                                        ;         Child Loop BB6_6111 Depth 4
	global_load_dwordx4 v[0:3], v[18:19], off glc slc
	global_load_dwordx4 v[8:11], v[20:21], off glc slc
	s_and_b64 vcc, exec, s[70:71]
	s_waitcnt vmcnt(0)
	v_cmp_ne_u16_sdwa s[30:31], v0, v51 src0_sel:BYTE_0 src1_sel:DWORD
	s_cbranch_vccz .LBB6_5360
; %bb.5343:                             ;   in Loop: Header=BB6_5342 Depth=3
	v_mov_b32_e32 v7, 0
	v_mov_b32_e32 v6, 0
	s_and_saveexec_b64 s[34:35], s[30:31]
	s_cbranch_execz .LBB6_5351
; %bb.5344:                             ;   in Loop: Header=BB6_5342 Depth=3
	v_cmp_ne_u16_sdwa vcc, sext(v0), s94 src0_sel:BYTE_0 src1_sel:DWORD
	v_bfrev_b32_e32 v6, 1
	s_and_saveexec_b64 s[72:73], vcc
	s_cbranch_execz .LBB6_5350
; %bb.5345:                             ;   in Loop: Header=BB6_5342 Depth=3
	v_and_b32_e32 v6, 0x7c, v0
	v_and_b32_e32 v12, 3, v0
	v_cmp_ne_u32_e32 vcc, s95, v6
                                        ; implicit-def: $vgpr6
	s_and_saveexec_b64 s[74:75], vcc
	s_xor_b64 s[74:75], exec, s[74:75]
	s_cbranch_execz .LBB6_5347
; %bb.5346:                             ;   in Loop: Header=BB6_5342 Depth=3
	v_ffbh_u32_e32 v13, v12
	v_min_u32_e32 v13, 32, v13
	v_subrev_u32_e32 v14, 29, v13
	v_bfe_u32 v6, v0, 2, 5
	v_lshlrev_b64 v[14:15], v14, v[0:1]
	v_sub_u32_e32 v13, 30, v13
	v_and_b32_e32 v14, 3, v14
	v_cmp_eq_u32_e32 vcc, 0, v6
	v_cndmask_b32_e32 v6, v6, v13, vcc
	v_cndmask_b32_e32 v12, v12, v14, vcc
	v_bfrev_b32_e32 v14, 28
	v_lshlrev_b32_e32 v13, 24, v0
	v_lshl_add_u32 v6, v6, 23, v14
	v_and_or_b32 v6, v13, s96, v6
	v_lshl_or_b32 v6, v12, 21, v6
                                        ; implicit-def: $vgpr12
.LBB6_5347:                             ;   in Loop: Header=BB6_5342 Depth=3
	s_andn2_saveexec_b64 s[74:75], s[74:75]
; %bb.5348:                             ;   in Loop: Header=BB6_5342 Depth=3
	v_mov_b32_e32 v6, -1
	v_cmp_gt_i16_sdwa vcc, sext(v0), v6 src0_sel:BYTE_0 src1_sel:DWORD
	v_mov_b32_e32 v6, 0xc7600000
	v_mov_b32_e32 v13, 0x47600000
	v_cndmask_b32_e32 v6, v6, v13, vcc
	v_cmp_eq_u32_e32 vcc, 0, v12
	v_mov_b32_e32 v12, 0x7f800001
	v_cndmask_b32_e32 v6, v12, v6, vcc
; %bb.5349:                             ;   in Loop: Header=BB6_5342 Depth=3
	s_or_b64 exec, exec, s[74:75]
.LBB6_5350:                             ;   in Loop: Header=BB6_5342 Depth=3
	s_or_b64 exec, exec, s[72:73]
.LBB6_5351:                             ;   in Loop: Header=BB6_5342 Depth=3
	s_or_b64 exec, exec, s[34:35]
	v_cmp_ne_u16_sdwa vcc, sext(v8), v51 src0_sel:BYTE_0 src1_sel:DWORD
	s_and_saveexec_b64 s[34:35], vcc
	s_cbranch_execz .LBB6_5359
; %bb.5352:                             ;   in Loop: Header=BB6_5342 Depth=3
	v_cmp_ne_u16_sdwa vcc, sext(v8), s94 src0_sel:BYTE_0 src1_sel:DWORD
	v_bfrev_b32_e32 v7, 1
	s_and_saveexec_b64 s[72:73], vcc
	s_cbranch_execz .LBB6_5358
; %bb.5353:                             ;   in Loop: Header=BB6_5342 Depth=3
	v_and_b32_e32 v7, 0x7c, v8
	v_and_b32_e32 v12, 3, v8
	v_cmp_ne_u32_e32 vcc, s95, v7
                                        ; implicit-def: $vgpr7
	s_and_saveexec_b64 s[74:75], vcc
	s_xor_b64 s[74:75], exec, s[74:75]
	s_cbranch_execz .LBB6_5355
; %bb.5354:                             ;   in Loop: Header=BB6_5342 Depth=3
	v_ffbh_u32_e32 v13, v12
	v_min_u32_e32 v13, 32, v13
	v_subrev_u32_e32 v14, 29, v13
	v_bfe_u32 v7, v8, 2, 5
	v_lshlrev_b64 v[14:15], v14, v[8:9]
	v_sub_u32_e32 v13, 30, v13
	v_and_b32_e32 v14, 3, v14
	v_cmp_eq_u32_e32 vcc, 0, v7
	v_cndmask_b32_e32 v7, v7, v13, vcc
	v_cndmask_b32_e32 v12, v12, v14, vcc
	v_bfrev_b32_e32 v14, 28
	v_lshlrev_b32_e32 v13, 24, v8
	v_lshl_add_u32 v7, v7, 23, v14
	v_and_or_b32 v7, v13, s96, v7
	v_lshl_or_b32 v7, v12, 21, v7
                                        ; implicit-def: $vgpr12
.LBB6_5355:                             ;   in Loop: Header=BB6_5342 Depth=3
	s_andn2_saveexec_b64 s[74:75], s[74:75]
; %bb.5356:                             ;   in Loop: Header=BB6_5342 Depth=3
	v_mov_b32_e32 v7, -1
	v_cmp_gt_i16_sdwa vcc, sext(v8), v7 src0_sel:BYTE_0 src1_sel:DWORD
	v_mov_b32_e32 v7, 0xc7600000
	v_mov_b32_e32 v13, 0x47600000
	v_cndmask_b32_e32 v7, v7, v13, vcc
	v_cmp_eq_u32_e32 vcc, 0, v12
	v_mov_b32_e32 v12, 0x7f800001
	v_cndmask_b32_e32 v7, v12, v7, vcc
; %bb.5357:                             ;   in Loop: Header=BB6_5342 Depth=3
	s_or_b64 exec, exec, s[74:75]
.LBB6_5358:                             ;   in Loop: Header=BB6_5342 Depth=3
	s_or_b64 exec, exec, s[72:73]
.LBB6_5359:                             ;   in Loop: Header=BB6_5342 Depth=3
	s_or_b64 exec, exec, s[34:35]
	v_max_f32_e32 v7, v7, v7
	v_max_f32_e32 v6, v6, v6
	v_max_f32_e32 v6, v6, v7
	s_branch .LBB6_5378
.LBB6_5360:                             ;   in Loop: Header=BB6_5342 Depth=3
                                        ; implicit-def: $vgpr6
	s_cbranch_execz .LBB6_5378
; %bb.5361:                             ;   in Loop: Header=BB6_5342 Depth=3
	v_mov_b32_e32 v7, 0
	v_mov_b32_e32 v6, 0
	s_and_saveexec_b64 s[34:35], s[30:31]
	s_cbranch_execz .LBB6_5369
; %bb.5362:                             ;   in Loop: Header=BB6_5342 Depth=3
	v_cmp_ne_u16_sdwa vcc, sext(v0), s94 src0_sel:BYTE_0 src1_sel:DWORD
	v_bfrev_b32_e32 v6, 1
	s_and_saveexec_b64 s[30:31], vcc
	s_cbranch_execz .LBB6_5368
; %bb.5363:                             ;   in Loop: Header=BB6_5342 Depth=3
	v_and_b32_e32 v6, 0x7c, v0
	v_and_b32_e32 v12, 3, v0
	v_cmp_ne_u32_e32 vcc, s95, v6
                                        ; implicit-def: $vgpr6
	s_and_saveexec_b64 s[72:73], vcc
	s_xor_b64 s[72:73], exec, s[72:73]
	s_cbranch_execz .LBB6_5365
; %bb.5364:                             ;   in Loop: Header=BB6_5342 Depth=3
	v_ffbh_u32_e32 v13, v12
	v_min_u32_e32 v13, 32, v13
	v_subrev_u32_e32 v14, 29, v13
	v_bfe_u32 v6, v0, 2, 5
	v_lshlrev_b64 v[14:15], v14, v[0:1]
	v_sub_u32_e32 v13, 30, v13
	v_and_b32_e32 v14, 3, v14
	v_cmp_eq_u32_e32 vcc, 0, v6
	v_cndmask_b32_e32 v6, v6, v13, vcc
	v_cndmask_b32_e32 v12, v12, v14, vcc
	v_bfrev_b32_e32 v14, 28
	v_lshlrev_b32_e32 v13, 24, v0
	v_lshl_add_u32 v6, v6, 23, v14
	v_and_or_b32 v6, v13, s96, v6
	v_lshl_or_b32 v6, v12, 21, v6
                                        ; implicit-def: $vgpr12
.LBB6_5365:                             ;   in Loop: Header=BB6_5342 Depth=3
	s_andn2_saveexec_b64 s[72:73], s[72:73]
; %bb.5366:                             ;   in Loop: Header=BB6_5342 Depth=3
	v_mov_b32_e32 v6, -1
	v_cmp_gt_i16_sdwa vcc, sext(v0), v6 src0_sel:BYTE_0 src1_sel:DWORD
	v_mov_b32_e32 v6, 0xc7600000
	v_mov_b32_e32 v13, 0x47600000
	v_cndmask_b32_e32 v6, v6, v13, vcc
	v_cmp_eq_u32_e32 vcc, 0, v12
	v_mov_b32_e32 v12, 0x7f800001
	v_cndmask_b32_e32 v6, v12, v6, vcc
; %bb.5367:                             ;   in Loop: Header=BB6_5342 Depth=3
	s_or_b64 exec, exec, s[72:73]
.LBB6_5368:                             ;   in Loop: Header=BB6_5342 Depth=3
	s_or_b64 exec, exec, s[30:31]
.LBB6_5369:                             ;   in Loop: Header=BB6_5342 Depth=3
	s_or_b64 exec, exec, s[34:35]
	v_cmp_ne_u16_sdwa vcc, sext(v8), v51 src0_sel:BYTE_0 src1_sel:DWORD
	s_and_saveexec_b64 s[30:31], vcc
	s_cbranch_execz .LBB6_5377
; %bb.5370:                             ;   in Loop: Header=BB6_5342 Depth=3
	v_cmp_ne_u16_sdwa vcc, sext(v8), s94 src0_sel:BYTE_0 src1_sel:DWORD
	v_bfrev_b32_e32 v7, 1
	s_and_saveexec_b64 s[34:35], vcc
	s_cbranch_execz .LBB6_5376
; %bb.5371:                             ;   in Loop: Header=BB6_5342 Depth=3
	v_and_b32_e32 v7, 0x7c, v8
	v_and_b32_e32 v12, 3, v8
	v_cmp_ne_u32_e32 vcc, s95, v7
                                        ; implicit-def: $vgpr7
	s_and_saveexec_b64 s[72:73], vcc
	s_xor_b64 s[72:73], exec, s[72:73]
	s_cbranch_execz .LBB6_5373
; %bb.5372:                             ;   in Loop: Header=BB6_5342 Depth=3
	v_ffbh_u32_e32 v13, v12
	v_min_u32_e32 v13, 32, v13
	v_subrev_u32_e32 v14, 29, v13
	v_bfe_u32 v7, v8, 2, 5
	v_lshlrev_b64 v[14:15], v14, v[8:9]
	v_sub_u32_e32 v13, 30, v13
	v_and_b32_e32 v14, 3, v14
	v_cmp_eq_u32_e32 vcc, 0, v7
	v_cndmask_b32_e32 v7, v7, v13, vcc
	v_cndmask_b32_e32 v12, v12, v14, vcc
	v_bfrev_b32_e32 v14, 28
	v_lshlrev_b32_e32 v13, 24, v8
	v_lshl_add_u32 v7, v7, 23, v14
	v_and_or_b32 v7, v13, s96, v7
	v_lshl_or_b32 v7, v12, 21, v7
                                        ; implicit-def: $vgpr12
.LBB6_5373:                             ;   in Loop: Header=BB6_5342 Depth=3
	s_andn2_saveexec_b64 s[72:73], s[72:73]
; %bb.5374:                             ;   in Loop: Header=BB6_5342 Depth=3
	v_mov_b32_e32 v7, -1
	v_cmp_gt_i16_sdwa vcc, sext(v8), v7 src0_sel:BYTE_0 src1_sel:DWORD
	v_mov_b32_e32 v7, 0xc7600000
	v_mov_b32_e32 v13, 0x47600000
	v_cndmask_b32_e32 v7, v7, v13, vcc
	v_cmp_eq_u32_e32 vcc, 0, v12
	v_mov_b32_e32 v12, 0x7f800001
	v_cndmask_b32_e32 v7, v12, v7, vcc
; %bb.5375:                             ;   in Loop: Header=BB6_5342 Depth=3
	s_or_b64 exec, exec, s[72:73]
.LBB6_5376:                             ;   in Loop: Header=BB6_5342 Depth=3
	s_or_b64 exec, exec, s[34:35]
.LBB6_5377:                             ;   in Loop: Header=BB6_5342 Depth=3
	s_or_b64 exec, exec, s[30:31]
	v_max_f32_e32 v7, v7, v7
	v_max_f32_e32 v6, v6, v6
	v_min_f32_e32 v6, v6, v7
.LBB6_5378:                             ;   in Loop: Header=BB6_5342 Depth=3
	v_and_b32_sdwa v12, v6, s97 dst_sel:DWORD dst_unused:UNUSED_PAD src0_sel:BYTE_3 src1_sel:DWORD
	v_and_b32_e32 v14, 0x7f800000, v6
	v_mov_b32_e32 v15, v51
	v_and_b32_e32 v50, 0x7fffff, v6
	v_or_b32_e32 v28, 0x7b, v12
	v_cmp_ne_u64_e32 vcc, s[52:53], v[14:15]
	s_and_saveexec_b64 s[30:31], vcc
	s_xor_b64 s[34:35], exec, s[30:31]
	s_cbranch_execz .LBB6_5388
; %bb.5379:                             ;   in Loop: Header=BB6_5342 Depth=3
	v_and_b32_e32 v14, 0x7fffffff, v6
	v_mov_b32_e32 v15, v51
	v_cmp_gt_u64_e32 vcc, s[54:55], v[14:15]
	s_and_saveexec_b64 s[72:73], vcc
	s_cbranch_execz .LBB6_5387
; %bb.5380:                             ;   in Loop: Header=BB6_5342 Depth=3
	v_cmp_ne_u32_e32 vcc, 0, v6
	v_mov_b32_e32 v28, 0
	s_and_saveexec_b64 s[74:75], vcc
	s_cbranch_execz .LBB6_5386
; %bb.5381:                             ;   in Loop: Header=BB6_5342 Depth=3
	v_bfe_u32 v6, v6, 23, 8
	v_cmp_eq_u32_e32 vcc, 0, v6
	v_add_u32_e32 v7, 0xffffff81, v6
	v_cmp_gt_u32_e64 s[30:31], s38, v6
	v_sub_u32_e32 v6, 0x71, v6
	v_mov_b32_e32 v14, 0xffffff82
	v_cndmask_b32_e64 v6, 0, v6, s[30:31]
	v_cndmask_b32_e32 v28, v7, v14, vcc
	v_mov_b32_e32 v7, 0x70
	v_cndmask_b32_e32 v29, v6, v7, vcc
	v_add_u32_e32 v6, 21, v29
	v_or_b32_e32 v13, 0x800000, v50
	v_lshlrev_b64 v[6:7], v6, -1
	v_cndmask_b32_e32 v50, v13, v50, vcc
	v_not_b32_e32 v7, v7
	v_not_b32_e32 v6, v6
	v_add_u32_e32 v13, 20, v29
	v_and_b32_e32 v7, 0, v7
	v_and_b32_e32 v6, v50, v6
	v_lshlrev_b64 v[14:15], v13, 1
	v_cmp_eq_u64_e32 vcc, v[6:7], v[14:15]
	v_lshrrev_b64 v[6:7], v29, v[50:51]
	v_lshrrev_b32_e32 v13, 23, v6
	v_add3_u32 v15, v29, v28, v13
	v_bfe_u32 v13, v6, 21, 1
	v_add_u32_e32 v13, -1, v13
	v_cndmask_b32_e32 v13, 0, v13, vcc
	v_add_u32_e32 v13, v13, v6
	v_and_b32_e32 v13, 0x1fffff, v13
	v_add_co_u32_e32 v6, vcc, v13, v6
	v_add_u32_e32 v14, 14, v15
	v_addc_co_u32_e32 v7, vcc, 0, v7, vcc
	v_cmp_ne_u32_e32 vcc, 0, v14
                                        ; implicit-def: $vgpr13
	s_and_saveexec_b64 s[30:31], vcc
	s_xor_b64 s[30:31], exec, s[30:31]
; %bb.5382:                             ;   in Loop: Header=BB6_5342 Depth=3
	v_add_u32_e32 v13, 15, v15
	v_cmp_lt_u64_e32 vcc, s[56:57], v[6:7]
	v_cndmask_b32_e32 v13, v14, v13, vcc
	v_cndmask_b32_e64 v14, 0, 1, vcc
	v_lshrrev_b64 v[6:7], v14, v[6:7]
; %bb.5383:                             ;   in Loop: Header=BB6_5342 Depth=3
	s_andn2_saveexec_b64 vcc, s[30:31]
; %bb.5384:                             ;   in Loop: Header=BB6_5342 Depth=3
	v_bfe_u32 v13, v6, 23, 1
; %bb.5385:                             ;   in Loop: Header=BB6_5342 Depth=3
	s_or_b64 exec, exec, vcc
	v_lshrrev_b64 v[6:7], 21, v[6:7]
	v_cmp_gt_i32_e32 vcc, 32, v13
	v_cndmask_b32_e32 v7, 0, v7, vcc
	v_cndmask_b32_e32 v6, 3, v6, vcc
	v_cmp_eq_u64_e64 s[30:31], 0, v[6:7]
	v_min_i32_e32 v7, 31, v13
	v_cmp_eq_u32_e32 vcc, 0, v13
	v_lshlrev_b32_e32 v7, 2, v7
	v_and_or_b32 v6, v6, 3, v7
	s_and_b64 vcc, vcc, s[30:31]
	v_cndmask_b32_e64 v6, v6, 0, vcc
	v_or_b32_e32 v28, v6, v12
.LBB6_5386:                             ;   in Loop: Header=BB6_5342 Depth=3
	s_or_b64 exec, exec, s[74:75]
.LBB6_5387:                             ;   in Loop: Header=BB6_5342 Depth=3
	s_or_b64 exec, exec, s[72:73]
                                        ; implicit-def: $vgpr6
.LBB6_5388:                             ;   in Loop: Header=BB6_5342 Depth=3
	s_andn2_saveexec_b64 s[30:31], s[34:35]
; %bb.5389:                             ;   in Loop: Header=BB6_5342 Depth=3
	v_or_b32_sdwa v6, v6, s39 dst_sel:DWORD dst_unused:UNUSED_PAD src0_sel:BYTE_3 src1_sel:DWORD
	v_cmp_eq_u64_e32 vcc, 0, v[50:51]
	v_cndmask_b32_e32 v28, v6, v28, vcc
; %bb.5390:                             ;   in Loop: Header=BB6_5342 Depth=3
	s_or_b64 exec, exec, s[30:31]
	v_lshrrev_b16_e32 v50, 8, v0
	v_lshrrev_b16_e32 v6, 8, v8
	v_cmp_ne_u16_e64 s[30:31], 0, v50
	s_and_b64 vcc, exec, s[70:71]
	s_cbranch_vccz .LBB6_5408
; %bb.5391:                             ;   in Loop: Header=BB6_5342 Depth=3
	v_mov_b32_e32 v7, 0
	v_mov_b32_e32 v12, 0
	s_and_saveexec_b64 s[34:35], s[30:31]
	s_cbranch_execz .LBB6_5399
; %bb.5392:                             ;   in Loop: Header=BB6_5342 Depth=3
	v_cmp_ne_u16_e32 vcc, s97, v50
	v_bfrev_b32_e32 v12, 1
	s_and_saveexec_b64 s[72:73], vcc
	s_cbranch_execz .LBB6_5398
; %bb.5393:                             ;   in Loop: Header=BB6_5342 Depth=3
	v_and_b32_e32 v12, 0x7c, v50
	v_and_b32_e32 v13, 3, v50
	v_cmp_ne_u32_e32 vcc, s95, v12
                                        ; implicit-def: $vgpr12
	s_and_saveexec_b64 s[74:75], vcc
	s_xor_b64 s[74:75], exec, s[74:75]
	s_cbranch_execz .LBB6_5395
; %bb.5394:                             ;   in Loop: Header=BB6_5342 Depth=3
	v_ffbh_u32_e32 v14, v13
	v_min_u32_e32 v29, 32, v14
	v_subrev_u32_e32 v14, 29, v29
	v_bfe_u32 v12, v50, 2, 5
	v_lshlrev_b64 v[14:15], v14, v[50:51]
	v_sub_u32_e32 v15, 30, v29
	v_cmp_eq_u32_e32 vcc, 0, v12
	v_and_b32_e32 v14, 3, v14
	v_cndmask_b32_e32 v12, v12, v15, vcc
	v_bfrev_b32_e32 v15, 28
	v_cndmask_b32_e32 v13, v13, v14, vcc
	v_lshlrev_b32_e32 v14, 16, v0
	v_lshl_add_u32 v12, v12, 23, v15
	v_and_or_b32 v12, v14, s96, v12
	v_lshl_or_b32 v12, v13, 21, v12
                                        ; implicit-def: $vgpr13
.LBB6_5395:                             ;   in Loop: Header=BB6_5342 Depth=3
	s_andn2_saveexec_b64 s[74:75], s[74:75]
; %bb.5396:                             ;   in Loop: Header=BB6_5342 Depth=3
	v_cmp_lt_i16_e32 vcc, -1, v0
	v_mov_b32_e32 v12, 0xc7600000
	v_mov_b32_e32 v14, 0x47600000
	v_cndmask_b32_e32 v12, v12, v14, vcc
	v_cmp_eq_u32_e32 vcc, 0, v13
	v_mov_b32_e32 v13, 0x7f800001
	v_cndmask_b32_e32 v12, v13, v12, vcc
; %bb.5397:                             ;   in Loop: Header=BB6_5342 Depth=3
	s_or_b64 exec, exec, s[74:75]
.LBB6_5398:                             ;   in Loop: Header=BB6_5342 Depth=3
	s_or_b64 exec, exec, s[72:73]
.LBB6_5399:                             ;   in Loop: Header=BB6_5342 Depth=3
	s_or_b64 exec, exec, s[34:35]
	v_cmp_ne_u16_e32 vcc, 0, v6
	s_and_saveexec_b64 s[34:35], vcc
	s_cbranch_execz .LBB6_5407
; %bb.5400:                             ;   in Loop: Header=BB6_5342 Depth=3
	v_cmp_ne_u16_e32 vcc, s97, v6
	v_bfrev_b32_e32 v7, 1
	s_and_saveexec_b64 s[72:73], vcc
	s_cbranch_execz .LBB6_5406
; %bb.5401:                             ;   in Loop: Header=BB6_5342 Depth=3
	v_and_b32_e32 v7, 0x7c, v6
	v_and_b32_e32 v13, 3, v6
	v_cmp_ne_u32_e32 vcc, s95, v7
                                        ; implicit-def: $vgpr7
	s_and_saveexec_b64 s[74:75], vcc
	s_xor_b64 s[74:75], exec, s[74:75]
	s_cbranch_execz .LBB6_5403
; %bb.5402:                             ;   in Loop: Header=BB6_5342 Depth=3
	v_ffbh_u32_e32 v14, v13
	v_min_u32_e32 v30, 32, v14
	v_mov_b32_e32 v7, v51
	v_bfe_u32 v29, v6, 2, 5
	v_subrev_u32_e32 v14, 29, v30
	v_lshlrev_b64 v[14:15], v14, v[6:7]
	v_sub_u32_e32 v7, 30, v30
	v_cmp_eq_u32_e32 vcc, 0, v29
	v_and_b32_e32 v14, 3, v14
	v_cndmask_b32_e32 v7, v29, v7, vcc
	v_bfrev_b32_e32 v15, 28
	v_cndmask_b32_e32 v13, v13, v14, vcc
	v_lshlrev_b32_e32 v14, 16, v8
	v_lshl_add_u32 v7, v7, 23, v15
	v_and_or_b32 v7, v14, s96, v7
	v_lshl_or_b32 v7, v13, 21, v7
                                        ; implicit-def: $vgpr13
.LBB6_5403:                             ;   in Loop: Header=BB6_5342 Depth=3
	s_andn2_saveexec_b64 s[74:75], s[74:75]
; %bb.5404:                             ;   in Loop: Header=BB6_5342 Depth=3
	v_cmp_lt_i16_e32 vcc, -1, v8
	v_mov_b32_e32 v7, 0xc7600000
	v_mov_b32_e32 v14, 0x47600000
	v_cndmask_b32_e32 v7, v7, v14, vcc
	v_cmp_eq_u32_e32 vcc, 0, v13
	v_mov_b32_e32 v13, 0x7f800001
	v_cndmask_b32_e32 v7, v13, v7, vcc
; %bb.5405:                             ;   in Loop: Header=BB6_5342 Depth=3
	s_or_b64 exec, exec, s[74:75]
.LBB6_5406:                             ;   in Loop: Header=BB6_5342 Depth=3
	s_or_b64 exec, exec, s[72:73]
.LBB6_5407:                             ;   in Loop: Header=BB6_5342 Depth=3
	s_or_b64 exec, exec, s[34:35]
	v_max_f32_e32 v7, v7, v7
	v_max_f32_e32 v12, v12, v12
	v_max_f32_e32 v7, v12, v7
	s_branch .LBB6_5426
.LBB6_5408:                             ;   in Loop: Header=BB6_5342 Depth=3
                                        ; implicit-def: $vgpr7
	s_cbranch_execz .LBB6_5426
; %bb.5409:                             ;   in Loop: Header=BB6_5342 Depth=3
	v_mov_b32_e32 v7, 0
	v_mov_b32_e32 v12, 0
	s_and_saveexec_b64 s[34:35], s[30:31]
	s_cbranch_execz .LBB6_5417
; %bb.5410:                             ;   in Loop: Header=BB6_5342 Depth=3
	v_cmp_ne_u16_e32 vcc, s97, v50
	v_bfrev_b32_e32 v12, 1
	s_and_saveexec_b64 s[30:31], vcc
	s_cbranch_execz .LBB6_5416
; %bb.5411:                             ;   in Loop: Header=BB6_5342 Depth=3
	v_and_b32_e32 v12, 0x7c, v50
	v_and_b32_e32 v13, 3, v50
	v_cmp_ne_u32_e32 vcc, s95, v12
                                        ; implicit-def: $vgpr12
	s_and_saveexec_b64 s[72:73], vcc
	s_xor_b64 s[72:73], exec, s[72:73]
	s_cbranch_execz .LBB6_5413
; %bb.5412:                             ;   in Loop: Header=BB6_5342 Depth=3
	v_ffbh_u32_e32 v14, v13
	v_min_u32_e32 v29, 32, v14
	v_subrev_u32_e32 v14, 29, v29
	v_bfe_u32 v12, v50, 2, 5
	v_lshlrev_b64 v[14:15], v14, v[50:51]
	v_sub_u32_e32 v15, 30, v29
	v_cmp_eq_u32_e32 vcc, 0, v12
	v_and_b32_e32 v14, 3, v14
	v_cndmask_b32_e32 v12, v12, v15, vcc
	v_bfrev_b32_e32 v15, 28
	v_cndmask_b32_e32 v13, v13, v14, vcc
	v_lshlrev_b32_e32 v14, 16, v0
	v_lshl_add_u32 v12, v12, 23, v15
	v_and_or_b32 v12, v14, s96, v12
	v_lshl_or_b32 v12, v13, 21, v12
                                        ; implicit-def: $vgpr13
.LBB6_5413:                             ;   in Loop: Header=BB6_5342 Depth=3
	s_andn2_saveexec_b64 s[72:73], s[72:73]
; %bb.5414:                             ;   in Loop: Header=BB6_5342 Depth=3
	v_cmp_lt_i16_e32 vcc, -1, v0
	v_mov_b32_e32 v12, 0xc7600000
	v_mov_b32_e32 v14, 0x47600000
	v_cndmask_b32_e32 v12, v12, v14, vcc
	v_cmp_eq_u32_e32 vcc, 0, v13
	v_mov_b32_e32 v13, 0x7f800001
	v_cndmask_b32_e32 v12, v13, v12, vcc
; %bb.5415:                             ;   in Loop: Header=BB6_5342 Depth=3
	s_or_b64 exec, exec, s[72:73]
.LBB6_5416:                             ;   in Loop: Header=BB6_5342 Depth=3
	s_or_b64 exec, exec, s[30:31]
.LBB6_5417:                             ;   in Loop: Header=BB6_5342 Depth=3
	s_or_b64 exec, exec, s[34:35]
	v_cmp_ne_u16_e32 vcc, 0, v6
	s_and_saveexec_b64 s[30:31], vcc
	s_cbranch_execz .LBB6_5425
; %bb.5418:                             ;   in Loop: Header=BB6_5342 Depth=3
	v_cmp_ne_u16_e32 vcc, s97, v6
	v_bfrev_b32_e32 v7, 1
	s_and_saveexec_b64 s[34:35], vcc
	s_cbranch_execz .LBB6_5424
; %bb.5419:                             ;   in Loop: Header=BB6_5342 Depth=3
	v_and_b32_e32 v7, 0x7c, v6
	v_and_b32_e32 v13, 3, v6
	v_cmp_ne_u32_e32 vcc, s95, v7
                                        ; implicit-def: $vgpr7
	s_and_saveexec_b64 s[72:73], vcc
	s_xor_b64 s[72:73], exec, s[72:73]
	s_cbranch_execz .LBB6_5421
; %bb.5420:                             ;   in Loop: Header=BB6_5342 Depth=3
	v_ffbh_u32_e32 v15, v13
	v_min_u32_e32 v15, 32, v15
	v_mov_b32_e32 v7, v51
	v_subrev_u32_e32 v29, 29, v15
	v_bfe_u32 v14, v6, 2, 5
	v_lshlrev_b64 v[6:7], v29, v[6:7]
	v_sub_u32_e32 v7, 30, v15
	v_cmp_eq_u32_e32 vcc, 0, v14
	v_and_b32_e32 v6, 3, v6
	v_cndmask_b32_e32 v7, v14, v7, vcc
	v_bfrev_b32_e32 v14, 28
	v_cndmask_b32_e32 v6, v13, v6, vcc
	v_lshlrev_b32_e32 v13, 16, v8
	v_lshl_add_u32 v7, v7, 23, v14
	v_and_or_b32 v7, v13, s96, v7
	v_lshl_or_b32 v7, v6, 21, v7
                                        ; implicit-def: $vgpr13
.LBB6_5421:                             ;   in Loop: Header=BB6_5342 Depth=3
	s_andn2_saveexec_b64 s[72:73], s[72:73]
; %bb.5422:                             ;   in Loop: Header=BB6_5342 Depth=3
	v_cmp_lt_i16_e32 vcc, -1, v8
	v_mov_b32_e32 v6, 0xc7600000
	v_mov_b32_e32 v7, 0x47600000
	v_cndmask_b32_e32 v6, v6, v7, vcc
	v_cmp_eq_u32_e32 vcc, 0, v13
	v_mov_b32_e32 v7, 0x7f800001
	v_cndmask_b32_e32 v7, v7, v6, vcc
; %bb.5423:                             ;   in Loop: Header=BB6_5342 Depth=3
	s_or_b64 exec, exec, s[72:73]
.LBB6_5424:                             ;   in Loop: Header=BB6_5342 Depth=3
	s_or_b64 exec, exec, s[34:35]
.LBB6_5425:                             ;   in Loop: Header=BB6_5342 Depth=3
	s_or_b64 exec, exec, s[30:31]
	v_max_f32_e32 v6, v7, v7
	v_max_f32_e32 v7, v12, v12
	v_min_f32_e32 v7, v7, v6
.LBB6_5426:                             ;   in Loop: Header=BB6_5342 Depth=3
	v_and_b32_sdwa v12, v7, s97 dst_sel:DWORD dst_unused:UNUSED_PAD src0_sel:BYTE_3 src1_sel:DWORD
	v_and_b32_e32 v14, 0x7f800000, v7
	v_mov_b32_e32 v15, v51
	v_and_b32_e32 v50, 0x7fffff, v7
	v_or_b32_e32 v29, 0x7b, v12
	v_cmp_ne_u64_e32 vcc, s[52:53], v[14:15]
	s_and_saveexec_b64 s[30:31], vcc
	s_xor_b64 s[34:35], exec, s[30:31]
	s_cbranch_execz .LBB6_5436
; %bb.5427:                             ;   in Loop: Header=BB6_5342 Depth=3
	v_and_b32_e32 v14, 0x7fffffff, v7
	v_mov_b32_e32 v15, v51
	v_cmp_gt_u64_e32 vcc, s[54:55], v[14:15]
	s_and_saveexec_b64 s[72:73], vcc
	s_cbranch_execz .LBB6_5435
; %bb.5428:                             ;   in Loop: Header=BB6_5342 Depth=3
	v_cmp_ne_u32_e32 vcc, 0, v7
	v_mov_b32_e32 v29, 0
	s_and_saveexec_b64 s[74:75], vcc
	s_cbranch_execz .LBB6_5434
; %bb.5429:                             ;   in Loop: Header=BB6_5342 Depth=3
	v_bfe_u32 v6, v7, 23, 8
	v_cmp_eq_u32_e32 vcc, 0, v6
	v_add_u32_e32 v7, 0xffffff81, v6
	v_cmp_gt_u32_e64 s[30:31], s38, v6
	v_sub_u32_e32 v6, 0x71, v6
	v_mov_b32_e32 v14, 0xffffff82
	v_cndmask_b32_e64 v6, 0, v6, s[30:31]
	v_cndmask_b32_e32 v29, v7, v14, vcc
	v_mov_b32_e32 v7, 0x70
	v_cndmask_b32_e32 v30, v6, v7, vcc
	v_add_u32_e32 v6, 21, v30
	v_or_b32_e32 v13, 0x800000, v50
	v_lshlrev_b64 v[6:7], v6, -1
	v_cndmask_b32_e32 v50, v13, v50, vcc
	v_not_b32_e32 v7, v7
	v_not_b32_e32 v6, v6
	v_add_u32_e32 v13, 20, v30
	v_and_b32_e32 v7, 0, v7
	v_and_b32_e32 v6, v50, v6
	v_lshlrev_b64 v[14:15], v13, 1
	v_cmp_eq_u64_e32 vcc, v[6:7], v[14:15]
	v_lshrrev_b64 v[6:7], v30, v[50:51]
	v_lshrrev_b32_e32 v13, 23, v6
	v_add3_u32 v15, v30, v29, v13
	v_bfe_u32 v13, v6, 21, 1
	v_add_u32_e32 v13, -1, v13
	v_cndmask_b32_e32 v13, 0, v13, vcc
	v_add_u32_e32 v13, v13, v6
	v_and_b32_e32 v13, 0x1fffff, v13
	v_add_co_u32_e32 v6, vcc, v13, v6
	v_add_u32_e32 v14, 14, v15
	v_addc_co_u32_e32 v7, vcc, 0, v7, vcc
	v_cmp_ne_u32_e32 vcc, 0, v14
                                        ; implicit-def: $vgpr13
	s_and_saveexec_b64 s[30:31], vcc
	s_xor_b64 s[30:31], exec, s[30:31]
; %bb.5430:                             ;   in Loop: Header=BB6_5342 Depth=3
	v_add_u32_e32 v13, 15, v15
	v_cmp_lt_u64_e32 vcc, s[56:57], v[6:7]
	v_cndmask_b32_e32 v13, v14, v13, vcc
	v_cndmask_b32_e64 v14, 0, 1, vcc
	v_lshrrev_b64 v[6:7], v14, v[6:7]
; %bb.5431:                             ;   in Loop: Header=BB6_5342 Depth=3
	s_andn2_saveexec_b64 vcc, s[30:31]
; %bb.5432:                             ;   in Loop: Header=BB6_5342 Depth=3
	v_bfe_u32 v13, v6, 23, 1
; %bb.5433:                             ;   in Loop: Header=BB6_5342 Depth=3
	s_or_b64 exec, exec, vcc
	v_lshrrev_b64 v[6:7], 21, v[6:7]
	v_cmp_gt_i32_e32 vcc, 32, v13
	v_cndmask_b32_e32 v7, 0, v7, vcc
	v_cndmask_b32_e32 v6, 3, v6, vcc
	v_cmp_eq_u64_e64 s[30:31], 0, v[6:7]
	v_min_i32_e32 v7, 31, v13
	v_cmp_eq_u32_e32 vcc, 0, v13
	v_lshlrev_b32_e32 v7, 2, v7
	v_and_or_b32 v6, v6, 3, v7
	s_and_b64 vcc, vcc, s[30:31]
	v_cndmask_b32_e64 v6, v6, 0, vcc
	v_or_b32_e32 v29, v6, v12
.LBB6_5434:                             ;   in Loop: Header=BB6_5342 Depth=3
	s_or_b64 exec, exec, s[74:75]
.LBB6_5435:                             ;   in Loop: Header=BB6_5342 Depth=3
	s_or_b64 exec, exec, s[72:73]
                                        ; implicit-def: $vgpr7
.LBB6_5436:                             ;   in Loop: Header=BB6_5342 Depth=3
	s_andn2_saveexec_b64 s[30:31], s[34:35]
; %bb.5437:                             ;   in Loop: Header=BB6_5342 Depth=3
	v_or_b32_sdwa v6, v7, s39 dst_sel:DWORD dst_unused:UNUSED_PAD src0_sel:BYTE_3 src1_sel:DWORD
	v_cmp_eq_u64_e32 vcc, 0, v[50:51]
	v_cndmask_b32_e32 v29, v6, v29, vcc
; %bb.5438:                             ;   in Loop: Header=BB6_5342 Depth=3
	s_or_b64 exec, exec, s[30:31]
	v_lshrrev_b32_e32 v12, 16, v0
	v_lshrrev_b32_e32 v6, 16, v8
	v_cmp_ne_u16_sdwa s[30:31], v12, v51 src0_sel:BYTE_0 src1_sel:DWORD
	s_and_b64 vcc, exec, s[70:71]
	s_cbranch_vccz .LBB6_5456
; %bb.5439:                             ;   in Loop: Header=BB6_5342 Depth=3
	v_mov_b32_e32 v13, 0
	v_mov_b32_e32 v7, 0
	s_and_saveexec_b64 s[34:35], s[30:31]
	s_cbranch_execz .LBB6_5447
; %bb.5440:                             ;   in Loop: Header=BB6_5342 Depth=3
	v_cmp_ne_u16_sdwa vcc, v12, s97 src0_sel:BYTE_0 src1_sel:DWORD
	v_bfrev_b32_e32 v7, 1
	s_and_saveexec_b64 s[72:73], vcc
	s_cbranch_execz .LBB6_5446
; %bb.5441:                             ;   in Loop: Header=BB6_5342 Depth=3
	v_and_b32_e32 v7, 0x7c0000, v0
	v_bfe_u32 v14, v0, 16, 2
	v_cmp_ne_u32_e32 vcc, s36, v7
                                        ; implicit-def: $vgpr7
	s_and_saveexec_b64 s[74:75], vcc
	s_xor_b64 s[74:75], exec, s[74:75]
	s_cbranch_execz .LBB6_5443
; %bb.5442:                             ;   in Loop: Header=BB6_5342 Depth=3
	v_ffbh_u32_e32 v15, v14
	v_min_u32_e32 v15, 32, v15
	v_subrev_u32_e32 v30, 29, v15
	v_bfe_u32 v7, v0, 18, 5
	v_lshlrev_b64 v[30:31], v30, v[12:13]
	v_sub_u32_e32 v15, 30, v15
	v_and_b32_e32 v30, 3, v30
	v_cmp_eq_u32_e32 vcc, 0, v7
	v_cndmask_b32_e32 v7, v7, v15, vcc
	v_cndmask_b32_e32 v14, v14, v30, vcc
	v_bfrev_b32_e32 v30, 28
	v_lshlrev_b32_e32 v15, 24, v12
	v_lshl_add_u32 v7, v7, 23, v30
	v_and_or_b32 v7, v15, s96, v7
	v_lshl_or_b32 v7, v14, 21, v7
                                        ; implicit-def: $vgpr14
.LBB6_5443:                             ;   in Loop: Header=BB6_5342 Depth=3
	s_andn2_saveexec_b64 s[74:75], s[74:75]
; %bb.5444:                             ;   in Loop: Header=BB6_5342 Depth=3
	v_mov_b32_e32 v7, -1
	v_cmp_gt_i16_sdwa vcc, sext(v12), v7 src0_sel:BYTE_0 src1_sel:DWORD
	v_mov_b32_e32 v7, 0xc7600000
	v_mov_b32_e32 v15, 0x47600000
	v_cndmask_b32_e32 v7, v7, v15, vcc
	v_cmp_eq_u32_e32 vcc, 0, v14
	v_mov_b32_e32 v14, 0x7f800001
	v_cndmask_b32_e32 v7, v14, v7, vcc
; %bb.5445:                             ;   in Loop: Header=BB6_5342 Depth=3
	s_or_b64 exec, exec, s[74:75]
.LBB6_5446:                             ;   in Loop: Header=BB6_5342 Depth=3
	s_or_b64 exec, exec, s[72:73]
.LBB6_5447:                             ;   in Loop: Header=BB6_5342 Depth=3
	s_or_b64 exec, exec, s[34:35]
	v_cmp_ne_u16_sdwa vcc, v6, v51 src0_sel:BYTE_0 src1_sel:DWORD
	s_and_saveexec_b64 s[34:35], vcc
	s_cbranch_execz .LBB6_5455
; %bb.5448:                             ;   in Loop: Header=BB6_5342 Depth=3
	v_cmp_ne_u16_sdwa vcc, v6, s97 src0_sel:BYTE_0 src1_sel:DWORD
	v_bfrev_b32_e32 v13, 1
	s_and_saveexec_b64 s[72:73], vcc
	s_cbranch_execz .LBB6_5454
; %bb.5449:                             ;   in Loop: Header=BB6_5342 Depth=3
	v_and_b32_e32 v13, 0x7c0000, v8
	v_bfe_u32 v14, v8, 16, 2
	v_cmp_ne_u32_e32 vcc, s36, v13
                                        ; implicit-def: $vgpr13
	s_and_saveexec_b64 s[74:75], vcc
	s_xor_b64 s[74:75], exec, s[74:75]
	s_cbranch_execz .LBB6_5451
; %bb.5450:                             ;   in Loop: Header=BB6_5342 Depth=3
	v_ffbh_u32_e32 v15, v14
	v_min_u32_e32 v15, 32, v15
	v_subrev_u32_e32 v30, 29, v15
	v_bfe_u32 v13, v8, 18, 5
	v_lshlrev_b64 v[30:31], v30, v[6:7]
	v_sub_u32_e32 v15, 30, v15
	v_and_b32_e32 v30, 3, v30
	v_cmp_eq_u32_e32 vcc, 0, v13
	v_cndmask_b32_e32 v13, v13, v15, vcc
	v_cndmask_b32_e32 v14, v14, v30, vcc
	v_bfrev_b32_e32 v30, 28
	v_lshlrev_b32_e32 v15, 24, v6
	v_lshl_add_u32 v13, v13, 23, v30
	v_and_or_b32 v13, v15, s96, v13
	v_lshl_or_b32 v13, v14, 21, v13
                                        ; implicit-def: $vgpr14
.LBB6_5451:                             ;   in Loop: Header=BB6_5342 Depth=3
	s_andn2_saveexec_b64 s[74:75], s[74:75]
; %bb.5452:                             ;   in Loop: Header=BB6_5342 Depth=3
	v_mov_b32_e32 v13, -1
	v_cmp_gt_i16_sdwa vcc, sext(v6), v13 src0_sel:BYTE_0 src1_sel:DWORD
	v_mov_b32_e32 v13, 0xc7600000
	v_mov_b32_e32 v15, 0x47600000
	v_cndmask_b32_e32 v13, v13, v15, vcc
	v_cmp_eq_u32_e32 vcc, 0, v14
	v_mov_b32_e32 v14, 0x7f800001
	v_cndmask_b32_e32 v13, v14, v13, vcc
; %bb.5453:                             ;   in Loop: Header=BB6_5342 Depth=3
	s_or_b64 exec, exec, s[74:75]
.LBB6_5454:                             ;   in Loop: Header=BB6_5342 Depth=3
	s_or_b64 exec, exec, s[72:73]
.LBB6_5455:                             ;   in Loop: Header=BB6_5342 Depth=3
	s_or_b64 exec, exec, s[34:35]
	v_max_f32_e32 v13, v13, v13
	v_max_f32_e32 v7, v7, v7
	;; [unrolled: 1-line block ×3, first 2 shown]
	s_branch .LBB6_5474
.LBB6_5456:                             ;   in Loop: Header=BB6_5342 Depth=3
                                        ; implicit-def: $vgpr7
	s_cbranch_execz .LBB6_5474
; %bb.5457:                             ;   in Loop: Header=BB6_5342 Depth=3
	v_mov_b32_e32 v13, 0
	v_mov_b32_e32 v7, 0
	s_and_saveexec_b64 s[34:35], s[30:31]
	s_cbranch_execz .LBB6_5465
; %bb.5458:                             ;   in Loop: Header=BB6_5342 Depth=3
	v_cmp_ne_u16_sdwa vcc, v12, s97 src0_sel:BYTE_0 src1_sel:DWORD
	v_bfrev_b32_e32 v7, 1
	s_and_saveexec_b64 s[30:31], vcc
	s_cbranch_execz .LBB6_5464
; %bb.5459:                             ;   in Loop: Header=BB6_5342 Depth=3
	v_and_b32_e32 v7, 0x7c0000, v0
	v_bfe_u32 v14, v0, 16, 2
	v_cmp_ne_u32_e32 vcc, s36, v7
                                        ; implicit-def: $vgpr7
	s_and_saveexec_b64 s[72:73], vcc
	s_xor_b64 s[72:73], exec, s[72:73]
	s_cbranch_execz .LBB6_5461
; %bb.5460:                             ;   in Loop: Header=BB6_5342 Depth=3
	v_ffbh_u32_e32 v15, v14
	v_bfe_u32 v7, v0, 18, 5
	v_min_u32_e32 v15, 32, v15
	v_subrev_u32_e32 v30, 29, v15
	v_sub_u32_e32 v15, 30, v15
	v_cmp_eq_u32_e32 vcc, 0, v7
	v_lshlrev_b64 v[30:31], v30, v[12:13]
	v_cndmask_b32_e32 v7, v7, v15, vcc
	v_bfrev_b32_e32 v15, 28
	v_and_b32_e32 v30, 3, v30
	v_lshlrev_b32_e32 v12, 24, v12
	v_lshl_add_u32 v7, v7, 23, v15
	v_cndmask_b32_e32 v14, v14, v30, vcc
	v_and_or_b32 v7, v12, s96, v7
	v_lshl_or_b32 v7, v14, 21, v7
                                        ; implicit-def: $vgpr14
                                        ; implicit-def: $vgpr12
.LBB6_5461:                             ;   in Loop: Header=BB6_5342 Depth=3
	s_andn2_saveexec_b64 s[72:73], s[72:73]
; %bb.5462:                             ;   in Loop: Header=BB6_5342 Depth=3
	v_mov_b32_e32 v7, -1
	v_cmp_gt_i16_sdwa vcc, sext(v12), v7 src0_sel:BYTE_0 src1_sel:DWORD
	v_mov_b32_e32 v7, 0xc7600000
	v_mov_b32_e32 v12, 0x47600000
	v_cndmask_b32_e32 v7, v7, v12, vcc
	v_cmp_eq_u32_e32 vcc, 0, v14
	v_mov_b32_e32 v12, 0x7f800001
	v_cndmask_b32_e32 v7, v12, v7, vcc
; %bb.5463:                             ;   in Loop: Header=BB6_5342 Depth=3
	s_or_b64 exec, exec, s[72:73]
.LBB6_5464:                             ;   in Loop: Header=BB6_5342 Depth=3
	s_or_b64 exec, exec, s[30:31]
.LBB6_5465:                             ;   in Loop: Header=BB6_5342 Depth=3
	s_or_b64 exec, exec, s[34:35]
	v_cmp_ne_u16_sdwa vcc, v6, v51 src0_sel:BYTE_0 src1_sel:DWORD
	s_and_saveexec_b64 s[30:31], vcc
	s_cbranch_execz .LBB6_5473
; %bb.5466:                             ;   in Loop: Header=BB6_5342 Depth=3
	v_cmp_ne_u16_sdwa vcc, v6, s97 src0_sel:BYTE_0 src1_sel:DWORD
	v_bfrev_b32_e32 v13, 1
	s_and_saveexec_b64 s[34:35], vcc
	s_cbranch_execz .LBB6_5472
; %bb.5467:                             ;   in Loop: Header=BB6_5342 Depth=3
	v_and_b32_e32 v13, 0x7c0000, v8
	v_bfe_u32 v12, v8, 16, 2
	v_cmp_ne_u32_e32 vcc, s36, v13
                                        ; implicit-def: $vgpr13
	s_and_saveexec_b64 s[72:73], vcc
	s_xor_b64 s[72:73], exec, s[72:73]
	s_cbranch_execz .LBB6_5469
; %bb.5468:                             ;   in Loop: Header=BB6_5342 Depth=3
	v_ffbh_u32_e32 v14, v12
	v_min_u32_e32 v30, 32, v14
	v_subrev_u32_e32 v14, 29, v30
	v_bfe_u32 v13, v8, 18, 5
	v_lshlrev_b64 v[14:15], v14, v[6:7]
	v_sub_u32_e32 v15, 30, v30
	v_and_b32_e32 v14, 3, v14
	v_cmp_eq_u32_e32 vcc, 0, v13
	v_cndmask_b32_e32 v13, v13, v15, vcc
	v_cndmask_b32_e32 v12, v12, v14, vcc
	v_bfrev_b32_e32 v14, 28
	v_lshlrev_b32_e32 v6, 24, v6
	v_lshl_add_u32 v13, v13, 23, v14
	v_and_or_b32 v6, v6, s96, v13
	v_lshl_or_b32 v13, v12, 21, v6
                                        ; implicit-def: $vgpr12
                                        ; implicit-def: $vgpr6
.LBB6_5469:                             ;   in Loop: Header=BB6_5342 Depth=3
	s_andn2_saveexec_b64 s[72:73], s[72:73]
; %bb.5470:                             ;   in Loop: Header=BB6_5342 Depth=3
	v_mov_b32_e32 v13, -1
	v_cmp_gt_i16_sdwa vcc, sext(v6), v13 src0_sel:BYTE_0 src1_sel:DWORD
	v_mov_b32_e32 v6, 0xc7600000
	v_mov_b32_e32 v13, 0x47600000
	v_cndmask_b32_e32 v6, v6, v13, vcc
	v_cmp_eq_u32_e32 vcc, 0, v12
	v_mov_b32_e32 v12, 0x7f800001
	v_cndmask_b32_e32 v13, v12, v6, vcc
; %bb.5471:                             ;   in Loop: Header=BB6_5342 Depth=3
	s_or_b64 exec, exec, s[72:73]
.LBB6_5472:                             ;   in Loop: Header=BB6_5342 Depth=3
	s_or_b64 exec, exec, s[34:35]
.LBB6_5473:                             ;   in Loop: Header=BB6_5342 Depth=3
	s_or_b64 exec, exec, s[30:31]
	v_max_f32_e32 v6, v13, v13
	v_max_f32_e32 v7, v7, v7
	v_min_f32_e32 v7, v7, v6
.LBB6_5474:                             ;   in Loop: Header=BB6_5342 Depth=3
	v_and_b32_sdwa v12, v7, s97 dst_sel:DWORD dst_unused:UNUSED_PAD src0_sel:BYTE_3 src1_sel:DWORD
	v_and_b32_e32 v14, 0x7f800000, v7
	v_mov_b32_e32 v15, v51
	v_and_b32_e32 v50, 0x7fffff, v7
	v_or_b32_e32 v30, 0x7b, v12
	v_cmp_ne_u64_e32 vcc, s[52:53], v[14:15]
	s_and_saveexec_b64 s[30:31], vcc
	s_xor_b64 s[34:35], exec, s[30:31]
	s_cbranch_execz .LBB6_5484
; %bb.5475:                             ;   in Loop: Header=BB6_5342 Depth=3
	v_and_b32_e32 v14, 0x7fffffff, v7
	v_mov_b32_e32 v15, v51
	v_cmp_gt_u64_e32 vcc, s[54:55], v[14:15]
	s_and_saveexec_b64 s[72:73], vcc
	s_cbranch_execz .LBB6_5483
; %bb.5476:                             ;   in Loop: Header=BB6_5342 Depth=3
	v_cmp_ne_u32_e32 vcc, 0, v7
	v_mov_b32_e32 v30, 0
	s_and_saveexec_b64 s[74:75], vcc
	s_cbranch_execz .LBB6_5482
; %bb.5477:                             ;   in Loop: Header=BB6_5342 Depth=3
	v_bfe_u32 v6, v7, 23, 8
	v_cmp_eq_u32_e32 vcc, 0, v6
	v_add_u32_e32 v7, 0xffffff81, v6
	v_cmp_gt_u32_e64 s[30:31], s38, v6
	v_sub_u32_e32 v6, 0x71, v6
	v_mov_b32_e32 v14, 0xffffff82
	v_cndmask_b32_e64 v6, 0, v6, s[30:31]
	v_cndmask_b32_e32 v30, v7, v14, vcc
	v_mov_b32_e32 v7, 0x70
	v_cndmask_b32_e32 v31, v6, v7, vcc
	v_add_u32_e32 v6, 21, v31
	v_or_b32_e32 v13, 0x800000, v50
	v_lshlrev_b64 v[6:7], v6, -1
	v_cndmask_b32_e32 v50, v13, v50, vcc
	v_not_b32_e32 v7, v7
	v_not_b32_e32 v6, v6
	v_add_u32_e32 v13, 20, v31
	v_and_b32_e32 v7, 0, v7
	v_and_b32_e32 v6, v50, v6
	v_lshlrev_b64 v[14:15], v13, 1
	v_cmp_eq_u64_e32 vcc, v[6:7], v[14:15]
	v_lshrrev_b64 v[6:7], v31, v[50:51]
	v_lshrrev_b32_e32 v13, 23, v6
	v_add3_u32 v15, v31, v30, v13
	v_bfe_u32 v13, v6, 21, 1
	v_add_u32_e32 v13, -1, v13
	v_cndmask_b32_e32 v13, 0, v13, vcc
	v_add_u32_e32 v13, v13, v6
	v_and_b32_e32 v13, 0x1fffff, v13
	v_add_co_u32_e32 v6, vcc, v13, v6
	v_add_u32_e32 v14, 14, v15
	v_addc_co_u32_e32 v7, vcc, 0, v7, vcc
	v_cmp_ne_u32_e32 vcc, 0, v14
                                        ; implicit-def: $vgpr13
	s_and_saveexec_b64 s[30:31], vcc
	s_xor_b64 s[30:31], exec, s[30:31]
; %bb.5478:                             ;   in Loop: Header=BB6_5342 Depth=3
	v_add_u32_e32 v13, 15, v15
	v_cmp_lt_u64_e32 vcc, s[56:57], v[6:7]
	v_cndmask_b32_e32 v13, v14, v13, vcc
	v_cndmask_b32_e64 v14, 0, 1, vcc
	v_lshrrev_b64 v[6:7], v14, v[6:7]
; %bb.5479:                             ;   in Loop: Header=BB6_5342 Depth=3
	s_andn2_saveexec_b64 vcc, s[30:31]
; %bb.5480:                             ;   in Loop: Header=BB6_5342 Depth=3
	v_bfe_u32 v13, v6, 23, 1
; %bb.5481:                             ;   in Loop: Header=BB6_5342 Depth=3
	s_or_b64 exec, exec, vcc
	v_lshrrev_b64 v[6:7], 21, v[6:7]
	v_cmp_gt_i32_e32 vcc, 32, v13
	v_cndmask_b32_e32 v7, 0, v7, vcc
	v_cndmask_b32_e32 v6, 3, v6, vcc
	v_cmp_eq_u64_e64 s[30:31], 0, v[6:7]
	v_min_i32_e32 v7, 31, v13
	v_cmp_eq_u32_e32 vcc, 0, v13
	v_lshlrev_b32_e32 v7, 2, v7
	v_and_or_b32 v6, v6, 3, v7
	s_and_b64 vcc, vcc, s[30:31]
	v_cndmask_b32_e64 v6, v6, 0, vcc
	v_or_b32_e32 v30, v6, v12
.LBB6_5482:                             ;   in Loop: Header=BB6_5342 Depth=3
	s_or_b64 exec, exec, s[74:75]
.LBB6_5483:                             ;   in Loop: Header=BB6_5342 Depth=3
	s_or_b64 exec, exec, s[72:73]
                                        ; implicit-def: $vgpr7
.LBB6_5484:                             ;   in Loop: Header=BB6_5342 Depth=3
	s_andn2_saveexec_b64 s[30:31], s[34:35]
; %bb.5485:                             ;   in Loop: Header=BB6_5342 Depth=3
	v_or_b32_sdwa v6, v7, s39 dst_sel:DWORD dst_unused:UNUSED_PAD src0_sel:BYTE_3 src1_sel:DWORD
	v_cmp_eq_u64_e32 vcc, 0, v[50:51]
	v_cndmask_b32_e32 v30, v6, v30, vcc
; %bb.5486:                             ;   in Loop: Header=BB6_5342 Depth=3
	s_or_b64 exec, exec, s[30:31]
	v_lshrrev_b32_e32 v12, 24, v0
	v_lshrrev_b32_e32 v6, 24, v8
	v_cmp_lt_u32_e64 s[30:31], s43, v0
	s_and_b64 vcc, exec, s[70:71]
	s_cbranch_vccz .LBB6_5504
; %bb.5487:                             ;   in Loop: Header=BB6_5342 Depth=3
	v_mov_b32_e32 v13, 0
	v_mov_b32_e32 v7, 0
	s_and_saveexec_b64 s[34:35], s[30:31]
	s_cbranch_execz .LBB6_5495
; %bb.5488:                             ;   in Loop: Header=BB6_5342 Depth=3
	v_cmp_ne_u32_e32 vcc, s97, v12
	v_bfrev_b32_e32 v7, 1
	s_and_saveexec_b64 s[72:73], vcc
	s_cbranch_execz .LBB6_5494
; %bb.5489:                             ;   in Loop: Header=BB6_5342 Depth=3
	v_and_b32_e32 v7, 0x7c000000, v0
	v_bfe_u32 v14, v0, 24, 2
	v_cmp_ne_u32_e32 vcc, s37, v7
                                        ; implicit-def: $vgpr7
	s_and_saveexec_b64 s[74:75], vcc
	s_xor_b64 s[74:75], exec, s[74:75]
	s_cbranch_execz .LBB6_5491
; %bb.5490:                             ;   in Loop: Header=BB6_5342 Depth=3
	v_ffbh_u32_e32 v15, v14
	v_bfe_u32 v7, v0, 26, 5
	v_min_u32_e32 v15, 32, v15
	v_subrev_u32_e32 v31, 29, v15
	v_sub_u32_e32 v15, 30, v15
	v_cmp_eq_u32_e32 vcc, 0, v7
	v_lshlrev_b64 v[32:33], v31, v[12:13]
	v_cndmask_b32_e32 v7, v7, v15, vcc
	v_bfrev_b32_e32 v15, 28
	v_and_b32_e32 v31, 3, v32
	v_lshl_add_u32 v7, v7, 23, v15
	v_cndmask_b32_e32 v14, v14, v31, vcc
	v_and_or_b32 v7, v0, s96, v7
	v_lshl_or_b32 v7, v14, 21, v7
                                        ; implicit-def: $vgpr14
.LBB6_5491:                             ;   in Loop: Header=BB6_5342 Depth=3
	s_andn2_saveexec_b64 s[74:75], s[74:75]
; %bb.5492:                             ;   in Loop: Header=BB6_5342 Depth=3
	v_cmp_lt_i32_e32 vcc, -1, v0
	v_mov_b32_e32 v7, 0xc7600000
	v_mov_b32_e32 v15, 0x47600000
	v_cndmask_b32_e32 v7, v7, v15, vcc
	v_cmp_eq_u32_e32 vcc, 0, v14
	v_mov_b32_e32 v14, 0x7f800001
	v_cndmask_b32_e32 v7, v14, v7, vcc
; %bb.5493:                             ;   in Loop: Header=BB6_5342 Depth=3
	s_or_b64 exec, exec, s[74:75]
.LBB6_5494:                             ;   in Loop: Header=BB6_5342 Depth=3
	s_or_b64 exec, exec, s[72:73]
.LBB6_5495:                             ;   in Loop: Header=BB6_5342 Depth=3
	s_or_b64 exec, exec, s[34:35]
	v_cmp_lt_u32_e32 vcc, s43, v8
	s_and_saveexec_b64 s[34:35], vcc
	s_cbranch_execz .LBB6_5503
; %bb.5496:                             ;   in Loop: Header=BB6_5342 Depth=3
	v_cmp_ne_u32_e32 vcc, s97, v6
	v_bfrev_b32_e32 v13, 1
	s_and_saveexec_b64 s[72:73], vcc
	s_cbranch_execz .LBB6_5502
; %bb.5497:                             ;   in Loop: Header=BB6_5342 Depth=3
	v_and_b32_e32 v13, 0x7c000000, v8
	v_bfe_u32 v14, v8, 24, 2
	v_cmp_ne_u32_e32 vcc, s37, v13
                                        ; implicit-def: $vgpr13
	s_and_saveexec_b64 s[74:75], vcc
	s_xor_b64 s[74:75], exec, s[74:75]
	s_cbranch_execz .LBB6_5499
; %bb.5498:                             ;   in Loop: Header=BB6_5342 Depth=3
	v_ffbh_u32_e32 v15, v14
	v_bfe_u32 v13, v8, 26, 5
	v_min_u32_e32 v15, 32, v15
	v_subrev_u32_e32 v31, 29, v15
	v_sub_u32_e32 v15, 30, v15
	v_cmp_eq_u32_e32 vcc, 0, v13
	v_lshlrev_b64 v[32:33], v31, v[6:7]
	v_cndmask_b32_e32 v13, v13, v15, vcc
	v_bfrev_b32_e32 v15, 28
	v_and_b32_e32 v31, 3, v32
	v_lshl_add_u32 v13, v13, 23, v15
	v_cndmask_b32_e32 v14, v14, v31, vcc
	v_and_or_b32 v13, v8, s96, v13
	v_lshl_or_b32 v13, v14, 21, v13
                                        ; implicit-def: $vgpr14
.LBB6_5499:                             ;   in Loop: Header=BB6_5342 Depth=3
	s_andn2_saveexec_b64 s[74:75], s[74:75]
; %bb.5500:                             ;   in Loop: Header=BB6_5342 Depth=3
	v_cmp_lt_i32_e32 vcc, -1, v8
	v_mov_b32_e32 v13, 0xc7600000
	v_mov_b32_e32 v15, 0x47600000
	v_cndmask_b32_e32 v13, v13, v15, vcc
	v_cmp_eq_u32_e32 vcc, 0, v14
	v_mov_b32_e32 v14, 0x7f800001
	v_cndmask_b32_e32 v13, v14, v13, vcc
; %bb.5501:                             ;   in Loop: Header=BB6_5342 Depth=3
	s_or_b64 exec, exec, s[74:75]
.LBB6_5502:                             ;   in Loop: Header=BB6_5342 Depth=3
	s_or_b64 exec, exec, s[72:73]
.LBB6_5503:                             ;   in Loop: Header=BB6_5342 Depth=3
	s_or_b64 exec, exec, s[34:35]
	v_max_f32_e32 v13, v13, v13
	v_max_f32_e32 v7, v7, v7
	;; [unrolled: 1-line block ×3, first 2 shown]
	s_branch .LBB6_5522
.LBB6_5504:                             ;   in Loop: Header=BB6_5342 Depth=3
                                        ; implicit-def: $vgpr7
	s_cbranch_execz .LBB6_5522
; %bb.5505:                             ;   in Loop: Header=BB6_5342 Depth=3
	v_mov_b32_e32 v13, 0
	v_mov_b32_e32 v7, 0
	s_and_saveexec_b64 s[34:35], s[30:31]
	s_cbranch_execz .LBB6_5513
; %bb.5506:                             ;   in Loop: Header=BB6_5342 Depth=3
	v_cmp_ne_u32_e32 vcc, s97, v12
	v_bfrev_b32_e32 v7, 1
	s_and_saveexec_b64 s[30:31], vcc
	s_cbranch_execz .LBB6_5512
; %bb.5507:                             ;   in Loop: Header=BB6_5342 Depth=3
	v_and_b32_e32 v7, 0x7c000000, v0
	v_bfe_u32 v14, v0, 24, 2
	v_cmp_ne_u32_e32 vcc, s37, v7
                                        ; implicit-def: $vgpr7
	s_and_saveexec_b64 s[72:73], vcc
	s_xor_b64 s[72:73], exec, s[72:73]
	s_cbranch_execz .LBB6_5509
; %bb.5508:                             ;   in Loop: Header=BB6_5342 Depth=3
	v_ffbh_u32_e32 v15, v14
	v_min_u32_e32 v15, 32, v15
	v_subrev_u32_e32 v31, 29, v15
	v_bfe_u32 v7, v0, 26, 5
	v_lshlrev_b64 v[32:33], v31, v[12:13]
	v_sub_u32_e32 v12, 30, v15
	v_and_b32_e32 v15, 3, v32
	v_cmp_eq_u32_e32 vcc, 0, v7
	v_cndmask_b32_e32 v7, v7, v12, vcc
	v_cndmask_b32_e32 v12, v14, v15, vcc
	v_bfrev_b32_e32 v14, 28
	v_lshl_add_u32 v7, v7, 23, v14
	v_and_or_b32 v7, v0, s96, v7
	v_lshl_or_b32 v7, v12, 21, v7
                                        ; implicit-def: $vgpr14
.LBB6_5509:                             ;   in Loop: Header=BB6_5342 Depth=3
	s_andn2_saveexec_b64 s[72:73], s[72:73]
; %bb.5510:                             ;   in Loop: Header=BB6_5342 Depth=3
	v_cmp_lt_i32_e32 vcc, -1, v0
	v_mov_b32_e32 v7, 0xc7600000
	v_mov_b32_e32 v12, 0x47600000
	v_cndmask_b32_e32 v7, v7, v12, vcc
	v_cmp_eq_u32_e32 vcc, 0, v14
	v_mov_b32_e32 v12, 0x7f800001
	v_cndmask_b32_e32 v7, v12, v7, vcc
; %bb.5511:                             ;   in Loop: Header=BB6_5342 Depth=3
	s_or_b64 exec, exec, s[72:73]
.LBB6_5512:                             ;   in Loop: Header=BB6_5342 Depth=3
	s_or_b64 exec, exec, s[30:31]
.LBB6_5513:                             ;   in Loop: Header=BB6_5342 Depth=3
	s_or_b64 exec, exec, s[34:35]
	v_cmp_lt_u32_e32 vcc, s43, v8
	s_and_saveexec_b64 s[30:31], vcc
	s_cbranch_execz .LBB6_5521
; %bb.5514:                             ;   in Loop: Header=BB6_5342 Depth=3
	v_cmp_ne_u32_e32 vcc, s97, v6
	v_bfrev_b32_e32 v13, 1
	s_and_saveexec_b64 s[34:35], vcc
	s_cbranch_execz .LBB6_5520
; %bb.5515:                             ;   in Loop: Header=BB6_5342 Depth=3
	v_and_b32_e32 v13, 0x7c000000, v8
	v_bfe_u32 v12, v8, 24, 2
	v_cmp_ne_u32_e32 vcc, s37, v13
                                        ; implicit-def: $vgpr13
	s_and_saveexec_b64 s[72:73], vcc
	s_xor_b64 s[72:73], exec, s[72:73]
	s_cbranch_execz .LBB6_5517
; %bb.5516:                             ;   in Loop: Header=BB6_5342 Depth=3
	v_ffbh_u32_e32 v14, v12
	v_min_u32_e32 v31, 32, v14
	v_bfe_u32 v13, v8, 26, 5
	v_subrev_u32_e32 v14, 29, v31
	v_lshlrev_b64 v[14:15], v14, v[6:7]
	v_sub_u32_e32 v6, 30, v31
	v_cmp_eq_u32_e32 vcc, 0, v13
	v_cndmask_b32_e32 v6, v13, v6, vcc
	v_bfrev_b32_e32 v13, 28
	v_and_b32_e32 v14, 3, v14
	v_lshl_add_u32 v6, v6, 23, v13
	v_cndmask_b32_e32 v12, v12, v14, vcc
	v_and_or_b32 v6, v8, s96, v6
	v_lshl_or_b32 v13, v12, 21, v6
                                        ; implicit-def: $vgpr12
.LBB6_5517:                             ;   in Loop: Header=BB6_5342 Depth=3
	s_andn2_saveexec_b64 s[72:73], s[72:73]
; %bb.5518:                             ;   in Loop: Header=BB6_5342 Depth=3
	v_cmp_lt_i32_e32 vcc, -1, v8
	v_mov_b32_e32 v6, 0xc7600000
	v_mov_b32_e32 v13, 0x47600000
	v_cndmask_b32_e32 v6, v6, v13, vcc
	v_cmp_eq_u32_e32 vcc, 0, v12
	v_mov_b32_e32 v12, 0x7f800001
	v_cndmask_b32_e32 v13, v12, v6, vcc
; %bb.5519:                             ;   in Loop: Header=BB6_5342 Depth=3
	s_or_b64 exec, exec, s[72:73]
.LBB6_5520:                             ;   in Loop: Header=BB6_5342 Depth=3
	s_or_b64 exec, exec, s[34:35]
.LBB6_5521:                             ;   in Loop: Header=BB6_5342 Depth=3
	s_or_b64 exec, exec, s[30:31]
	v_max_f32_e32 v6, v13, v13
	v_max_f32_e32 v7, v7, v7
	v_min_f32_e32 v7, v7, v6
.LBB6_5522:                             ;   in Loop: Header=BB6_5342 Depth=3
	v_and_b32_sdwa v12, v7, s97 dst_sel:DWORD dst_unused:UNUSED_PAD src0_sel:BYTE_3 src1_sel:DWORD
	v_and_b32_e32 v14, 0x7f800000, v7
	v_mov_b32_e32 v15, v51
	v_and_b32_e32 v50, 0x7fffff, v7
	v_or_b32_e32 v31, 0x7b, v12
	v_cmp_ne_u64_e32 vcc, s[52:53], v[14:15]
	s_and_saveexec_b64 s[30:31], vcc
	s_xor_b64 s[34:35], exec, s[30:31]
	s_cbranch_execz .LBB6_5532
; %bb.5523:                             ;   in Loop: Header=BB6_5342 Depth=3
	v_and_b32_e32 v14, 0x7fffffff, v7
	v_mov_b32_e32 v15, v51
	v_cmp_gt_u64_e32 vcc, s[54:55], v[14:15]
	s_and_saveexec_b64 s[72:73], vcc
	s_cbranch_execz .LBB6_5531
; %bb.5524:                             ;   in Loop: Header=BB6_5342 Depth=3
	v_cmp_ne_u32_e32 vcc, 0, v7
	v_mov_b32_e32 v31, 0
	s_and_saveexec_b64 s[74:75], vcc
	s_cbranch_execz .LBB6_5530
; %bb.5525:                             ;   in Loop: Header=BB6_5342 Depth=3
	v_bfe_u32 v6, v7, 23, 8
	v_cmp_eq_u32_e32 vcc, 0, v6
	v_add_u32_e32 v7, 0xffffff81, v6
	v_cmp_gt_u32_e64 s[30:31], s38, v6
	v_sub_u32_e32 v6, 0x71, v6
	v_mov_b32_e32 v14, 0xffffff82
	v_cndmask_b32_e64 v6, 0, v6, s[30:31]
	v_cndmask_b32_e32 v31, v7, v14, vcc
	v_mov_b32_e32 v7, 0x70
	v_cndmask_b32_e32 v32, v6, v7, vcc
	v_add_u32_e32 v6, 21, v32
	v_or_b32_e32 v13, 0x800000, v50
	v_lshlrev_b64 v[6:7], v6, -1
	v_cndmask_b32_e32 v50, v13, v50, vcc
	v_not_b32_e32 v7, v7
	v_not_b32_e32 v6, v6
	v_add_u32_e32 v13, 20, v32
	v_and_b32_e32 v7, 0, v7
	v_and_b32_e32 v6, v50, v6
	v_lshlrev_b64 v[14:15], v13, 1
	v_cmp_eq_u64_e32 vcc, v[6:7], v[14:15]
	v_lshrrev_b64 v[6:7], v32, v[50:51]
	v_lshrrev_b32_e32 v13, 23, v6
	v_add3_u32 v15, v32, v31, v13
	v_bfe_u32 v13, v6, 21, 1
	v_add_u32_e32 v13, -1, v13
	v_cndmask_b32_e32 v13, 0, v13, vcc
	v_add_u32_e32 v13, v13, v6
	v_and_b32_e32 v13, 0x1fffff, v13
	v_add_co_u32_e32 v6, vcc, v13, v6
	v_add_u32_e32 v14, 14, v15
	v_addc_co_u32_e32 v7, vcc, 0, v7, vcc
	v_cmp_ne_u32_e32 vcc, 0, v14
                                        ; implicit-def: $vgpr13
	s_and_saveexec_b64 s[30:31], vcc
	s_xor_b64 s[30:31], exec, s[30:31]
; %bb.5526:                             ;   in Loop: Header=BB6_5342 Depth=3
	v_add_u32_e32 v13, 15, v15
	v_cmp_lt_u64_e32 vcc, s[56:57], v[6:7]
	v_cndmask_b32_e32 v13, v14, v13, vcc
	v_cndmask_b32_e64 v14, 0, 1, vcc
	v_lshrrev_b64 v[6:7], v14, v[6:7]
; %bb.5527:                             ;   in Loop: Header=BB6_5342 Depth=3
	s_andn2_saveexec_b64 vcc, s[30:31]
; %bb.5528:                             ;   in Loop: Header=BB6_5342 Depth=3
	v_bfe_u32 v13, v6, 23, 1
; %bb.5529:                             ;   in Loop: Header=BB6_5342 Depth=3
	s_or_b64 exec, exec, vcc
	v_lshrrev_b64 v[6:7], 21, v[6:7]
	v_cmp_gt_i32_e32 vcc, 32, v13
	v_cndmask_b32_e32 v7, 0, v7, vcc
	v_cndmask_b32_e32 v6, 3, v6, vcc
	v_cmp_eq_u64_e64 s[30:31], 0, v[6:7]
	v_min_i32_e32 v7, 31, v13
	v_cmp_eq_u32_e32 vcc, 0, v13
	v_lshlrev_b32_e32 v7, 2, v7
	v_and_or_b32 v6, v6, 3, v7
	s_and_b64 vcc, vcc, s[30:31]
	v_cndmask_b32_e64 v6, v6, 0, vcc
	v_or_b32_e32 v31, v6, v12
.LBB6_5530:                             ;   in Loop: Header=BB6_5342 Depth=3
	s_or_b64 exec, exec, s[74:75]
.LBB6_5531:                             ;   in Loop: Header=BB6_5342 Depth=3
	s_or_b64 exec, exec, s[72:73]
                                        ; implicit-def: $vgpr7
.LBB6_5532:                             ;   in Loop: Header=BB6_5342 Depth=3
	s_andn2_saveexec_b64 s[30:31], s[34:35]
; %bb.5533:                             ;   in Loop: Header=BB6_5342 Depth=3
	v_or_b32_sdwa v6, v7, s39 dst_sel:DWORD dst_unused:UNUSED_PAD src0_sel:BYTE_3 src1_sel:DWORD
	v_cmp_eq_u64_e32 vcc, 0, v[50:51]
	v_cndmask_b32_e32 v31, v6, v31, vcc
; %bb.5534:                             ;   in Loop: Header=BB6_5342 Depth=3
	s_or_b64 exec, exec, s[30:31]
	v_mov_b32_e32 v50, v1
	v_mov_b32_e32 v6, v9
	;; [unrolled: 1-line block ×3, first 2 shown]
	v_cmp_ne_u16_sdwa s[30:31], v1, v51 src0_sel:BYTE_0 src1_sel:DWORD
	s_and_b64 vcc, exec, s[70:71]
	s_cbranch_vccz .LBB6_5552
; %bb.5535:                             ;   in Loop: Header=BB6_5342 Depth=3
	v_mov_b32_e32 v13, 0
	v_mov_b32_e32 v12, 0
	s_and_saveexec_b64 s[34:35], s[30:31]
	s_cbranch_execz .LBB6_5543
; %bb.5536:                             ;   in Loop: Header=BB6_5342 Depth=3
	v_cmp_ne_u16_sdwa vcc, v1, s97 src0_sel:BYTE_0 src1_sel:DWORD
	v_bfrev_b32_e32 v12, 1
	s_and_saveexec_b64 s[72:73], vcc
	s_cbranch_execz .LBB6_5542
; %bb.5537:                             ;   in Loop: Header=BB6_5342 Depth=3
	v_and_b32_e32 v12, 0x7c, v1
	v_and_b32_e32 v14, 3, v1
	v_cmp_ne_u32_e32 vcc, s95, v12
                                        ; implicit-def: $vgpr12
	s_and_saveexec_b64 s[74:75], vcc
	s_xor_b64 s[74:75], exec, s[74:75]
	s_cbranch_execz .LBB6_5539
; %bb.5538:                             ;   in Loop: Header=BB6_5342 Depth=3
	v_ffbh_u32_e32 v15, v14
	v_min_u32_e32 v15, 32, v15
	v_subrev_u32_e32 v32, 29, v15
	v_bfe_u32 v12, v1, 2, 5
	v_lshlrev_b64 v[32:33], v32, v[50:51]
	v_sub_u32_e32 v15, 30, v15
	v_and_b32_e32 v32, 3, v32
	v_cmp_eq_u32_e32 vcc, 0, v12
	v_cndmask_b32_e32 v12, v12, v15, vcc
	v_cndmask_b32_e32 v14, v14, v32, vcc
	v_bfrev_b32_e32 v32, 28
	v_lshlrev_b32_e32 v15, 24, v1
	v_lshl_add_u32 v12, v12, 23, v32
	v_and_or_b32 v12, v15, s96, v12
	v_lshl_or_b32 v12, v14, 21, v12
                                        ; implicit-def: $vgpr14
.LBB6_5539:                             ;   in Loop: Header=BB6_5342 Depth=3
	s_andn2_saveexec_b64 s[74:75], s[74:75]
; %bb.5540:                             ;   in Loop: Header=BB6_5342 Depth=3
	v_mov_b32_e32 v12, -1
	v_cmp_gt_i16_sdwa vcc, sext(v1), v12 src0_sel:BYTE_0 src1_sel:DWORD
	v_mov_b32_e32 v12, 0xc7600000
	v_mov_b32_e32 v15, 0x47600000
	v_cndmask_b32_e32 v12, v12, v15, vcc
	v_cmp_eq_u32_e32 vcc, 0, v14
	v_mov_b32_e32 v14, 0x7f800001
	v_cndmask_b32_e32 v12, v14, v12, vcc
; %bb.5541:                             ;   in Loop: Header=BB6_5342 Depth=3
	s_or_b64 exec, exec, s[74:75]
.LBB6_5542:                             ;   in Loop: Header=BB6_5342 Depth=3
	s_or_b64 exec, exec, s[72:73]
.LBB6_5543:                             ;   in Loop: Header=BB6_5342 Depth=3
	s_or_b64 exec, exec, s[34:35]
	v_cmp_ne_u16_sdwa vcc, v9, v51 src0_sel:BYTE_0 src1_sel:DWORD
	s_and_saveexec_b64 s[34:35], vcc
	s_cbranch_execz .LBB6_5551
; %bb.5544:                             ;   in Loop: Header=BB6_5342 Depth=3
	v_cmp_ne_u16_sdwa vcc, v9, s97 src0_sel:BYTE_0 src1_sel:DWORD
	v_bfrev_b32_e32 v13, 1
	s_and_saveexec_b64 s[72:73], vcc
	s_cbranch_execz .LBB6_5550
; %bb.5545:                             ;   in Loop: Header=BB6_5342 Depth=3
	v_and_b32_e32 v13, 0x7c, v9
	v_and_b32_e32 v14, 3, v9
	v_cmp_ne_u32_e32 vcc, s95, v13
                                        ; implicit-def: $vgpr13
	s_and_saveexec_b64 s[74:75], vcc
	s_xor_b64 s[74:75], exec, s[74:75]
	s_cbranch_execz .LBB6_5547
; %bb.5546:                             ;   in Loop: Header=BB6_5342 Depth=3
	v_ffbh_u32_e32 v15, v14
	v_min_u32_e32 v15, 32, v15
	v_subrev_u32_e32 v32, 29, v15
	v_bfe_u32 v13, v9, 2, 5
	v_lshlrev_b64 v[32:33], v32, v[6:7]
	v_sub_u32_e32 v15, 30, v15
	v_and_b32_e32 v32, 3, v32
	v_cmp_eq_u32_e32 vcc, 0, v13
	v_cndmask_b32_e32 v13, v13, v15, vcc
	v_cndmask_b32_e32 v14, v14, v32, vcc
	v_bfrev_b32_e32 v32, 28
	v_lshlrev_b32_e32 v15, 24, v9
	v_lshl_add_u32 v13, v13, 23, v32
	v_and_or_b32 v13, v15, s96, v13
	v_lshl_or_b32 v13, v14, 21, v13
                                        ; implicit-def: $vgpr14
.LBB6_5547:                             ;   in Loop: Header=BB6_5342 Depth=3
	s_andn2_saveexec_b64 s[74:75], s[74:75]
; %bb.5548:                             ;   in Loop: Header=BB6_5342 Depth=3
	v_mov_b32_e32 v13, -1
	v_cmp_gt_i16_sdwa vcc, sext(v9), v13 src0_sel:BYTE_0 src1_sel:DWORD
	v_mov_b32_e32 v13, 0xc7600000
	v_mov_b32_e32 v15, 0x47600000
	v_cndmask_b32_e32 v13, v13, v15, vcc
	v_cmp_eq_u32_e32 vcc, 0, v14
	v_mov_b32_e32 v14, 0x7f800001
	v_cndmask_b32_e32 v13, v14, v13, vcc
; %bb.5549:                             ;   in Loop: Header=BB6_5342 Depth=3
	s_or_b64 exec, exec, s[74:75]
.LBB6_5550:                             ;   in Loop: Header=BB6_5342 Depth=3
	s_or_b64 exec, exec, s[72:73]
.LBB6_5551:                             ;   in Loop: Header=BB6_5342 Depth=3
	s_or_b64 exec, exec, s[34:35]
	v_max_f32_e32 v13, v13, v13
	v_max_f32_e32 v12, v12, v12
	;; [unrolled: 1-line block ×3, first 2 shown]
	s_branch .LBB6_5570
.LBB6_5552:                             ;   in Loop: Header=BB6_5342 Depth=3
                                        ; implicit-def: $vgpr14
	s_cbranch_execz .LBB6_5570
; %bb.5553:                             ;   in Loop: Header=BB6_5342 Depth=3
	v_mov_b32_e32 v13, 0
	v_mov_b32_e32 v12, 0
	s_and_saveexec_b64 s[34:35], s[30:31]
	s_cbranch_execz .LBB6_5561
; %bb.5554:                             ;   in Loop: Header=BB6_5342 Depth=3
	v_cmp_ne_u16_sdwa vcc, v1, s97 src0_sel:BYTE_0 src1_sel:DWORD
	v_bfrev_b32_e32 v12, 1
	s_and_saveexec_b64 s[30:31], vcc
	s_cbranch_execz .LBB6_5560
; %bb.5555:                             ;   in Loop: Header=BB6_5342 Depth=3
	v_and_b32_e32 v12, 0x7c, v1
	v_and_b32_e32 v14, 3, v1
	v_cmp_ne_u32_e32 vcc, s95, v12
                                        ; implicit-def: $vgpr12
	s_and_saveexec_b64 s[72:73], vcc
	s_xor_b64 s[72:73], exec, s[72:73]
	s_cbranch_execz .LBB6_5557
; %bb.5556:                             ;   in Loop: Header=BB6_5342 Depth=3
	v_ffbh_u32_e32 v15, v14
	v_min_u32_e32 v15, 32, v15
	v_subrev_u32_e32 v32, 29, v15
	v_bfe_u32 v12, v1, 2, 5
	v_lshlrev_b64 v[32:33], v32, v[50:51]
	v_sub_u32_e32 v15, 30, v15
	v_and_b32_e32 v32, 3, v32
	v_cmp_eq_u32_e32 vcc, 0, v12
	v_cndmask_b32_e32 v12, v12, v15, vcc
	v_cndmask_b32_e32 v14, v14, v32, vcc
	v_bfrev_b32_e32 v32, 28
	v_lshlrev_b32_e32 v15, 24, v1
	v_lshl_add_u32 v12, v12, 23, v32
	v_and_or_b32 v12, v15, s96, v12
	v_lshl_or_b32 v12, v14, 21, v12
                                        ; implicit-def: $vgpr14
.LBB6_5557:                             ;   in Loop: Header=BB6_5342 Depth=3
	s_andn2_saveexec_b64 s[72:73], s[72:73]
; %bb.5558:                             ;   in Loop: Header=BB6_5342 Depth=3
	v_mov_b32_e32 v12, -1
	v_cmp_gt_i16_sdwa vcc, sext(v1), v12 src0_sel:BYTE_0 src1_sel:DWORD
	v_mov_b32_e32 v12, 0xc7600000
	v_mov_b32_e32 v15, 0x47600000
	v_cndmask_b32_e32 v12, v12, v15, vcc
	v_cmp_eq_u32_e32 vcc, 0, v14
	v_mov_b32_e32 v14, 0x7f800001
	v_cndmask_b32_e32 v12, v14, v12, vcc
; %bb.5559:                             ;   in Loop: Header=BB6_5342 Depth=3
	s_or_b64 exec, exec, s[72:73]
.LBB6_5560:                             ;   in Loop: Header=BB6_5342 Depth=3
	s_or_b64 exec, exec, s[30:31]
.LBB6_5561:                             ;   in Loop: Header=BB6_5342 Depth=3
	s_or_b64 exec, exec, s[34:35]
	v_cmp_ne_u16_sdwa vcc, v9, v51 src0_sel:BYTE_0 src1_sel:DWORD
	s_and_saveexec_b64 s[30:31], vcc
	s_cbranch_execz .LBB6_5569
; %bb.5562:                             ;   in Loop: Header=BB6_5342 Depth=3
	v_cmp_ne_u16_sdwa vcc, v9, s97 src0_sel:BYTE_0 src1_sel:DWORD
	v_bfrev_b32_e32 v13, 1
	s_and_saveexec_b64 s[34:35], vcc
	s_cbranch_execz .LBB6_5568
; %bb.5563:                             ;   in Loop: Header=BB6_5342 Depth=3
	v_and_b32_e32 v13, 0x7c, v9
	v_and_b32_e32 v14, 3, v9
	v_cmp_ne_u32_e32 vcc, s95, v13
                                        ; implicit-def: $vgpr13
	s_and_saveexec_b64 s[72:73], vcc
	s_xor_b64 s[72:73], exec, s[72:73]
	s_cbranch_execz .LBB6_5565
; %bb.5564:                             ;   in Loop: Header=BB6_5342 Depth=3
	v_ffbh_u32_e32 v15, v14
	v_min_u32_e32 v15, 32, v15
	v_subrev_u32_e32 v32, 29, v15
	v_bfe_u32 v13, v9, 2, 5
	v_lshlrev_b64 v[32:33], v32, v[6:7]
	v_sub_u32_e32 v7, 30, v15
	v_and_b32_e32 v15, 3, v32
	v_cmp_eq_u32_e32 vcc, 0, v13
	v_cndmask_b32_e32 v7, v13, v7, vcc
	v_cndmask_b32_e32 v13, v14, v15, vcc
	v_bfrev_b32_e32 v15, 28
	v_lshlrev_b32_e32 v14, 24, v9
	v_lshl_add_u32 v7, v7, 23, v15
	v_and_or_b32 v7, v14, s96, v7
	v_lshl_or_b32 v13, v13, 21, v7
                                        ; implicit-def: $vgpr14
.LBB6_5565:                             ;   in Loop: Header=BB6_5342 Depth=3
	s_andn2_saveexec_b64 s[72:73], s[72:73]
; %bb.5566:                             ;   in Loop: Header=BB6_5342 Depth=3
	v_mov_b32_e32 v7, -1
	v_cmp_gt_i16_sdwa vcc, sext(v9), v7 src0_sel:BYTE_0 src1_sel:DWORD
	v_mov_b32_e32 v7, 0xc7600000
	v_mov_b32_e32 v13, 0x47600000
	v_cndmask_b32_e32 v7, v7, v13, vcc
	v_cmp_eq_u32_e32 vcc, 0, v14
	v_mov_b32_e32 v13, 0x7f800001
	v_cndmask_b32_e32 v13, v13, v7, vcc
; %bb.5567:                             ;   in Loop: Header=BB6_5342 Depth=3
	s_or_b64 exec, exec, s[72:73]
.LBB6_5568:                             ;   in Loop: Header=BB6_5342 Depth=3
	s_or_b64 exec, exec, s[34:35]
.LBB6_5569:                             ;   in Loop: Header=BB6_5342 Depth=3
	s_or_b64 exec, exec, s[30:31]
	v_max_f32_e32 v7, v13, v13
	v_max_f32_e32 v12, v12, v12
	v_min_f32_e32 v14, v12, v7
.LBB6_5570:                             ;   in Loop: Header=BB6_5342 Depth=3
	v_and_b32_sdwa v7, v14, s97 dst_sel:DWORD dst_unused:UNUSED_PAD src0_sel:BYTE_3 src1_sel:DWORD
	v_and_b32_e32 v34, 0x7f800000, v14
	v_mov_b32_e32 v35, v51
	v_and_b32_e32 v12, 0x7fffff, v14
	v_mov_b32_e32 v13, v51
	v_or_b32_e32 v32, 0x7b, v7
	v_cmp_ne_u64_e32 vcc, s[52:53], v[34:35]
	s_and_saveexec_b64 s[30:31], vcc
	s_xor_b64 s[34:35], exec, s[30:31]
	s_cbranch_execz .LBB6_5580
; %bb.5571:                             ;   in Loop: Header=BB6_5342 Depth=3
	v_and_b32_e32 v34, 0x7fffffff, v14
	v_mov_b32_e32 v35, v51
	v_cmp_gt_u64_e32 vcc, s[54:55], v[34:35]
	s_and_saveexec_b64 s[72:73], vcc
	s_cbranch_execz .LBB6_5579
; %bb.5572:                             ;   in Loop: Header=BB6_5342 Depth=3
	v_cmp_ne_u32_e32 vcc, 0, v14
	v_mov_b32_e32 v32, 0
	s_and_saveexec_b64 s[74:75], vcc
	s_cbranch_execz .LBB6_5578
; %bb.5573:                             ;   in Loop: Header=BB6_5342 Depth=3
	v_bfe_u32 v14, v14, 23, 8
	v_cmp_eq_u32_e32 vcc, 0, v14
	v_add_u32_e32 v15, 0xffffff81, v14
	v_cmp_gt_u32_e64 s[30:31], s38, v14
	v_sub_u32_e32 v14, 0x71, v14
	v_mov_b32_e32 v33, 0xffffff82
	v_cndmask_b32_e64 v14, 0, v14, s[30:31]
	v_cndmask_b32_e32 v34, v15, v33, vcc
	v_mov_b32_e32 v15, 0x70
	v_cndmask_b32_e32 v35, v14, v15, vcc
	v_add_u32_e32 v14, 21, v35
	v_or_b32_e32 v32, 0x800000, v12
	v_lshlrev_b64 v[14:15], v14, -1
	v_cndmask_b32_e32 v12, v32, v12, vcc
	v_not_b32_e32 v15, v15
	v_not_b32_e32 v14, v14
	v_add_u32_e32 v32, 20, v35
	v_and_b32_e32 v15, 0, v15
	v_and_b32_e32 v14, v12, v14
	v_lshlrev_b64 v[32:33], v32, 1
	v_lshrrev_b64 v[12:13], v35, v[12:13]
	v_cmp_eq_u64_e32 vcc, v[14:15], v[32:33]
	v_lshrrev_b32_e32 v14, 23, v12
	v_add3_u32 v32, v35, v34, v14
	v_bfe_u32 v14, v12, 21, 1
	v_add_u32_e32 v14, -1, v14
	v_cndmask_b32_e32 v14, 0, v14, vcc
	v_add_u32_e32 v14, v14, v12
	v_and_b32_e32 v14, 0x1fffff, v14
	v_add_co_u32_e32 v12, vcc, v14, v12
	v_add_u32_e32 v15, 14, v32
	v_addc_co_u32_e32 v13, vcc, 0, v13, vcc
	v_cmp_ne_u32_e32 vcc, 0, v15
                                        ; implicit-def: $vgpr14
	s_and_saveexec_b64 s[30:31], vcc
	s_xor_b64 s[30:31], exec, s[30:31]
; %bb.5574:                             ;   in Loop: Header=BB6_5342 Depth=3
	v_add_u32_e32 v14, 15, v32
	v_cmp_lt_u64_e32 vcc, s[56:57], v[12:13]
	v_cndmask_b32_e32 v14, v15, v14, vcc
	v_cndmask_b32_e64 v15, 0, 1, vcc
	v_lshrrev_b64 v[12:13], v15, v[12:13]
; %bb.5575:                             ;   in Loop: Header=BB6_5342 Depth=3
	s_andn2_saveexec_b64 vcc, s[30:31]
; %bb.5576:                             ;   in Loop: Header=BB6_5342 Depth=3
	v_bfe_u32 v14, v12, 23, 1
; %bb.5577:                             ;   in Loop: Header=BB6_5342 Depth=3
	s_or_b64 exec, exec, vcc
	v_lshrrev_b64 v[12:13], 21, v[12:13]
	v_cmp_gt_i32_e32 vcc, 32, v14
	v_cndmask_b32_e32 v13, 0, v13, vcc
	v_cndmask_b32_e32 v12, 3, v12, vcc
	v_cmp_eq_u64_e64 s[30:31], 0, v[12:13]
	v_min_i32_e32 v13, 31, v14
	v_cmp_eq_u32_e32 vcc, 0, v14
	v_lshlrev_b32_e32 v13, 2, v13
	v_and_or_b32 v12, v12, 3, v13
	s_and_b64 vcc, vcc, s[30:31]
	v_cndmask_b32_e64 v12, v12, 0, vcc
	v_or_b32_e32 v32, v12, v7
.LBB6_5578:                             ;   in Loop: Header=BB6_5342 Depth=3
	s_or_b64 exec, exec, s[74:75]
.LBB6_5579:                             ;   in Loop: Header=BB6_5342 Depth=3
	s_or_b64 exec, exec, s[72:73]
                                        ; implicit-def: $vgpr14
                                        ; implicit-def: $vgpr12_vgpr13
.LBB6_5580:                             ;   in Loop: Header=BB6_5342 Depth=3
	s_andn2_saveexec_b64 s[30:31], s[34:35]
; %bb.5581:                             ;   in Loop: Header=BB6_5342 Depth=3
	v_or_b32_sdwa v7, v14, s39 dst_sel:DWORD dst_unused:UNUSED_PAD src0_sel:BYTE_3 src1_sel:DWORD
	v_cmp_eq_u64_e32 vcc, 0, v[12:13]
	v_cndmask_b32_e32 v32, v7, v32, vcc
; %bb.5582:                             ;   in Loop: Header=BB6_5342 Depth=3
	s_or_b64 exec, exec, s[30:31]
	v_lshrrev_b16_e32 v14, 8, v50
	v_lshrrev_b16_e32 v12, 8, v6
	v_cmp_ne_u16_e64 s[30:31], 0, v14
	s_and_b64 vcc, exec, s[70:71]
	s_cbranch_vccz .LBB6_5600
; %bb.5583:                             ;   in Loop: Header=BB6_5342 Depth=3
	v_mov_b32_e32 v13, 0
	v_mov_b32_e32 v7, 0
	s_and_saveexec_b64 s[34:35], s[30:31]
	s_cbranch_execz .LBB6_5591
; %bb.5584:                             ;   in Loop: Header=BB6_5342 Depth=3
	v_cmp_ne_u16_e32 vcc, s97, v14
	v_bfrev_b32_e32 v7, 1
	s_and_saveexec_b64 s[72:73], vcc
	s_cbranch_execz .LBB6_5590
; %bb.5585:                             ;   in Loop: Header=BB6_5342 Depth=3
	v_and_b32_e32 v7, 0x7c, v14
	v_and_b32_e32 v33, 3, v14
	v_cmp_ne_u32_e32 vcc, s95, v7
                                        ; implicit-def: $vgpr7
	s_and_saveexec_b64 s[74:75], vcc
	s_xor_b64 s[74:75], exec, s[74:75]
	s_cbranch_execz .LBB6_5587
; %bb.5586:                             ;   in Loop: Header=BB6_5342 Depth=3
	v_ffbh_u32_e32 v34, v33
	v_min_u32_e32 v36, 32, v34
	v_mov_b32_e32 v15, v51
	v_subrev_u32_e32 v34, 29, v36
	v_bfe_u32 v7, v14, 2, 5
	v_lshlrev_b64 v[34:35], v34, v[14:15]
	v_sub_u32_e32 v15, 30, v36
	v_and_b32_e32 v34, 3, v34
	v_cmp_eq_u32_e32 vcc, 0, v7
	v_cndmask_b32_e32 v7, v7, v15, vcc
	v_cndmask_b32_e32 v15, v33, v34, vcc
	v_bfrev_b32_e32 v34, 28
	v_lshlrev_b32_e32 v33, 16, v50
	v_lshl_add_u32 v7, v7, 23, v34
	v_and_or_b32 v7, v33, s96, v7
	v_lshl_or_b32 v7, v15, 21, v7
                                        ; implicit-def: $vgpr33
.LBB6_5587:                             ;   in Loop: Header=BB6_5342 Depth=3
	s_andn2_saveexec_b64 s[74:75], s[74:75]
; %bb.5588:                             ;   in Loop: Header=BB6_5342 Depth=3
	v_cmp_lt_i16_e32 vcc, -1, v50
	v_mov_b32_e32 v7, 0xc7600000
	v_mov_b32_e32 v15, 0x47600000
	v_cndmask_b32_e32 v7, v7, v15, vcc
	v_cmp_eq_u32_e32 vcc, 0, v33
	v_mov_b32_e32 v15, 0x7f800001
	v_cndmask_b32_e32 v7, v15, v7, vcc
; %bb.5589:                             ;   in Loop: Header=BB6_5342 Depth=3
	s_or_b64 exec, exec, s[74:75]
.LBB6_5590:                             ;   in Loop: Header=BB6_5342 Depth=3
	s_or_b64 exec, exec, s[72:73]
.LBB6_5591:                             ;   in Loop: Header=BB6_5342 Depth=3
	s_or_b64 exec, exec, s[34:35]
	v_cmp_ne_u16_e32 vcc, 0, v12
	s_and_saveexec_b64 s[34:35], vcc
	s_cbranch_execz .LBB6_5599
; %bb.5592:                             ;   in Loop: Header=BB6_5342 Depth=3
	v_cmp_ne_u16_e32 vcc, s97, v12
	v_bfrev_b32_e32 v13, 1
	s_and_saveexec_b64 s[72:73], vcc
	s_cbranch_execz .LBB6_5598
; %bb.5593:                             ;   in Loop: Header=BB6_5342 Depth=3
	v_and_b32_e32 v13, 0x7c, v12
	v_and_b32_e32 v15, 3, v12
	v_cmp_ne_u32_e32 vcc, s95, v13
                                        ; implicit-def: $vgpr13
	s_and_saveexec_b64 s[74:75], vcc
	s_xor_b64 s[74:75], exec, s[74:75]
	s_cbranch_execz .LBB6_5595
; %bb.5594:                             ;   in Loop: Header=BB6_5342 Depth=3
	v_ffbh_u32_e32 v34, v15
	v_min_u32_e32 v36, 32, v34
	v_mov_b32_e32 v13, v51
	v_subrev_u32_e32 v34, 29, v36
	v_bfe_u32 v33, v12, 2, 5
	v_lshlrev_b64 v[34:35], v34, v[12:13]
	v_sub_u32_e32 v13, 30, v36
	v_and_b32_e32 v34, 3, v34
	v_cmp_eq_u32_e32 vcc, 0, v33
	v_cndmask_b32_e32 v13, v33, v13, vcc
	v_cndmask_b32_e32 v15, v15, v34, vcc
	v_bfrev_b32_e32 v34, 28
	v_lshlrev_b32_e32 v33, 16, v6
	v_lshl_add_u32 v13, v13, 23, v34
	v_and_or_b32 v13, v33, s96, v13
	v_lshl_or_b32 v13, v15, 21, v13
                                        ; implicit-def: $vgpr15
.LBB6_5595:                             ;   in Loop: Header=BB6_5342 Depth=3
	s_andn2_saveexec_b64 s[74:75], s[74:75]
; %bb.5596:                             ;   in Loop: Header=BB6_5342 Depth=3
	v_cmp_lt_i16_e32 vcc, -1, v6
	v_mov_b32_e32 v13, 0xc7600000
	v_mov_b32_e32 v33, 0x47600000
	v_cndmask_b32_e32 v13, v13, v33, vcc
	v_cmp_eq_u32_e32 vcc, 0, v15
	v_mov_b32_e32 v15, 0x7f800001
	v_cndmask_b32_e32 v13, v15, v13, vcc
; %bb.5597:                             ;   in Loop: Header=BB6_5342 Depth=3
	s_or_b64 exec, exec, s[74:75]
.LBB6_5598:                             ;   in Loop: Header=BB6_5342 Depth=3
	s_or_b64 exec, exec, s[72:73]
.LBB6_5599:                             ;   in Loop: Header=BB6_5342 Depth=3
	s_or_b64 exec, exec, s[34:35]
	v_max_f32_e32 v13, v13, v13
	v_max_f32_e32 v7, v7, v7
	;; [unrolled: 1-line block ×3, first 2 shown]
	s_branch .LBB6_5618
.LBB6_5600:                             ;   in Loop: Header=BB6_5342 Depth=3
                                        ; implicit-def: $vgpr7
	s_cbranch_execz .LBB6_5618
; %bb.5601:                             ;   in Loop: Header=BB6_5342 Depth=3
	v_mov_b32_e32 v13, 0
	v_mov_b32_e32 v15, 0
	s_and_saveexec_b64 s[34:35], s[30:31]
	s_cbranch_execz .LBB6_5609
; %bb.5602:                             ;   in Loop: Header=BB6_5342 Depth=3
	v_cmp_ne_u16_e32 vcc, s97, v14
	v_bfrev_b32_e32 v15, 1
	s_and_saveexec_b64 s[30:31], vcc
	s_cbranch_execz .LBB6_5608
; %bb.5603:                             ;   in Loop: Header=BB6_5342 Depth=3
	v_and_b32_e32 v15, 0x7c, v14
	v_and_b32_e32 v7, 3, v14
	v_cmp_ne_u32_e32 vcc, s95, v15
                                        ; implicit-def: $vgpr15
	s_and_saveexec_b64 s[72:73], vcc
	s_xor_b64 s[72:73], exec, s[72:73]
	s_cbranch_execz .LBB6_5605
; %bb.5604:                             ;   in Loop: Header=BB6_5342 Depth=3
	v_ffbh_u32_e32 v34, v7
	v_min_u32_e32 v34, 32, v34
	v_mov_b32_e32 v15, v51
	v_subrev_u32_e32 v35, 29, v34
	v_bfe_u32 v33, v14, 2, 5
	v_lshlrev_b64 v[14:15], v35, v[14:15]
	v_sub_u32_e32 v15, 30, v34
	v_cmp_eq_u32_e32 vcc, 0, v33
	v_and_b32_e32 v14, 3, v14
	v_cndmask_b32_e32 v15, v33, v15, vcc
	v_bfrev_b32_e32 v33, 28
	v_cndmask_b32_e32 v7, v7, v14, vcc
	v_lshlrev_b32_e32 v14, 16, v50
	v_lshl_add_u32 v15, v15, 23, v33
	v_and_or_b32 v14, v14, s96, v15
	v_lshl_or_b32 v15, v7, 21, v14
                                        ; implicit-def: $vgpr7
.LBB6_5605:                             ;   in Loop: Header=BB6_5342 Depth=3
	s_andn2_saveexec_b64 s[72:73], s[72:73]
; %bb.5606:                             ;   in Loop: Header=BB6_5342 Depth=3
	v_cmp_lt_i16_e32 vcc, -1, v50
	v_mov_b32_e32 v14, 0xc7600000
	v_mov_b32_e32 v15, 0x47600000
	v_cndmask_b32_e32 v14, v14, v15, vcc
	v_cmp_eq_u32_e32 vcc, 0, v7
	v_mov_b32_e32 v7, 0x7f800001
	v_cndmask_b32_e32 v15, v7, v14, vcc
; %bb.5607:                             ;   in Loop: Header=BB6_5342 Depth=3
	s_or_b64 exec, exec, s[72:73]
.LBB6_5608:                             ;   in Loop: Header=BB6_5342 Depth=3
	s_or_b64 exec, exec, s[30:31]
.LBB6_5609:                             ;   in Loop: Header=BB6_5342 Depth=3
	s_or_b64 exec, exec, s[34:35]
	v_cmp_ne_u16_e32 vcc, 0, v12
	s_and_saveexec_b64 s[30:31], vcc
	s_cbranch_execz .LBB6_5617
; %bb.5610:                             ;   in Loop: Header=BB6_5342 Depth=3
	v_cmp_ne_u16_e32 vcc, s97, v12
	v_bfrev_b32_e32 v13, 1
	s_and_saveexec_b64 s[34:35], vcc
	s_cbranch_execz .LBB6_5616
; %bb.5611:                             ;   in Loop: Header=BB6_5342 Depth=3
	v_and_b32_e32 v7, 0x7c, v12
	v_and_b32_e32 v14, 3, v12
	v_cmp_ne_u32_e32 vcc, s95, v7
                                        ; implicit-def: $vgpr13
	s_and_saveexec_b64 s[72:73], vcc
	s_xor_b64 s[72:73], exec, s[72:73]
	s_cbranch_execz .LBB6_5613
; %bb.5612:                             ;   in Loop: Header=BB6_5342 Depth=3
	v_ffbh_u32_e32 v33, v14
	v_min_u32_e32 v33, 32, v33
	v_mov_b32_e32 v13, v51
	v_subrev_u32_e32 v34, 29, v33
	v_bfe_u32 v7, v12, 2, 5
	v_lshlrev_b64 v[12:13], v34, v[12:13]
	v_sub_u32_e32 v13, 30, v33
	v_cmp_eq_u32_e32 vcc, 0, v7
	v_cndmask_b32_e32 v7, v7, v13, vcc
	v_bfrev_b32_e32 v13, 28
	v_and_b32_e32 v12, 3, v12
	v_lshlrev_b32_e32 v6, 16, v6
	v_lshl_add_u32 v7, v7, 23, v13
	v_cndmask_b32_e32 v12, v14, v12, vcc
	v_and_or_b32 v6, v6, s96, v7
	v_lshl_or_b32 v13, v12, 21, v6
                                        ; implicit-def: $vgpr14
                                        ; implicit-def: $vgpr6_vgpr7
.LBB6_5613:                             ;   in Loop: Header=BB6_5342 Depth=3
	s_andn2_saveexec_b64 s[72:73], s[72:73]
; %bb.5614:                             ;   in Loop: Header=BB6_5342 Depth=3
	v_cmp_lt_i16_e32 vcc, -1, v6
	v_mov_b32_e32 v6, 0xc7600000
	v_mov_b32_e32 v7, 0x47600000
	v_cndmask_b32_e32 v6, v6, v7, vcc
	v_cmp_eq_u32_e32 vcc, 0, v14
	v_mov_b32_e32 v7, 0x7f800001
	v_cndmask_b32_e32 v13, v7, v6, vcc
; %bb.5615:                             ;   in Loop: Header=BB6_5342 Depth=3
	s_or_b64 exec, exec, s[72:73]
.LBB6_5616:                             ;   in Loop: Header=BB6_5342 Depth=3
	s_or_b64 exec, exec, s[34:35]
.LBB6_5617:                             ;   in Loop: Header=BB6_5342 Depth=3
	s_or_b64 exec, exec, s[30:31]
	v_max_f32_e32 v6, v13, v13
	v_max_f32_e32 v7, v15, v15
	v_min_f32_e32 v7, v7, v6
.LBB6_5618:                             ;   in Loop: Header=BB6_5342 Depth=3
	v_and_b32_sdwa v12, v7, s97 dst_sel:DWORD dst_unused:UNUSED_PAD src0_sel:BYTE_3 src1_sel:DWORD
	v_and_b32_e32 v14, 0x7f800000, v7
	v_mov_b32_e32 v15, v51
	v_and_b32_e32 v50, 0x7fffff, v7
	v_or_b32_e32 v13, 0x7b, v12
	v_cmp_ne_u64_e32 vcc, s[52:53], v[14:15]
	s_and_saveexec_b64 s[30:31], vcc
	s_xor_b64 s[34:35], exec, s[30:31]
	s_cbranch_execz .LBB6_5628
; %bb.5619:                             ;   in Loop: Header=BB6_5342 Depth=3
	v_and_b32_e32 v14, 0x7fffffff, v7
	v_mov_b32_e32 v15, v51
	v_cmp_gt_u64_e32 vcc, s[54:55], v[14:15]
	s_and_saveexec_b64 s[72:73], vcc
	s_cbranch_execz .LBB6_5627
; %bb.5620:                             ;   in Loop: Header=BB6_5342 Depth=3
	v_cmp_ne_u32_e32 vcc, 0, v7
	v_mov_b32_e32 v13, 0
	s_and_saveexec_b64 s[74:75], vcc
	s_cbranch_execz .LBB6_5626
; %bb.5621:                             ;   in Loop: Header=BB6_5342 Depth=3
	v_bfe_u32 v6, v7, 23, 8
	v_cmp_eq_u32_e32 vcc, 0, v6
	v_add_u32_e32 v7, 0xffffff81, v6
	v_cmp_gt_u32_e64 s[30:31], s38, v6
	v_sub_u32_e32 v6, 0x71, v6
	v_mov_b32_e32 v14, 0xffffff82
	v_cndmask_b32_e64 v6, 0, v6, s[30:31]
	v_cndmask_b32_e32 v33, v7, v14, vcc
	v_mov_b32_e32 v7, 0x70
	v_cndmask_b32_e32 v34, v6, v7, vcc
	v_add_u32_e32 v6, 21, v34
	v_or_b32_e32 v13, 0x800000, v50
	v_lshlrev_b64 v[6:7], v6, -1
	v_cndmask_b32_e32 v50, v13, v50, vcc
	v_not_b32_e32 v7, v7
	v_not_b32_e32 v6, v6
	v_add_u32_e32 v13, 20, v34
	v_and_b32_e32 v7, 0, v7
	v_and_b32_e32 v6, v50, v6
	v_lshlrev_b64 v[14:15], v13, 1
	v_cmp_eq_u64_e32 vcc, v[6:7], v[14:15]
	v_lshrrev_b64 v[6:7], v34, v[50:51]
	v_lshrrev_b32_e32 v13, 23, v6
	v_add3_u32 v15, v34, v33, v13
	v_bfe_u32 v13, v6, 21, 1
	v_add_u32_e32 v13, -1, v13
	v_cndmask_b32_e32 v13, 0, v13, vcc
	v_add_u32_e32 v13, v13, v6
	v_and_b32_e32 v13, 0x1fffff, v13
	v_add_co_u32_e32 v6, vcc, v13, v6
	v_add_u32_e32 v14, 14, v15
	v_addc_co_u32_e32 v7, vcc, 0, v7, vcc
	v_cmp_ne_u32_e32 vcc, 0, v14
                                        ; implicit-def: $vgpr13
	s_and_saveexec_b64 s[30:31], vcc
	s_xor_b64 s[30:31], exec, s[30:31]
; %bb.5622:                             ;   in Loop: Header=BB6_5342 Depth=3
	v_add_u32_e32 v13, 15, v15
	v_cmp_lt_u64_e32 vcc, s[56:57], v[6:7]
	v_cndmask_b32_e32 v13, v14, v13, vcc
	v_cndmask_b32_e64 v14, 0, 1, vcc
	v_lshrrev_b64 v[6:7], v14, v[6:7]
; %bb.5623:                             ;   in Loop: Header=BB6_5342 Depth=3
	s_andn2_saveexec_b64 vcc, s[30:31]
; %bb.5624:                             ;   in Loop: Header=BB6_5342 Depth=3
	v_bfe_u32 v13, v6, 23, 1
; %bb.5625:                             ;   in Loop: Header=BB6_5342 Depth=3
	s_or_b64 exec, exec, vcc
	v_lshrrev_b64 v[6:7], 21, v[6:7]
	v_cmp_gt_i32_e32 vcc, 32, v13
	v_cndmask_b32_e32 v7, 0, v7, vcc
	v_cndmask_b32_e32 v6, 3, v6, vcc
	v_cmp_eq_u64_e64 s[30:31], 0, v[6:7]
	v_min_i32_e32 v7, 31, v13
	v_cmp_eq_u32_e32 vcc, 0, v13
	v_lshlrev_b32_e32 v7, 2, v7
	v_and_or_b32 v6, v6, 3, v7
	s_and_b64 vcc, vcc, s[30:31]
	v_cndmask_b32_e64 v6, v6, 0, vcc
	v_or_b32_e32 v13, v6, v12
.LBB6_5626:                             ;   in Loop: Header=BB6_5342 Depth=3
	s_or_b64 exec, exec, s[74:75]
.LBB6_5627:                             ;   in Loop: Header=BB6_5342 Depth=3
	s_or_b64 exec, exec, s[72:73]
                                        ; implicit-def: $vgpr7
.LBB6_5628:                             ;   in Loop: Header=BB6_5342 Depth=3
	s_andn2_saveexec_b64 s[30:31], s[34:35]
; %bb.5629:                             ;   in Loop: Header=BB6_5342 Depth=3
	v_or_b32_sdwa v6, v7, s39 dst_sel:DWORD dst_unused:UNUSED_PAD src0_sel:BYTE_3 src1_sel:DWORD
	v_cmp_eq_u64_e32 vcc, 0, v[50:51]
	v_cndmask_b32_e32 v13, v6, v13, vcc
; %bb.5630:                             ;   in Loop: Header=BB6_5342 Depth=3
	s_or_b64 exec, exec, s[30:31]
	v_lshrrev_b32_e32 v12, 16, v1
	v_lshrrev_b32_e32 v6, 16, v9
	v_cmp_ne_u16_sdwa s[30:31], v12, v51 src0_sel:BYTE_0 src1_sel:DWORD
	s_and_b64 vcc, exec, s[70:71]
	s_cbranch_vccz .LBB6_5648
; %bb.5631:                             ;   in Loop: Header=BB6_5342 Depth=3
	v_mov_b32_e32 v14, 0
	v_mov_b32_e32 v7, 0
	s_and_saveexec_b64 s[34:35], s[30:31]
	s_cbranch_execz .LBB6_5639
; %bb.5632:                             ;   in Loop: Header=BB6_5342 Depth=3
	v_cmp_ne_u16_sdwa vcc, v12, s97 src0_sel:BYTE_0 src1_sel:DWORD
	v_bfrev_b32_e32 v7, 1
	s_and_saveexec_b64 s[72:73], vcc
	s_cbranch_execz .LBB6_5638
; %bb.5633:                             ;   in Loop: Header=BB6_5342 Depth=3
	v_and_b32_e32 v7, 0x7c0000, v1
	v_bfe_u32 v15, v1, 16, 2
	v_cmp_ne_u32_e32 vcc, s36, v7
                                        ; implicit-def: $vgpr7
	s_and_saveexec_b64 s[74:75], vcc
	s_xor_b64 s[74:75], exec, s[74:75]
	s_cbranch_execz .LBB6_5635
; %bb.5634:                             ;   in Loop: Header=BB6_5342 Depth=3
	v_ffbh_u32_e32 v33, v15
	v_min_u32_e32 v33, 32, v33
	v_subrev_u32_e32 v34, 29, v33
	v_bfe_u32 v7, v1, 18, 5
	v_lshlrev_b64 v[34:35], v34, v[12:13]
	v_sub_u32_e32 v33, 30, v33
	v_and_b32_e32 v34, 3, v34
	v_cmp_eq_u32_e32 vcc, 0, v7
	v_cndmask_b32_e32 v7, v7, v33, vcc
	v_cndmask_b32_e32 v15, v15, v34, vcc
	v_bfrev_b32_e32 v34, 28
	v_lshlrev_b32_e32 v33, 24, v12
	v_lshl_add_u32 v7, v7, 23, v34
	v_and_or_b32 v7, v33, s96, v7
	v_lshl_or_b32 v7, v15, 21, v7
                                        ; implicit-def: $vgpr15
.LBB6_5635:                             ;   in Loop: Header=BB6_5342 Depth=3
	s_andn2_saveexec_b64 s[74:75], s[74:75]
; %bb.5636:                             ;   in Loop: Header=BB6_5342 Depth=3
	v_mov_b32_e32 v7, -1
	v_cmp_gt_i16_sdwa vcc, sext(v12), v7 src0_sel:BYTE_0 src1_sel:DWORD
	v_mov_b32_e32 v7, 0xc7600000
	v_mov_b32_e32 v33, 0x47600000
	v_cndmask_b32_e32 v7, v7, v33, vcc
	v_cmp_eq_u32_e32 vcc, 0, v15
	v_mov_b32_e32 v15, 0x7f800001
	v_cndmask_b32_e32 v7, v15, v7, vcc
; %bb.5637:                             ;   in Loop: Header=BB6_5342 Depth=3
	s_or_b64 exec, exec, s[74:75]
.LBB6_5638:                             ;   in Loop: Header=BB6_5342 Depth=3
	s_or_b64 exec, exec, s[72:73]
.LBB6_5639:                             ;   in Loop: Header=BB6_5342 Depth=3
	s_or_b64 exec, exec, s[34:35]
	v_cmp_ne_u16_sdwa vcc, v6, v51 src0_sel:BYTE_0 src1_sel:DWORD
	s_and_saveexec_b64 s[34:35], vcc
	s_cbranch_execz .LBB6_5647
; %bb.5640:                             ;   in Loop: Header=BB6_5342 Depth=3
	v_cmp_ne_u16_sdwa vcc, v6, s97 src0_sel:BYTE_0 src1_sel:DWORD
	v_bfrev_b32_e32 v14, 1
	s_and_saveexec_b64 s[72:73], vcc
	s_cbranch_execz .LBB6_5646
; %bb.5641:                             ;   in Loop: Header=BB6_5342 Depth=3
	v_and_b32_e32 v14, 0x7c0000, v9
	v_bfe_u32 v15, v9, 16, 2
	v_cmp_ne_u32_e32 vcc, s36, v14
                                        ; implicit-def: $vgpr14
	s_and_saveexec_b64 s[74:75], vcc
	s_xor_b64 s[74:75], exec, s[74:75]
	s_cbranch_execz .LBB6_5643
; %bb.5642:                             ;   in Loop: Header=BB6_5342 Depth=3
	v_ffbh_u32_e32 v33, v15
	v_min_u32_e32 v33, 32, v33
	v_subrev_u32_e32 v34, 29, v33
	v_bfe_u32 v14, v9, 18, 5
	v_lshlrev_b64 v[34:35], v34, v[6:7]
	v_sub_u32_e32 v33, 30, v33
	v_and_b32_e32 v34, 3, v34
	v_cmp_eq_u32_e32 vcc, 0, v14
	v_cndmask_b32_e32 v14, v14, v33, vcc
	v_cndmask_b32_e32 v15, v15, v34, vcc
	v_bfrev_b32_e32 v34, 28
	v_lshlrev_b32_e32 v33, 24, v6
	v_lshl_add_u32 v14, v14, 23, v34
	v_and_or_b32 v14, v33, s96, v14
	v_lshl_or_b32 v14, v15, 21, v14
                                        ; implicit-def: $vgpr15
.LBB6_5643:                             ;   in Loop: Header=BB6_5342 Depth=3
	s_andn2_saveexec_b64 s[74:75], s[74:75]
; %bb.5644:                             ;   in Loop: Header=BB6_5342 Depth=3
	v_mov_b32_e32 v14, -1
	v_cmp_gt_i16_sdwa vcc, sext(v6), v14 src0_sel:BYTE_0 src1_sel:DWORD
	v_mov_b32_e32 v14, 0xc7600000
	v_mov_b32_e32 v33, 0x47600000
	v_cndmask_b32_e32 v14, v14, v33, vcc
	v_cmp_eq_u32_e32 vcc, 0, v15
	v_mov_b32_e32 v15, 0x7f800001
	v_cndmask_b32_e32 v14, v15, v14, vcc
; %bb.5645:                             ;   in Loop: Header=BB6_5342 Depth=3
	s_or_b64 exec, exec, s[74:75]
.LBB6_5646:                             ;   in Loop: Header=BB6_5342 Depth=3
	s_or_b64 exec, exec, s[72:73]
.LBB6_5647:                             ;   in Loop: Header=BB6_5342 Depth=3
	s_or_b64 exec, exec, s[34:35]
	v_max_f32_e32 v14, v14, v14
	v_max_f32_e32 v7, v7, v7
	;; [unrolled: 1-line block ×3, first 2 shown]
	s_branch .LBB6_5666
.LBB6_5648:                             ;   in Loop: Header=BB6_5342 Depth=3
                                        ; implicit-def: $vgpr7
	s_cbranch_execz .LBB6_5666
; %bb.5649:                             ;   in Loop: Header=BB6_5342 Depth=3
	v_mov_b32_e32 v14, 0
	v_mov_b32_e32 v7, 0
	s_and_saveexec_b64 s[34:35], s[30:31]
	s_cbranch_execz .LBB6_5657
; %bb.5650:                             ;   in Loop: Header=BB6_5342 Depth=3
	v_cmp_ne_u16_sdwa vcc, v12, s97 src0_sel:BYTE_0 src1_sel:DWORD
	v_bfrev_b32_e32 v7, 1
	s_and_saveexec_b64 s[30:31], vcc
	s_cbranch_execz .LBB6_5656
; %bb.5651:                             ;   in Loop: Header=BB6_5342 Depth=3
	v_and_b32_e32 v7, 0x7c0000, v1
	v_bfe_u32 v15, v1, 16, 2
	v_cmp_ne_u32_e32 vcc, s36, v7
                                        ; implicit-def: $vgpr7
	s_and_saveexec_b64 s[72:73], vcc
	s_xor_b64 s[72:73], exec, s[72:73]
	s_cbranch_execz .LBB6_5653
; %bb.5652:                             ;   in Loop: Header=BB6_5342 Depth=3
	v_ffbh_u32_e32 v33, v15
	v_bfe_u32 v7, v1, 18, 5
	v_min_u32_e32 v33, 32, v33
	v_subrev_u32_e32 v34, 29, v33
	v_sub_u32_e32 v33, 30, v33
	v_cmp_eq_u32_e32 vcc, 0, v7
	v_lshlrev_b64 v[34:35], v34, v[12:13]
	v_cndmask_b32_e32 v7, v7, v33, vcc
	v_bfrev_b32_e32 v33, 28
	v_and_b32_e32 v34, 3, v34
	v_lshlrev_b32_e32 v12, 24, v12
	v_lshl_add_u32 v7, v7, 23, v33
	v_cndmask_b32_e32 v15, v15, v34, vcc
	v_and_or_b32 v7, v12, s96, v7
	v_lshl_or_b32 v7, v15, 21, v7
                                        ; implicit-def: $vgpr15
                                        ; implicit-def: $vgpr12
.LBB6_5653:                             ;   in Loop: Header=BB6_5342 Depth=3
	s_andn2_saveexec_b64 s[72:73], s[72:73]
; %bb.5654:                             ;   in Loop: Header=BB6_5342 Depth=3
	v_mov_b32_e32 v7, -1
	v_cmp_gt_i16_sdwa vcc, sext(v12), v7 src0_sel:BYTE_0 src1_sel:DWORD
	v_mov_b32_e32 v7, 0xc7600000
	v_mov_b32_e32 v12, 0x47600000
	v_cndmask_b32_e32 v7, v7, v12, vcc
	v_cmp_eq_u32_e32 vcc, 0, v15
	v_mov_b32_e32 v12, 0x7f800001
	v_cndmask_b32_e32 v7, v12, v7, vcc
; %bb.5655:                             ;   in Loop: Header=BB6_5342 Depth=3
	s_or_b64 exec, exec, s[72:73]
.LBB6_5656:                             ;   in Loop: Header=BB6_5342 Depth=3
	s_or_b64 exec, exec, s[30:31]
.LBB6_5657:                             ;   in Loop: Header=BB6_5342 Depth=3
	s_or_b64 exec, exec, s[34:35]
	v_cmp_ne_u16_sdwa vcc, v6, v51 src0_sel:BYTE_0 src1_sel:DWORD
	s_and_saveexec_b64 s[30:31], vcc
	s_cbranch_execz .LBB6_5665
; %bb.5658:                             ;   in Loop: Header=BB6_5342 Depth=3
	v_cmp_ne_u16_sdwa vcc, v6, s97 src0_sel:BYTE_0 src1_sel:DWORD
	v_bfrev_b32_e32 v14, 1
	s_and_saveexec_b64 s[34:35], vcc
	s_cbranch_execz .LBB6_5664
; %bb.5659:                             ;   in Loop: Header=BB6_5342 Depth=3
	v_and_b32_e32 v14, 0x7c0000, v9
	v_bfe_u32 v12, v9, 16, 2
	v_cmp_ne_u32_e32 vcc, s36, v14
                                        ; implicit-def: $vgpr14
	s_and_saveexec_b64 s[72:73], vcc
	s_xor_b64 s[72:73], exec, s[72:73]
	s_cbranch_execz .LBB6_5661
; %bb.5660:                             ;   in Loop: Header=BB6_5342 Depth=3
	v_ffbh_u32_e32 v14, v12
	v_min_u32_e32 v34, 32, v14
	v_subrev_u32_e32 v14, 29, v34
	v_bfe_u32 v33, v9, 18, 5
	v_lshlrev_b64 v[14:15], v14, v[6:7]
	v_sub_u32_e32 v15, 30, v34
	v_and_b32_e32 v14, 3, v14
	v_cmp_eq_u32_e32 vcc, 0, v33
	v_cndmask_b32_e32 v15, v33, v15, vcc
	v_cndmask_b32_e32 v12, v12, v14, vcc
	v_bfrev_b32_e32 v14, 28
	v_lshlrev_b32_e32 v6, 24, v6
	v_lshl_add_u32 v14, v15, 23, v14
	v_and_or_b32 v6, v6, s96, v14
	v_lshl_or_b32 v14, v12, 21, v6
                                        ; implicit-def: $vgpr12
                                        ; implicit-def: $vgpr6
.LBB6_5661:                             ;   in Loop: Header=BB6_5342 Depth=3
	s_andn2_saveexec_b64 s[72:73], s[72:73]
; %bb.5662:                             ;   in Loop: Header=BB6_5342 Depth=3
	v_mov_b32_e32 v14, -1
	v_cmp_gt_i16_sdwa vcc, sext(v6), v14 src0_sel:BYTE_0 src1_sel:DWORD
	v_mov_b32_e32 v6, 0xc7600000
	v_mov_b32_e32 v14, 0x47600000
	v_cndmask_b32_e32 v6, v6, v14, vcc
	v_cmp_eq_u32_e32 vcc, 0, v12
	v_mov_b32_e32 v12, 0x7f800001
	v_cndmask_b32_e32 v14, v12, v6, vcc
; %bb.5663:                             ;   in Loop: Header=BB6_5342 Depth=3
	s_or_b64 exec, exec, s[72:73]
.LBB6_5664:                             ;   in Loop: Header=BB6_5342 Depth=3
	s_or_b64 exec, exec, s[34:35]
.LBB6_5665:                             ;   in Loop: Header=BB6_5342 Depth=3
	s_or_b64 exec, exec, s[30:31]
	v_max_f32_e32 v6, v14, v14
	v_max_f32_e32 v7, v7, v7
	v_min_f32_e32 v7, v7, v6
.LBB6_5666:                             ;   in Loop: Header=BB6_5342 Depth=3
	v_and_b32_sdwa v12, v7, s97 dst_sel:DWORD dst_unused:UNUSED_PAD src0_sel:BYTE_3 src1_sel:DWORD
	v_and_b32_e32 v34, 0x7f800000, v7
	v_mov_b32_e32 v35, v51
	v_and_b32_e32 v50, 0x7fffff, v7
	v_or_b32_e32 v14, 0x7b, v12
	v_cmp_ne_u64_e32 vcc, s[52:53], v[34:35]
	s_and_saveexec_b64 s[30:31], vcc
	s_xor_b64 s[34:35], exec, s[30:31]
	s_cbranch_execz .LBB6_5676
; %bb.5667:                             ;   in Loop: Header=BB6_5342 Depth=3
	v_and_b32_e32 v34, 0x7fffffff, v7
	v_mov_b32_e32 v35, v51
	v_cmp_gt_u64_e32 vcc, s[54:55], v[34:35]
	s_and_saveexec_b64 s[72:73], vcc
	s_cbranch_execz .LBB6_5675
; %bb.5668:                             ;   in Loop: Header=BB6_5342 Depth=3
	v_cmp_ne_u32_e32 vcc, 0, v7
	v_mov_b32_e32 v14, 0
	s_and_saveexec_b64 s[74:75], vcc
	s_cbranch_execz .LBB6_5674
; %bb.5669:                             ;   in Loop: Header=BB6_5342 Depth=3
	v_bfe_u32 v6, v7, 23, 8
	v_cmp_eq_u32_e32 vcc, 0, v6
	v_add_u32_e32 v7, 0xffffff81, v6
	v_cmp_gt_u32_e64 s[30:31], s38, v6
	v_sub_u32_e32 v6, 0x71, v6
	v_mov_b32_e32 v15, 0xffffff82
	v_cndmask_b32_e64 v6, 0, v6, s[30:31]
	v_cndmask_b32_e32 v33, v7, v15, vcc
	v_mov_b32_e32 v7, 0x70
	v_cndmask_b32_e32 v34, v6, v7, vcc
	v_add_u32_e32 v6, 21, v34
	v_or_b32_e32 v14, 0x800000, v50
	v_lshlrev_b64 v[6:7], v6, -1
	v_cndmask_b32_e32 v50, v14, v50, vcc
	v_not_b32_e32 v7, v7
	v_not_b32_e32 v6, v6
	v_add_u32_e32 v14, 20, v34
	v_and_b32_e32 v7, 0, v7
	v_and_b32_e32 v6, v50, v6
	v_lshlrev_b64 v[14:15], v14, 1
	v_cmp_eq_u64_e32 vcc, v[6:7], v[14:15]
	v_lshrrev_b64 v[6:7], v34, v[50:51]
	v_lshrrev_b32_e32 v14, 23, v6
	v_add3_u32 v33, v34, v33, v14
	v_bfe_u32 v14, v6, 21, 1
	v_add_u32_e32 v14, -1, v14
	v_cndmask_b32_e32 v14, 0, v14, vcc
	v_add_u32_e32 v14, v14, v6
	v_and_b32_e32 v14, 0x1fffff, v14
	v_add_co_u32_e32 v6, vcc, v14, v6
	v_add_u32_e32 v15, 14, v33
	v_addc_co_u32_e32 v7, vcc, 0, v7, vcc
	v_cmp_ne_u32_e32 vcc, 0, v15
                                        ; implicit-def: $vgpr14
	s_and_saveexec_b64 s[30:31], vcc
	s_xor_b64 s[30:31], exec, s[30:31]
; %bb.5670:                             ;   in Loop: Header=BB6_5342 Depth=3
	v_add_u32_e32 v14, 15, v33
	v_cmp_lt_u64_e32 vcc, s[56:57], v[6:7]
	v_cndmask_b32_e32 v14, v15, v14, vcc
	v_cndmask_b32_e64 v15, 0, 1, vcc
	v_lshrrev_b64 v[6:7], v15, v[6:7]
; %bb.5671:                             ;   in Loop: Header=BB6_5342 Depth=3
	s_andn2_saveexec_b64 vcc, s[30:31]
; %bb.5672:                             ;   in Loop: Header=BB6_5342 Depth=3
	v_bfe_u32 v14, v6, 23, 1
; %bb.5673:                             ;   in Loop: Header=BB6_5342 Depth=3
	s_or_b64 exec, exec, vcc
	v_lshrrev_b64 v[6:7], 21, v[6:7]
	v_cmp_gt_i32_e32 vcc, 32, v14
	v_cndmask_b32_e32 v7, 0, v7, vcc
	v_cndmask_b32_e32 v6, 3, v6, vcc
	v_cmp_eq_u64_e64 s[30:31], 0, v[6:7]
	v_min_i32_e32 v7, 31, v14
	v_cmp_eq_u32_e32 vcc, 0, v14
	v_lshlrev_b32_e32 v7, 2, v7
	v_and_or_b32 v6, v6, 3, v7
	s_and_b64 vcc, vcc, s[30:31]
	v_cndmask_b32_e64 v6, v6, 0, vcc
	v_or_b32_e32 v14, v6, v12
.LBB6_5674:                             ;   in Loop: Header=BB6_5342 Depth=3
	s_or_b64 exec, exec, s[74:75]
.LBB6_5675:                             ;   in Loop: Header=BB6_5342 Depth=3
	s_or_b64 exec, exec, s[72:73]
                                        ; implicit-def: $vgpr7
.LBB6_5676:                             ;   in Loop: Header=BB6_5342 Depth=3
	s_andn2_saveexec_b64 s[30:31], s[34:35]
; %bb.5677:                             ;   in Loop: Header=BB6_5342 Depth=3
	v_or_b32_sdwa v6, v7, s39 dst_sel:DWORD dst_unused:UNUSED_PAD src0_sel:BYTE_3 src1_sel:DWORD
	v_cmp_eq_u64_e32 vcc, 0, v[50:51]
	v_cndmask_b32_e32 v14, v6, v14, vcc
; %bb.5678:                             ;   in Loop: Header=BB6_5342 Depth=3
	s_or_b64 exec, exec, s[30:31]
	v_lshrrev_b32_e32 v12, 24, v1
	v_lshrrev_b32_e32 v6, 24, v9
	v_cmp_lt_u64_e64 s[30:31], s[42:43], v[0:1]
	s_and_b64 vcc, exec, s[70:71]
	s_cbranch_vccz .LBB6_5696
; %bb.5679:                             ;   in Loop: Header=BB6_5342 Depth=3
	v_mov_b32_e32 v15, 0
	v_mov_b32_e32 v7, 0
	s_and_saveexec_b64 s[34:35], s[30:31]
	s_cbranch_execz .LBB6_5687
; %bb.5680:                             ;   in Loop: Header=BB6_5342 Depth=3
	v_cmp_ne_u32_e32 vcc, s97, v12
	v_bfrev_b32_e32 v7, 1
	s_and_saveexec_b64 s[72:73], vcc
	s_cbranch_execz .LBB6_5686
; %bb.5681:                             ;   in Loop: Header=BB6_5342 Depth=3
	v_and_b32_e32 v7, 0x7c000000, v1
	v_bfe_u32 v33, v1, 24, 2
	v_cmp_ne_u32_e32 vcc, s37, v7
                                        ; implicit-def: $vgpr7
	s_and_saveexec_b64 s[74:75], vcc
	s_xor_b64 s[74:75], exec, s[74:75]
	s_cbranch_execz .LBB6_5683
; %bb.5682:                             ;   in Loop: Header=BB6_5342 Depth=3
	v_ffbh_u32_e32 v34, v33
	v_min_u32_e32 v36, 32, v34
	v_subrev_u32_e32 v34, 29, v36
	v_bfe_u32 v7, v1, 26, 5
	v_lshlrev_b64 v[34:35], v34, v[12:13]
	v_sub_u32_e32 v35, 30, v36
	v_and_b32_e32 v34, 3, v34
	v_cmp_eq_u32_e32 vcc, 0, v7
	v_cndmask_b32_e32 v7, v7, v35, vcc
	v_cndmask_b32_e32 v33, v33, v34, vcc
	v_bfrev_b32_e32 v34, 28
	v_lshl_add_u32 v7, v7, 23, v34
	v_and_or_b32 v7, v1, s96, v7
	v_lshl_or_b32 v7, v33, 21, v7
                                        ; implicit-def: $vgpr33
.LBB6_5683:                             ;   in Loop: Header=BB6_5342 Depth=3
	s_andn2_saveexec_b64 s[74:75], s[74:75]
; %bb.5684:                             ;   in Loop: Header=BB6_5342 Depth=3
	v_cmp_lt_i64_e32 vcc, -1, v[0:1]
	v_mov_b32_e32 v7, 0xc7600000
	v_mov_b32_e32 v34, 0x47600000
	v_cndmask_b32_e32 v7, v7, v34, vcc
	v_cmp_eq_u32_e32 vcc, 0, v33
	v_mov_b32_e32 v33, 0x7f800001
	v_cndmask_b32_e32 v7, v33, v7, vcc
; %bb.5685:                             ;   in Loop: Header=BB6_5342 Depth=3
	s_or_b64 exec, exec, s[74:75]
.LBB6_5686:                             ;   in Loop: Header=BB6_5342 Depth=3
	s_or_b64 exec, exec, s[72:73]
.LBB6_5687:                             ;   in Loop: Header=BB6_5342 Depth=3
	s_or_b64 exec, exec, s[34:35]
	v_cmp_lt_u64_e32 vcc, s[42:43], v[8:9]
	s_and_saveexec_b64 s[34:35], vcc
	s_cbranch_execz .LBB6_5695
; %bb.5688:                             ;   in Loop: Header=BB6_5342 Depth=3
	v_cmp_ne_u32_e32 vcc, s97, v6
	v_bfrev_b32_e32 v15, 1
	s_and_saveexec_b64 s[72:73], vcc
	s_cbranch_execz .LBB6_5694
; %bb.5689:                             ;   in Loop: Header=BB6_5342 Depth=3
	v_and_b32_e32 v15, 0x7c000000, v9
	v_bfe_u32 v33, v9, 24, 2
	v_cmp_ne_u32_e32 vcc, s37, v15
                                        ; implicit-def: $vgpr15
	s_and_saveexec_b64 s[74:75], vcc
	s_xor_b64 s[74:75], exec, s[74:75]
	s_cbranch_execz .LBB6_5691
; %bb.5690:                             ;   in Loop: Header=BB6_5342 Depth=3
	v_ffbh_u32_e32 v34, v33
	v_min_u32_e32 v36, 32, v34
	v_subrev_u32_e32 v34, 29, v36
	v_bfe_u32 v15, v9, 26, 5
	v_lshlrev_b64 v[34:35], v34, v[6:7]
	v_sub_u32_e32 v35, 30, v36
	v_and_b32_e32 v34, 3, v34
	v_cmp_eq_u32_e32 vcc, 0, v15
	v_cndmask_b32_e32 v15, v15, v35, vcc
	v_cndmask_b32_e32 v33, v33, v34, vcc
	v_bfrev_b32_e32 v34, 28
	v_lshl_add_u32 v15, v15, 23, v34
	v_and_or_b32 v15, v9, s96, v15
	v_lshl_or_b32 v15, v33, 21, v15
                                        ; implicit-def: $vgpr33
.LBB6_5691:                             ;   in Loop: Header=BB6_5342 Depth=3
	s_andn2_saveexec_b64 s[74:75], s[74:75]
; %bb.5692:                             ;   in Loop: Header=BB6_5342 Depth=3
	v_cmp_lt_i64_e32 vcc, -1, v[8:9]
	v_mov_b32_e32 v15, 0xc7600000
	v_mov_b32_e32 v34, 0x47600000
	v_cndmask_b32_e32 v15, v15, v34, vcc
	v_cmp_eq_u32_e32 vcc, 0, v33
	v_mov_b32_e32 v33, 0x7f800001
	v_cndmask_b32_e32 v15, v33, v15, vcc
; %bb.5693:                             ;   in Loop: Header=BB6_5342 Depth=3
	s_or_b64 exec, exec, s[74:75]
.LBB6_5694:                             ;   in Loop: Header=BB6_5342 Depth=3
	s_or_b64 exec, exec, s[72:73]
.LBB6_5695:                             ;   in Loop: Header=BB6_5342 Depth=3
	s_or_b64 exec, exec, s[34:35]
	v_max_f32_e32 v15, v15, v15
	v_max_f32_e32 v7, v7, v7
	;; [unrolled: 1-line block ×3, first 2 shown]
	s_branch .LBB6_5714
.LBB6_5696:                             ;   in Loop: Header=BB6_5342 Depth=3
                                        ; implicit-def: $vgpr7
	s_cbranch_execz .LBB6_5714
; %bb.5697:                             ;   in Loop: Header=BB6_5342 Depth=3
	v_mov_b32_e32 v15, 0
	v_mov_b32_e32 v7, 0
	s_and_saveexec_b64 s[34:35], s[30:31]
	s_cbranch_execz .LBB6_5705
; %bb.5698:                             ;   in Loop: Header=BB6_5342 Depth=3
	v_cmp_ne_u32_e32 vcc, s97, v12
	v_bfrev_b32_e32 v7, 1
	s_and_saveexec_b64 s[30:31], vcc
	s_cbranch_execz .LBB6_5704
; %bb.5699:                             ;   in Loop: Header=BB6_5342 Depth=3
	v_and_b32_e32 v7, 0x7c000000, v1
	v_bfe_u32 v33, v1, 24, 2
	v_cmp_ne_u32_e32 vcc, s37, v7
                                        ; implicit-def: $vgpr7
	s_and_saveexec_b64 s[72:73], vcc
	s_xor_b64 s[72:73], exec, s[72:73]
	s_cbranch_execz .LBB6_5701
; %bb.5700:                             ;   in Loop: Header=BB6_5342 Depth=3
	v_ffbh_u32_e32 v7, v33
	v_min_u32_e32 v7, 32, v7
	v_subrev_u32_e32 v34, 29, v7
	v_bfe_u32 v0, v1, 26, 5
	v_lshlrev_b64 v[34:35], v34, v[12:13]
	v_sub_u32_e32 v7, 30, v7
	v_and_b32_e32 v12, 3, v34
	v_cmp_eq_u32_e32 vcc, 0, v0
	v_cndmask_b32_e32 v0, v0, v7, vcc
	v_cndmask_b32_e32 v7, v33, v12, vcc
	v_bfrev_b32_e32 v12, 28
	v_lshl_add_u32 v0, v0, 23, v12
	v_and_or_b32 v0, v1, s96, v0
	v_lshl_or_b32 v7, v7, 21, v0
                                        ; implicit-def: $vgpr33
.LBB6_5701:                             ;   in Loop: Header=BB6_5342 Depth=3
	s_andn2_saveexec_b64 s[72:73], s[72:73]
; %bb.5702:                             ;   in Loop: Header=BB6_5342 Depth=3
	v_cmp_lt_i64_e32 vcc, -1, v[0:1]
	v_mov_b32_e32 v0, 0xc7600000
	v_mov_b32_e32 v1, 0x47600000
	v_cndmask_b32_e32 v0, v0, v1, vcc
	v_cmp_eq_u32_e32 vcc, 0, v33
	v_mov_b32_e32 v1, 0x7f800001
	v_cndmask_b32_e32 v7, v1, v0, vcc
; %bb.5703:                             ;   in Loop: Header=BB6_5342 Depth=3
	s_or_b64 exec, exec, s[72:73]
.LBB6_5704:                             ;   in Loop: Header=BB6_5342 Depth=3
	s_or_b64 exec, exec, s[30:31]
.LBB6_5705:                             ;   in Loop: Header=BB6_5342 Depth=3
	s_or_b64 exec, exec, s[34:35]
	v_cmp_lt_u64_e32 vcc, s[42:43], v[8:9]
	s_and_saveexec_b64 s[30:31], vcc
	s_cbranch_execz .LBB6_5713
; %bb.5706:                             ;   in Loop: Header=BB6_5342 Depth=3
	v_cmp_ne_u32_e32 vcc, s97, v6
	v_bfrev_b32_e32 v15, 1
	s_and_saveexec_b64 s[34:35], vcc
	s_cbranch_execz .LBB6_5712
; %bb.5707:                             ;   in Loop: Header=BB6_5342 Depth=3
	v_and_b32_e32 v1, 0x7c000000, v9
	v_bfe_u32 v0, v9, 24, 2
	v_cmp_ne_u32_e32 vcc, s37, v1
                                        ; implicit-def: $vgpr15
	s_and_saveexec_b64 s[72:73], vcc
	s_xor_b64 s[72:73], exec, s[72:73]
	s_cbranch_execz .LBB6_5709
; %bb.5708:                             ;   in Loop: Header=BB6_5342 Depth=3
	v_ffbh_u32_e32 v8, v0
	v_min_u32_e32 v8, 32, v8
	v_bfe_u32 v1, v9, 26, 5
	v_subrev_u32_e32 v12, 29, v8
	v_lshlrev_b64 v[34:35], v12, v[6:7]
	v_sub_u32_e32 v6, 30, v8
	v_cmp_eq_u32_e32 vcc, 0, v1
	v_cndmask_b32_e32 v1, v1, v6, vcc
	v_bfrev_b32_e32 v6, 28
	v_and_b32_e32 v8, 3, v34
	v_lshl_add_u32 v1, v1, 23, v6
	v_cndmask_b32_e32 v0, v0, v8, vcc
	v_and_or_b32 v1, v9, s96, v1
	v_lshl_or_b32 v15, v0, 21, v1
                                        ; implicit-def: $vgpr0
.LBB6_5709:                             ;   in Loop: Header=BB6_5342 Depth=3
	s_andn2_saveexec_b64 s[72:73], s[72:73]
; %bb.5710:                             ;   in Loop: Header=BB6_5342 Depth=3
	v_cmp_lt_i64_e32 vcc, -1, v[8:9]
	v_mov_b32_e32 v1, 0xc7600000
	v_mov_b32_e32 v6, 0x47600000
	v_cndmask_b32_e32 v1, v1, v6, vcc
	v_cmp_eq_u32_e32 vcc, 0, v0
	v_mov_b32_e32 v0, 0x7f800001
	v_cndmask_b32_e32 v15, v0, v1, vcc
; %bb.5711:                             ;   in Loop: Header=BB6_5342 Depth=3
	s_or_b64 exec, exec, s[72:73]
.LBB6_5712:                             ;   in Loop: Header=BB6_5342 Depth=3
	s_or_b64 exec, exec, s[34:35]
.LBB6_5713:                             ;   in Loop: Header=BB6_5342 Depth=3
	s_or_b64 exec, exec, s[30:31]
	v_max_f32_e32 v0, v15, v15
	v_max_f32_e32 v1, v7, v7
	v_min_f32_e32 v7, v1, v0
.LBB6_5714:                             ;   in Loop: Header=BB6_5342 Depth=3
	v_and_b32_sdwa v6, v7, s97 dst_sel:DWORD dst_unused:UNUSED_PAD src0_sel:BYTE_3 src1_sel:DWORD
	v_and_b32_e32 v0, 0x7f800000, v7
	v_mov_b32_e32 v1, v51
	v_and_b32_e32 v50, 0x7fffff, v7
	v_or_b32_e32 v12, 0x7b, v6
	v_cmp_ne_u64_e32 vcc, s[52:53], v[0:1]
	s_and_saveexec_b64 s[30:31], vcc
	s_xor_b64 s[34:35], exec, s[30:31]
	s_cbranch_execz .LBB6_5742
; %bb.5715:                             ;   in Loop: Header=BB6_5342 Depth=3
	v_and_b32_e32 v0, 0x7fffffff, v7
	v_mov_b32_e32 v1, v51
	v_cmp_gt_u64_e32 vcc, s[54:55], v[0:1]
	s_and_saveexec_b64 s[72:73], vcc
	s_cbranch_execz .LBB6_5723
; %bb.5716:                             ;   in Loop: Header=BB6_5342 Depth=3
	v_cmp_ne_u32_e32 vcc, 0, v7
	v_mov_b32_e32 v12, 0
	s_and_saveexec_b64 s[74:75], vcc
	s_cbranch_execz .LBB6_5722
; %bb.5717:                             ;   in Loop: Header=BB6_5342 Depth=3
	v_bfe_u32 v0, v7, 23, 8
	v_cmp_eq_u32_e32 vcc, 0, v0
	v_add_u32_e32 v1, 0xffffff81, v0
	v_cmp_gt_u32_e64 s[30:31], s38, v0
	v_sub_u32_e32 v0, 0x71, v0
	v_mov_b32_e32 v8, 0xffffff82
	v_cndmask_b32_e64 v0, 0, v0, s[30:31]
	v_cndmask_b32_e32 v12, v1, v8, vcc
	v_mov_b32_e32 v1, 0x70
	v_cndmask_b32_e32 v15, v0, v1, vcc
	v_add_u32_e32 v0, 21, v15
	v_or_b32_e32 v7, 0x800000, v50
	v_lshlrev_b64 v[0:1], v0, -1
	v_cndmask_b32_e32 v50, v7, v50, vcc
	v_not_b32_e32 v1, v1
	v_not_b32_e32 v0, v0
	v_add_u32_e32 v7, 20, v15
	v_and_b32_e32 v1, 0, v1
	v_and_b32_e32 v0, v50, v0
	v_lshlrev_b64 v[8:9], v7, 1
	v_cmp_eq_u64_e32 vcc, v[0:1], v[8:9]
	v_lshrrev_b64 v[0:1], v15, v[50:51]
	v_lshrrev_b32_e32 v7, 23, v0
	v_add3_u32 v9, v15, v12, v7
	v_bfe_u32 v7, v0, 21, 1
	v_add_u32_e32 v7, -1, v7
	v_cndmask_b32_e32 v7, 0, v7, vcc
	v_add_u32_e32 v7, v7, v0
	v_and_b32_e32 v7, 0x1fffff, v7
	v_add_co_u32_e32 v0, vcc, v7, v0
	v_add_u32_e32 v8, 14, v9
	v_addc_co_u32_e32 v1, vcc, 0, v1, vcc
	v_cmp_ne_u32_e32 vcc, 0, v8
                                        ; implicit-def: $vgpr7
	s_and_saveexec_b64 s[30:31], vcc
	s_xor_b64 s[30:31], exec, s[30:31]
; %bb.5718:                             ;   in Loop: Header=BB6_5342 Depth=3
	v_add_u32_e32 v7, 15, v9
	v_cmp_lt_u64_e32 vcc, s[56:57], v[0:1]
	v_cndmask_b32_e32 v7, v8, v7, vcc
	v_cndmask_b32_e64 v8, 0, 1, vcc
	v_lshrrev_b64 v[0:1], v8, v[0:1]
; %bb.5719:                             ;   in Loop: Header=BB6_5342 Depth=3
	s_andn2_saveexec_b64 vcc, s[30:31]
; %bb.5720:                             ;   in Loop: Header=BB6_5342 Depth=3
	v_bfe_u32 v7, v0, 23, 1
; %bb.5721:                             ;   in Loop: Header=BB6_5342 Depth=3
	s_or_b64 exec, exec, vcc
	v_lshrrev_b64 v[0:1], 21, v[0:1]
	v_cmp_gt_i32_e32 vcc, 32, v7
	v_cndmask_b32_e32 v1, 0, v1, vcc
	v_cndmask_b32_e32 v0, 3, v0, vcc
	v_cmp_eq_u64_e64 s[30:31], 0, v[0:1]
	v_min_i32_e32 v1, 31, v7
	v_lshlrev_b32_e32 v1, 2, v1
	v_cmp_eq_u32_e32 vcc, 0, v7
	v_and_b32_e32 v1, 0xfc, v1
	v_and_or_b32 v0, v0, 3, v1
	s_and_b64 vcc, vcc, s[30:31]
	v_cndmask_b32_e64 v0, v0, 0, vcc
	v_or_b32_e32 v12, v0, v6
.LBB6_5722:                             ;   in Loop: Header=BB6_5342 Depth=3
	s_or_b64 exec, exec, s[74:75]
.LBB6_5723:                             ;   in Loop: Header=BB6_5342 Depth=3
	s_or_b64 exec, exec, s[72:73]
                                        ; implicit-def: $vgpr7
	s_andn2_saveexec_b64 s[30:31], s[34:35]
	s_cbranch_execnz .LBB6_5743
.LBB6_5724:                             ;   in Loop: Header=BB6_5342 Depth=3
	s_or_b64 exec, exec, s[30:31]
	v_cmp_ne_u16_sdwa s[30:31], v2, v51 src0_sel:BYTE_0 src1_sel:DWORD
	s_and_b64 vcc, exec, s[70:71]
	s_cbranch_vccz .LBB6_5744
.LBB6_5725:                             ;   in Loop: Header=BB6_5342 Depth=3
	v_mov_b32_e32 v1, 0
	v_mov_b32_e32 v0, 0
	s_and_saveexec_b64 s[34:35], s[30:31]
	s_cbranch_execz .LBB6_5733
; %bb.5726:                             ;   in Loop: Header=BB6_5342 Depth=3
	v_cmp_ne_u16_sdwa vcc, sext(v2), s94 src0_sel:BYTE_0 src1_sel:DWORD
	v_bfrev_b32_e32 v0, 1
	s_and_saveexec_b64 s[72:73], vcc
	s_cbranch_execz .LBB6_5732
; %bb.5727:                             ;   in Loop: Header=BB6_5342 Depth=3
	v_and_b32_e32 v0, 0x7c, v2
	v_and_b32_e32 v6, 3, v2
	v_cmp_ne_u32_e32 vcc, s95, v0
                                        ; implicit-def: $vgpr0
	s_and_saveexec_b64 s[74:75], vcc
	s_xor_b64 s[74:75], exec, s[74:75]
	s_cbranch_execz .LBB6_5729
; %bb.5728:                             ;   in Loop: Header=BB6_5342 Depth=3
	v_ffbh_u32_e32 v7, v6
	v_min_u32_e32 v7, 32, v7
	v_subrev_u32_e32 v8, 29, v7
	v_bfe_u32 v0, v2, 2, 5
	v_lshlrev_b64 v[8:9], v8, v[2:3]
	v_sub_u32_e32 v7, 30, v7
	v_and_b32_e32 v8, 3, v8
	v_cmp_eq_u32_e32 vcc, 0, v0
	v_cndmask_b32_e32 v0, v0, v7, vcc
	v_cndmask_b32_e32 v6, v6, v8, vcc
	v_bfrev_b32_e32 v8, 28
	v_lshlrev_b32_e32 v7, 24, v2
	v_lshl_add_u32 v0, v0, 23, v8
	v_and_or_b32 v0, v7, s96, v0
	v_lshl_or_b32 v0, v6, 21, v0
                                        ; implicit-def: $vgpr6
.LBB6_5729:                             ;   in Loop: Header=BB6_5342 Depth=3
	s_andn2_saveexec_b64 s[74:75], s[74:75]
; %bb.5730:                             ;   in Loop: Header=BB6_5342 Depth=3
	v_mov_b32_e32 v0, -1
	v_cmp_gt_i16_sdwa vcc, sext(v2), v0 src0_sel:BYTE_0 src1_sel:DWORD
	v_mov_b32_e32 v0, 0xc7600000
	v_mov_b32_e32 v7, 0x47600000
	v_cndmask_b32_e32 v0, v0, v7, vcc
	v_cmp_eq_u32_e32 vcc, 0, v6
	v_mov_b32_e32 v6, 0x7f800001
	v_cndmask_b32_e32 v0, v6, v0, vcc
; %bb.5731:                             ;   in Loop: Header=BB6_5342 Depth=3
	s_or_b64 exec, exec, s[74:75]
.LBB6_5732:                             ;   in Loop: Header=BB6_5342 Depth=3
	s_or_b64 exec, exec, s[72:73]
.LBB6_5733:                             ;   in Loop: Header=BB6_5342 Depth=3
	s_or_b64 exec, exec, s[34:35]
	v_cmp_ne_u16_sdwa vcc, sext(v10), v51 src0_sel:BYTE_0 src1_sel:DWORD
	s_and_saveexec_b64 s[34:35], vcc
	s_cbranch_execz .LBB6_5741
; %bb.5734:                             ;   in Loop: Header=BB6_5342 Depth=3
	v_cmp_ne_u16_sdwa vcc, sext(v10), s94 src0_sel:BYTE_0 src1_sel:DWORD
	v_bfrev_b32_e32 v1, 1
	s_and_saveexec_b64 s[72:73], vcc
	s_cbranch_execz .LBB6_5740
; %bb.5735:                             ;   in Loop: Header=BB6_5342 Depth=3
	v_and_b32_e32 v1, 0x7c, v10
	v_and_b32_e32 v6, 3, v10
	v_cmp_ne_u32_e32 vcc, s95, v1
                                        ; implicit-def: $vgpr1
	s_and_saveexec_b64 s[74:75], vcc
	s_xor_b64 s[74:75], exec, s[74:75]
	s_cbranch_execz .LBB6_5737
; %bb.5736:                             ;   in Loop: Header=BB6_5342 Depth=3
	v_ffbh_u32_e32 v7, v6
	v_min_u32_e32 v7, 32, v7
	v_subrev_u32_e32 v8, 29, v7
	v_bfe_u32 v1, v10, 2, 5
	v_lshlrev_b64 v[8:9], v8, v[10:11]
	v_sub_u32_e32 v7, 30, v7
	v_and_b32_e32 v8, 3, v8
	v_cmp_eq_u32_e32 vcc, 0, v1
	v_cndmask_b32_e32 v1, v1, v7, vcc
	v_cndmask_b32_e32 v6, v6, v8, vcc
	v_bfrev_b32_e32 v8, 28
	v_lshlrev_b32_e32 v7, 24, v10
	v_lshl_add_u32 v1, v1, 23, v8
	v_and_or_b32 v1, v7, s96, v1
	v_lshl_or_b32 v1, v6, 21, v1
                                        ; implicit-def: $vgpr6
.LBB6_5737:                             ;   in Loop: Header=BB6_5342 Depth=3
	s_andn2_saveexec_b64 s[74:75], s[74:75]
; %bb.5738:                             ;   in Loop: Header=BB6_5342 Depth=3
	v_mov_b32_e32 v1, -1
	v_cmp_gt_i16_sdwa vcc, sext(v10), v1 src0_sel:BYTE_0 src1_sel:DWORD
	v_mov_b32_e32 v1, 0xc7600000
	v_mov_b32_e32 v7, 0x47600000
	v_cndmask_b32_e32 v1, v1, v7, vcc
	v_cmp_eq_u32_e32 vcc, 0, v6
	v_mov_b32_e32 v6, 0x7f800001
	v_cndmask_b32_e32 v1, v6, v1, vcc
; %bb.5739:                             ;   in Loop: Header=BB6_5342 Depth=3
	s_or_b64 exec, exec, s[74:75]
.LBB6_5740:                             ;   in Loop: Header=BB6_5342 Depth=3
	s_or_b64 exec, exec, s[72:73]
.LBB6_5741:                             ;   in Loop: Header=BB6_5342 Depth=3
	s_or_b64 exec, exec, s[34:35]
	v_max_f32_e32 v1, v1, v1
	v_max_f32_e32 v0, v0, v0
	;; [unrolled: 1-line block ×3, first 2 shown]
	s_branch .LBB6_5762
.LBB6_5742:                             ;   in Loop: Header=BB6_5342 Depth=3
	s_andn2_saveexec_b64 s[30:31], s[34:35]
	s_cbranch_execz .LBB6_5724
.LBB6_5743:                             ;   in Loop: Header=BB6_5342 Depth=3
	v_or_b32_sdwa v0, v7, s39 dst_sel:DWORD dst_unused:UNUSED_PAD src0_sel:BYTE_3 src1_sel:DWORD
	v_cmp_eq_u64_e32 vcc, 0, v[50:51]
	v_cndmask_b32_e32 v12, v0, v12, vcc
	s_or_b64 exec, exec, s[30:31]
	v_cmp_ne_u16_sdwa s[30:31], v2, v51 src0_sel:BYTE_0 src1_sel:DWORD
	s_and_b64 vcc, exec, s[70:71]
	s_cbranch_vccnz .LBB6_5725
.LBB6_5744:                             ;   in Loop: Header=BB6_5342 Depth=3
                                        ; implicit-def: $vgpr0
	s_cbranch_execz .LBB6_5762
; %bb.5745:                             ;   in Loop: Header=BB6_5342 Depth=3
	v_mov_b32_e32 v1, 0
	v_mov_b32_e32 v0, 0
	s_and_saveexec_b64 s[34:35], s[30:31]
	s_cbranch_execz .LBB6_5753
; %bb.5746:                             ;   in Loop: Header=BB6_5342 Depth=3
	v_cmp_ne_u16_sdwa vcc, sext(v2), s94 src0_sel:BYTE_0 src1_sel:DWORD
	v_bfrev_b32_e32 v0, 1
	s_and_saveexec_b64 s[30:31], vcc
	s_cbranch_execz .LBB6_5752
; %bb.5747:                             ;   in Loop: Header=BB6_5342 Depth=3
	v_and_b32_e32 v0, 0x7c, v2
	v_and_b32_e32 v6, 3, v2
	v_cmp_ne_u32_e32 vcc, s95, v0
                                        ; implicit-def: $vgpr0
	s_and_saveexec_b64 s[72:73], vcc
	s_xor_b64 s[72:73], exec, s[72:73]
	s_cbranch_execz .LBB6_5749
; %bb.5748:                             ;   in Loop: Header=BB6_5342 Depth=3
	v_ffbh_u32_e32 v7, v6
	v_min_u32_e32 v7, 32, v7
	v_subrev_u32_e32 v8, 29, v7
	v_bfe_u32 v0, v2, 2, 5
	v_lshlrev_b64 v[8:9], v8, v[2:3]
	v_sub_u32_e32 v7, 30, v7
	v_and_b32_e32 v8, 3, v8
	v_cmp_eq_u32_e32 vcc, 0, v0
	v_cndmask_b32_e32 v0, v0, v7, vcc
	v_cndmask_b32_e32 v6, v6, v8, vcc
	v_bfrev_b32_e32 v8, 28
	v_lshlrev_b32_e32 v7, 24, v2
	v_lshl_add_u32 v0, v0, 23, v8
	v_and_or_b32 v0, v7, s96, v0
	v_lshl_or_b32 v0, v6, 21, v0
                                        ; implicit-def: $vgpr6
.LBB6_5749:                             ;   in Loop: Header=BB6_5342 Depth=3
	s_andn2_saveexec_b64 s[72:73], s[72:73]
; %bb.5750:                             ;   in Loop: Header=BB6_5342 Depth=3
	v_mov_b32_e32 v0, -1
	v_cmp_gt_i16_sdwa vcc, sext(v2), v0 src0_sel:BYTE_0 src1_sel:DWORD
	v_mov_b32_e32 v0, 0xc7600000
	v_mov_b32_e32 v7, 0x47600000
	v_cndmask_b32_e32 v0, v0, v7, vcc
	v_cmp_eq_u32_e32 vcc, 0, v6
	v_mov_b32_e32 v6, 0x7f800001
	v_cndmask_b32_e32 v0, v6, v0, vcc
; %bb.5751:                             ;   in Loop: Header=BB6_5342 Depth=3
	s_or_b64 exec, exec, s[72:73]
.LBB6_5752:                             ;   in Loop: Header=BB6_5342 Depth=3
	s_or_b64 exec, exec, s[30:31]
.LBB6_5753:                             ;   in Loop: Header=BB6_5342 Depth=3
	s_or_b64 exec, exec, s[34:35]
	v_cmp_ne_u16_sdwa vcc, sext(v10), v51 src0_sel:BYTE_0 src1_sel:DWORD
	s_and_saveexec_b64 s[30:31], vcc
	s_cbranch_execz .LBB6_5761
; %bb.5754:                             ;   in Loop: Header=BB6_5342 Depth=3
	v_cmp_ne_u16_sdwa vcc, sext(v10), s94 src0_sel:BYTE_0 src1_sel:DWORD
	v_bfrev_b32_e32 v1, 1
	s_and_saveexec_b64 s[34:35], vcc
	s_cbranch_execz .LBB6_5760
; %bb.5755:                             ;   in Loop: Header=BB6_5342 Depth=3
	v_and_b32_e32 v1, 0x7c, v10
	v_and_b32_e32 v6, 3, v10
	v_cmp_ne_u32_e32 vcc, s95, v1
                                        ; implicit-def: $vgpr1
	s_and_saveexec_b64 s[72:73], vcc
	s_xor_b64 s[72:73], exec, s[72:73]
	s_cbranch_execz .LBB6_5757
; %bb.5756:                             ;   in Loop: Header=BB6_5342 Depth=3
	v_ffbh_u32_e32 v7, v6
	v_min_u32_e32 v7, 32, v7
	v_subrev_u32_e32 v8, 29, v7
	v_bfe_u32 v1, v10, 2, 5
	v_lshlrev_b64 v[8:9], v8, v[10:11]
	v_sub_u32_e32 v7, 30, v7
	v_and_b32_e32 v8, 3, v8
	v_cmp_eq_u32_e32 vcc, 0, v1
	v_cndmask_b32_e32 v1, v1, v7, vcc
	v_cndmask_b32_e32 v6, v6, v8, vcc
	v_bfrev_b32_e32 v8, 28
	v_lshlrev_b32_e32 v7, 24, v10
	v_lshl_add_u32 v1, v1, 23, v8
	v_and_or_b32 v1, v7, s96, v1
	v_lshl_or_b32 v1, v6, 21, v1
                                        ; implicit-def: $vgpr6
.LBB6_5757:                             ;   in Loop: Header=BB6_5342 Depth=3
	s_andn2_saveexec_b64 s[72:73], s[72:73]
; %bb.5758:                             ;   in Loop: Header=BB6_5342 Depth=3
	v_mov_b32_e32 v1, -1
	v_cmp_gt_i16_sdwa vcc, sext(v10), v1 src0_sel:BYTE_0 src1_sel:DWORD
	v_mov_b32_e32 v1, 0xc7600000
	v_mov_b32_e32 v7, 0x47600000
	v_cndmask_b32_e32 v1, v1, v7, vcc
	v_cmp_eq_u32_e32 vcc, 0, v6
	v_mov_b32_e32 v6, 0x7f800001
	v_cndmask_b32_e32 v1, v6, v1, vcc
; %bb.5759:                             ;   in Loop: Header=BB6_5342 Depth=3
	s_or_b64 exec, exec, s[72:73]
.LBB6_5760:                             ;   in Loop: Header=BB6_5342 Depth=3
	s_or_b64 exec, exec, s[34:35]
.LBB6_5761:                             ;   in Loop: Header=BB6_5342 Depth=3
	s_or_b64 exec, exec, s[30:31]
	v_max_f32_e32 v1, v1, v1
	v_max_f32_e32 v0, v0, v0
	v_min_f32_e32 v0, v0, v1
.LBB6_5762:                             ;   in Loop: Header=BB6_5342 Depth=3
	v_and_b32_sdwa v6, v0, s97 dst_sel:DWORD dst_unused:UNUSED_PAD src0_sel:BYTE_3 src1_sel:DWORD
	v_and_b32_e32 v8, 0x7f800000, v0
	v_mov_b32_e32 v9, v51
	v_and_b32_e32 v50, 0x7fffff, v0
	v_or_b32_e32 v15, 0x7b, v6
	v_cmp_ne_u64_e32 vcc, s[52:53], v[8:9]
	s_and_saveexec_b64 s[30:31], vcc
	s_xor_b64 s[34:35], exec, s[30:31]
	s_cbranch_execz .LBB6_5772
; %bb.5763:                             ;   in Loop: Header=BB6_5342 Depth=3
	v_and_b32_e32 v8, 0x7fffffff, v0
	v_mov_b32_e32 v9, v51
	v_cmp_gt_u64_e32 vcc, s[54:55], v[8:9]
	s_and_saveexec_b64 s[72:73], vcc
	s_cbranch_execz .LBB6_5771
; %bb.5764:                             ;   in Loop: Header=BB6_5342 Depth=3
	v_cmp_ne_u32_e32 vcc, 0, v0
	v_mov_b32_e32 v15, 0
	s_and_saveexec_b64 s[74:75], vcc
	s_cbranch_execz .LBB6_5770
; %bb.5765:                             ;   in Loop: Header=BB6_5342 Depth=3
	v_bfe_u32 v0, v0, 23, 8
	v_cmp_eq_u32_e32 vcc, 0, v0
	v_add_u32_e32 v1, 0xffffff81, v0
	v_cmp_gt_u32_e64 s[30:31], s38, v0
	v_sub_u32_e32 v0, 0x71, v0
	v_mov_b32_e32 v8, 0xffffff82
	v_cndmask_b32_e64 v0, 0, v0, s[30:31]
	v_cndmask_b32_e32 v15, v1, v8, vcc
	v_mov_b32_e32 v1, 0x70
	v_cndmask_b32_e32 v33, v0, v1, vcc
	v_add_u32_e32 v0, 21, v33
	v_or_b32_e32 v7, 0x800000, v50
	v_lshlrev_b64 v[0:1], v0, -1
	v_cndmask_b32_e32 v50, v7, v50, vcc
	v_not_b32_e32 v1, v1
	v_not_b32_e32 v0, v0
	v_add_u32_e32 v7, 20, v33
	v_and_b32_e32 v1, 0, v1
	v_and_b32_e32 v0, v50, v0
	v_lshlrev_b64 v[8:9], v7, 1
	v_cmp_eq_u64_e32 vcc, v[0:1], v[8:9]
	v_lshrrev_b64 v[0:1], v33, v[50:51]
	v_lshrrev_b32_e32 v7, 23, v0
	v_add3_u32 v9, v33, v15, v7
	v_bfe_u32 v7, v0, 21, 1
	v_add_u32_e32 v7, -1, v7
	v_cndmask_b32_e32 v7, 0, v7, vcc
	v_add_u32_e32 v7, v7, v0
	v_and_b32_e32 v7, 0x1fffff, v7
	v_add_co_u32_e32 v0, vcc, v7, v0
	v_add_u32_e32 v8, 14, v9
	v_addc_co_u32_e32 v1, vcc, 0, v1, vcc
	v_cmp_ne_u32_e32 vcc, 0, v8
                                        ; implicit-def: $vgpr7
	s_and_saveexec_b64 s[30:31], vcc
	s_xor_b64 s[30:31], exec, s[30:31]
; %bb.5766:                             ;   in Loop: Header=BB6_5342 Depth=3
	v_add_u32_e32 v7, 15, v9
	v_cmp_lt_u64_e32 vcc, s[56:57], v[0:1]
	v_cndmask_b32_e32 v7, v8, v7, vcc
	v_cndmask_b32_e64 v8, 0, 1, vcc
	v_lshrrev_b64 v[0:1], v8, v[0:1]
; %bb.5767:                             ;   in Loop: Header=BB6_5342 Depth=3
	s_andn2_saveexec_b64 vcc, s[30:31]
; %bb.5768:                             ;   in Loop: Header=BB6_5342 Depth=3
	v_bfe_u32 v7, v0, 23, 1
; %bb.5769:                             ;   in Loop: Header=BB6_5342 Depth=3
	s_or_b64 exec, exec, vcc
	v_lshrrev_b64 v[0:1], 21, v[0:1]
	v_cmp_gt_i32_e32 vcc, 32, v7
	v_cndmask_b32_e32 v1, 0, v1, vcc
	v_cndmask_b32_e32 v0, 3, v0, vcc
	v_cmp_eq_u64_e64 s[30:31], 0, v[0:1]
	v_min_i32_e32 v1, 31, v7
	v_cmp_eq_u32_e32 vcc, 0, v7
	v_lshlrev_b32_e32 v1, 2, v1
	v_and_or_b32 v0, v0, 3, v1
	s_and_b64 vcc, vcc, s[30:31]
	v_cndmask_b32_e64 v0, v0, 0, vcc
	v_or_b32_e32 v15, v0, v6
.LBB6_5770:                             ;   in Loop: Header=BB6_5342 Depth=3
	s_or_b64 exec, exec, s[74:75]
.LBB6_5771:                             ;   in Loop: Header=BB6_5342 Depth=3
	s_or_b64 exec, exec, s[72:73]
                                        ; implicit-def: $vgpr0
.LBB6_5772:                             ;   in Loop: Header=BB6_5342 Depth=3
	s_andn2_saveexec_b64 s[30:31], s[34:35]
; %bb.5773:                             ;   in Loop: Header=BB6_5342 Depth=3
	v_or_b32_sdwa v0, v0, s39 dst_sel:DWORD dst_unused:UNUSED_PAD src0_sel:BYTE_3 src1_sel:DWORD
	v_cmp_eq_u64_e32 vcc, 0, v[50:51]
	v_cndmask_b32_e32 v15, v0, v15, vcc
; %bb.5774:                             ;   in Loop: Header=BB6_5342 Depth=3
	s_or_b64 exec, exec, s[30:31]
	v_lshrrev_b16_e32 v50, 8, v2
	v_lshrrev_b16_e32 v0, 8, v10
	v_cmp_ne_u16_e64 s[30:31], 0, v50
	s_and_b64 vcc, exec, s[70:71]
	s_cbranch_vccz .LBB6_5792
; %bb.5775:                             ;   in Loop: Header=BB6_5342 Depth=3
	v_mov_b32_e32 v1, 0
	v_mov_b32_e32 v6, 0
	s_and_saveexec_b64 s[34:35], s[30:31]
	s_cbranch_execz .LBB6_5783
; %bb.5776:                             ;   in Loop: Header=BB6_5342 Depth=3
	v_cmp_ne_u16_e32 vcc, s97, v50
	v_bfrev_b32_e32 v6, 1
	s_and_saveexec_b64 s[72:73], vcc
	s_cbranch_execz .LBB6_5782
; %bb.5777:                             ;   in Loop: Header=BB6_5342 Depth=3
	v_and_b32_e32 v6, 0x7c, v50
	v_and_b32_e32 v7, 3, v50
	v_cmp_ne_u32_e32 vcc, s95, v6
                                        ; implicit-def: $vgpr6
	s_and_saveexec_b64 s[74:75], vcc
	s_xor_b64 s[74:75], exec, s[74:75]
	s_cbranch_execz .LBB6_5779
; %bb.5778:                             ;   in Loop: Header=BB6_5342 Depth=3
	v_ffbh_u32_e32 v8, v7
	v_min_u32_e32 v33, 32, v8
	v_subrev_u32_e32 v8, 29, v33
	v_bfe_u32 v6, v50, 2, 5
	v_lshlrev_b64 v[8:9], v8, v[50:51]
	v_sub_u32_e32 v9, 30, v33
	v_cmp_eq_u32_e32 vcc, 0, v6
	v_and_b32_e32 v8, 3, v8
	v_cndmask_b32_e32 v6, v6, v9, vcc
	v_bfrev_b32_e32 v9, 28
	v_cndmask_b32_e32 v7, v7, v8, vcc
	v_lshlrev_b32_e32 v8, 16, v2
	v_lshl_add_u32 v6, v6, 23, v9
	v_and_or_b32 v6, v8, s96, v6
	v_lshl_or_b32 v6, v7, 21, v6
                                        ; implicit-def: $vgpr7
.LBB6_5779:                             ;   in Loop: Header=BB6_5342 Depth=3
	s_andn2_saveexec_b64 s[74:75], s[74:75]
; %bb.5780:                             ;   in Loop: Header=BB6_5342 Depth=3
	v_cmp_lt_i16_e32 vcc, -1, v2
	v_mov_b32_e32 v6, 0xc7600000
	v_mov_b32_e32 v8, 0x47600000
	v_cndmask_b32_e32 v6, v6, v8, vcc
	v_cmp_eq_u32_e32 vcc, 0, v7
	v_mov_b32_e32 v7, 0x7f800001
	v_cndmask_b32_e32 v6, v7, v6, vcc
; %bb.5781:                             ;   in Loop: Header=BB6_5342 Depth=3
	s_or_b64 exec, exec, s[74:75]
.LBB6_5782:                             ;   in Loop: Header=BB6_5342 Depth=3
	s_or_b64 exec, exec, s[72:73]
.LBB6_5783:                             ;   in Loop: Header=BB6_5342 Depth=3
	s_or_b64 exec, exec, s[34:35]
	v_cmp_ne_u16_e32 vcc, 0, v0
	s_and_saveexec_b64 s[34:35], vcc
	s_cbranch_execz .LBB6_5791
; %bb.5784:                             ;   in Loop: Header=BB6_5342 Depth=3
	v_cmp_ne_u16_e32 vcc, s97, v0
	v_bfrev_b32_e32 v1, 1
	s_and_saveexec_b64 s[72:73], vcc
	s_cbranch_execz .LBB6_5790
; %bb.5785:                             ;   in Loop: Header=BB6_5342 Depth=3
	v_and_b32_e32 v1, 0x7c, v0
	v_and_b32_e32 v7, 3, v0
	v_cmp_ne_u32_e32 vcc, s95, v1
                                        ; implicit-def: $vgpr1
	s_and_saveexec_b64 s[74:75], vcc
	s_xor_b64 s[74:75], exec, s[74:75]
	s_cbranch_execz .LBB6_5787
; %bb.5786:                             ;   in Loop: Header=BB6_5342 Depth=3
	v_ffbh_u32_e32 v8, v7
	v_min_u32_e32 v34, 32, v8
	v_mov_b32_e32 v1, v51
	v_bfe_u32 v33, v0, 2, 5
	v_subrev_u32_e32 v8, 29, v34
	v_lshlrev_b64 v[8:9], v8, v[0:1]
	v_sub_u32_e32 v1, 30, v34
	v_cmp_eq_u32_e32 vcc, 0, v33
	v_and_b32_e32 v8, 3, v8
	v_cndmask_b32_e32 v1, v33, v1, vcc
	v_bfrev_b32_e32 v9, 28
	v_cndmask_b32_e32 v7, v7, v8, vcc
	v_lshlrev_b32_e32 v8, 16, v10
	v_lshl_add_u32 v1, v1, 23, v9
	v_and_or_b32 v1, v8, s96, v1
	v_lshl_or_b32 v1, v7, 21, v1
                                        ; implicit-def: $vgpr7
.LBB6_5787:                             ;   in Loop: Header=BB6_5342 Depth=3
	s_andn2_saveexec_b64 s[74:75], s[74:75]
; %bb.5788:                             ;   in Loop: Header=BB6_5342 Depth=3
	v_cmp_lt_i16_e32 vcc, -1, v10
	v_mov_b32_e32 v1, 0xc7600000
	v_mov_b32_e32 v8, 0x47600000
	v_cndmask_b32_e32 v1, v1, v8, vcc
	v_cmp_eq_u32_e32 vcc, 0, v7
	v_mov_b32_e32 v7, 0x7f800001
	v_cndmask_b32_e32 v1, v7, v1, vcc
; %bb.5789:                             ;   in Loop: Header=BB6_5342 Depth=3
	s_or_b64 exec, exec, s[74:75]
.LBB6_5790:                             ;   in Loop: Header=BB6_5342 Depth=3
	s_or_b64 exec, exec, s[72:73]
.LBB6_5791:                             ;   in Loop: Header=BB6_5342 Depth=3
	s_or_b64 exec, exec, s[34:35]
	v_max_f32_e32 v1, v1, v1
	v_max_f32_e32 v6, v6, v6
	;; [unrolled: 1-line block ×3, first 2 shown]
	s_branch .LBB6_5810
.LBB6_5792:                             ;   in Loop: Header=BB6_5342 Depth=3
                                        ; implicit-def: $vgpr1
	s_cbranch_execz .LBB6_5810
; %bb.5793:                             ;   in Loop: Header=BB6_5342 Depth=3
	v_mov_b32_e32 v1, 0
	v_mov_b32_e32 v6, 0
	s_and_saveexec_b64 s[34:35], s[30:31]
	s_cbranch_execz .LBB6_5801
; %bb.5794:                             ;   in Loop: Header=BB6_5342 Depth=3
	v_cmp_ne_u16_e32 vcc, s97, v50
	v_bfrev_b32_e32 v6, 1
	s_and_saveexec_b64 s[30:31], vcc
	s_cbranch_execz .LBB6_5800
; %bb.5795:                             ;   in Loop: Header=BB6_5342 Depth=3
	v_and_b32_e32 v6, 0x7c, v50
	v_and_b32_e32 v7, 3, v50
	v_cmp_ne_u32_e32 vcc, s95, v6
                                        ; implicit-def: $vgpr6
	s_and_saveexec_b64 s[72:73], vcc
	s_xor_b64 s[72:73], exec, s[72:73]
	s_cbranch_execz .LBB6_5797
; %bb.5796:                             ;   in Loop: Header=BB6_5342 Depth=3
	v_ffbh_u32_e32 v8, v7
	v_min_u32_e32 v33, 32, v8
	v_subrev_u32_e32 v8, 29, v33
	v_bfe_u32 v6, v50, 2, 5
	v_lshlrev_b64 v[8:9], v8, v[50:51]
	v_sub_u32_e32 v9, 30, v33
	v_cmp_eq_u32_e32 vcc, 0, v6
	v_and_b32_e32 v8, 3, v8
	v_cndmask_b32_e32 v6, v6, v9, vcc
	v_bfrev_b32_e32 v9, 28
	v_cndmask_b32_e32 v7, v7, v8, vcc
	v_lshlrev_b32_e32 v8, 16, v2
	v_lshl_add_u32 v6, v6, 23, v9
	v_and_or_b32 v6, v8, s96, v6
	v_lshl_or_b32 v6, v7, 21, v6
                                        ; implicit-def: $vgpr7
.LBB6_5797:                             ;   in Loop: Header=BB6_5342 Depth=3
	s_andn2_saveexec_b64 s[72:73], s[72:73]
; %bb.5798:                             ;   in Loop: Header=BB6_5342 Depth=3
	v_cmp_lt_i16_e32 vcc, -1, v2
	v_mov_b32_e32 v6, 0xc7600000
	v_mov_b32_e32 v8, 0x47600000
	v_cndmask_b32_e32 v6, v6, v8, vcc
	v_cmp_eq_u32_e32 vcc, 0, v7
	v_mov_b32_e32 v7, 0x7f800001
	v_cndmask_b32_e32 v6, v7, v6, vcc
; %bb.5799:                             ;   in Loop: Header=BB6_5342 Depth=3
	s_or_b64 exec, exec, s[72:73]
.LBB6_5800:                             ;   in Loop: Header=BB6_5342 Depth=3
	s_or_b64 exec, exec, s[30:31]
.LBB6_5801:                             ;   in Loop: Header=BB6_5342 Depth=3
	s_or_b64 exec, exec, s[34:35]
	v_cmp_ne_u16_e32 vcc, 0, v0
	s_and_saveexec_b64 s[30:31], vcc
	s_cbranch_execz .LBB6_5809
; %bb.5802:                             ;   in Loop: Header=BB6_5342 Depth=3
	v_cmp_ne_u16_e32 vcc, s97, v0
	v_bfrev_b32_e32 v1, 1
	s_and_saveexec_b64 s[34:35], vcc
	s_cbranch_execz .LBB6_5808
; %bb.5803:                             ;   in Loop: Header=BB6_5342 Depth=3
	v_and_b32_e32 v1, 0x7c, v0
	v_and_b32_e32 v7, 3, v0
	v_cmp_ne_u32_e32 vcc, s95, v1
                                        ; implicit-def: $vgpr1
	s_and_saveexec_b64 s[72:73], vcc
	s_xor_b64 s[72:73], exec, s[72:73]
	s_cbranch_execz .LBB6_5805
; %bb.5804:                             ;   in Loop: Header=BB6_5342 Depth=3
	v_ffbh_u32_e32 v9, v7
	v_min_u32_e32 v9, 32, v9
	v_mov_b32_e32 v1, v51
	v_subrev_u32_e32 v33, 29, v9
	v_bfe_u32 v8, v0, 2, 5
	v_lshlrev_b64 v[0:1], v33, v[0:1]
	v_sub_u32_e32 v1, 30, v9
	v_cmp_eq_u32_e32 vcc, 0, v8
	v_and_b32_e32 v0, 3, v0
	v_cndmask_b32_e32 v1, v8, v1, vcc
	v_bfrev_b32_e32 v8, 28
	v_cndmask_b32_e32 v0, v7, v0, vcc
	v_lshlrev_b32_e32 v7, 16, v10
	v_lshl_add_u32 v1, v1, 23, v8
	v_and_or_b32 v1, v7, s96, v1
	v_lshl_or_b32 v1, v0, 21, v1
                                        ; implicit-def: $vgpr7
.LBB6_5805:                             ;   in Loop: Header=BB6_5342 Depth=3
	s_andn2_saveexec_b64 s[72:73], s[72:73]
; %bb.5806:                             ;   in Loop: Header=BB6_5342 Depth=3
	v_cmp_lt_i16_e32 vcc, -1, v10
	v_mov_b32_e32 v0, 0xc7600000
	v_mov_b32_e32 v1, 0x47600000
	v_cndmask_b32_e32 v0, v0, v1, vcc
	v_cmp_eq_u32_e32 vcc, 0, v7
	v_mov_b32_e32 v1, 0x7f800001
	v_cndmask_b32_e32 v1, v1, v0, vcc
; %bb.5807:                             ;   in Loop: Header=BB6_5342 Depth=3
	s_or_b64 exec, exec, s[72:73]
.LBB6_5808:                             ;   in Loop: Header=BB6_5342 Depth=3
	s_or_b64 exec, exec, s[34:35]
.LBB6_5809:                             ;   in Loop: Header=BB6_5342 Depth=3
	s_or_b64 exec, exec, s[30:31]
	v_max_f32_e32 v0, v1, v1
	v_max_f32_e32 v1, v6, v6
	v_min_f32_e32 v1, v1, v0
.LBB6_5810:                             ;   in Loop: Header=BB6_5342 Depth=3
	v_and_b32_sdwa v6, v1, s97 dst_sel:DWORD dst_unused:UNUSED_PAD src0_sel:BYTE_3 src1_sel:DWORD
	v_and_b32_e32 v8, 0x7f800000, v1
	v_mov_b32_e32 v9, v51
	v_and_b32_e32 v50, 0x7fffff, v1
	v_or_b32_e32 v33, 0x7b, v6
	v_cmp_ne_u64_e32 vcc, s[52:53], v[8:9]
	s_and_saveexec_b64 s[30:31], vcc
	s_xor_b64 s[34:35], exec, s[30:31]
	s_cbranch_execz .LBB6_5820
; %bb.5811:                             ;   in Loop: Header=BB6_5342 Depth=3
	v_and_b32_e32 v8, 0x7fffffff, v1
	v_mov_b32_e32 v9, v51
	v_cmp_gt_u64_e32 vcc, s[54:55], v[8:9]
	s_and_saveexec_b64 s[72:73], vcc
	s_cbranch_execz .LBB6_5819
; %bb.5812:                             ;   in Loop: Header=BB6_5342 Depth=3
	v_cmp_ne_u32_e32 vcc, 0, v1
	v_mov_b32_e32 v33, 0
	s_and_saveexec_b64 s[74:75], vcc
	s_cbranch_execz .LBB6_5818
; %bb.5813:                             ;   in Loop: Header=BB6_5342 Depth=3
	v_bfe_u32 v0, v1, 23, 8
	v_cmp_eq_u32_e32 vcc, 0, v0
	v_add_u32_e32 v1, 0xffffff81, v0
	v_cmp_gt_u32_e64 s[30:31], s38, v0
	v_sub_u32_e32 v0, 0x71, v0
	v_mov_b32_e32 v8, 0xffffff82
	v_cndmask_b32_e64 v0, 0, v0, s[30:31]
	v_cndmask_b32_e32 v33, v1, v8, vcc
	v_mov_b32_e32 v1, 0x70
	v_cndmask_b32_e32 v34, v0, v1, vcc
	v_add_u32_e32 v0, 21, v34
	v_or_b32_e32 v7, 0x800000, v50
	v_lshlrev_b64 v[0:1], v0, -1
	v_cndmask_b32_e32 v50, v7, v50, vcc
	v_not_b32_e32 v1, v1
	v_not_b32_e32 v0, v0
	v_add_u32_e32 v7, 20, v34
	v_and_b32_e32 v1, 0, v1
	v_and_b32_e32 v0, v50, v0
	v_lshlrev_b64 v[8:9], v7, 1
	v_cmp_eq_u64_e32 vcc, v[0:1], v[8:9]
	v_lshrrev_b64 v[0:1], v34, v[50:51]
	v_lshrrev_b32_e32 v7, 23, v0
	v_add3_u32 v9, v34, v33, v7
	v_bfe_u32 v7, v0, 21, 1
	v_add_u32_e32 v7, -1, v7
	v_cndmask_b32_e32 v7, 0, v7, vcc
	v_add_u32_e32 v7, v7, v0
	v_and_b32_e32 v7, 0x1fffff, v7
	v_add_co_u32_e32 v0, vcc, v7, v0
	v_add_u32_e32 v8, 14, v9
	v_addc_co_u32_e32 v1, vcc, 0, v1, vcc
	v_cmp_ne_u32_e32 vcc, 0, v8
                                        ; implicit-def: $vgpr7
	s_and_saveexec_b64 s[30:31], vcc
	s_xor_b64 s[30:31], exec, s[30:31]
; %bb.5814:                             ;   in Loop: Header=BB6_5342 Depth=3
	v_add_u32_e32 v7, 15, v9
	v_cmp_lt_u64_e32 vcc, s[56:57], v[0:1]
	v_cndmask_b32_e32 v7, v8, v7, vcc
	v_cndmask_b32_e64 v8, 0, 1, vcc
	v_lshrrev_b64 v[0:1], v8, v[0:1]
; %bb.5815:                             ;   in Loop: Header=BB6_5342 Depth=3
	s_andn2_saveexec_b64 vcc, s[30:31]
; %bb.5816:                             ;   in Loop: Header=BB6_5342 Depth=3
	v_bfe_u32 v7, v0, 23, 1
; %bb.5817:                             ;   in Loop: Header=BB6_5342 Depth=3
	s_or_b64 exec, exec, vcc
	v_lshrrev_b64 v[0:1], 21, v[0:1]
	v_cmp_gt_i32_e32 vcc, 32, v7
	v_cndmask_b32_e32 v1, 0, v1, vcc
	v_cndmask_b32_e32 v0, 3, v0, vcc
	v_cmp_eq_u64_e64 s[30:31], 0, v[0:1]
	v_min_i32_e32 v1, 31, v7
	v_cmp_eq_u32_e32 vcc, 0, v7
	v_lshlrev_b32_e32 v1, 2, v1
	v_and_or_b32 v0, v0, 3, v1
	s_and_b64 vcc, vcc, s[30:31]
	v_cndmask_b32_e64 v0, v0, 0, vcc
	v_or_b32_e32 v33, v0, v6
.LBB6_5818:                             ;   in Loop: Header=BB6_5342 Depth=3
	s_or_b64 exec, exec, s[74:75]
.LBB6_5819:                             ;   in Loop: Header=BB6_5342 Depth=3
	s_or_b64 exec, exec, s[72:73]
                                        ; implicit-def: $vgpr1
.LBB6_5820:                             ;   in Loop: Header=BB6_5342 Depth=3
	s_andn2_saveexec_b64 s[30:31], s[34:35]
; %bb.5821:                             ;   in Loop: Header=BB6_5342 Depth=3
	v_or_b32_sdwa v0, v1, s39 dst_sel:DWORD dst_unused:UNUSED_PAD src0_sel:BYTE_3 src1_sel:DWORD
	v_cmp_eq_u64_e32 vcc, 0, v[50:51]
	v_cndmask_b32_e32 v33, v0, v33, vcc
; %bb.5822:                             ;   in Loop: Header=BB6_5342 Depth=3
	s_or_b64 exec, exec, s[30:31]
	v_lshrrev_b32_e32 v6, 16, v2
	v_lshrrev_b32_e32 v0, 16, v10
	v_cmp_ne_u16_sdwa s[30:31], v6, v51 src0_sel:BYTE_0 src1_sel:DWORD
	s_and_b64 vcc, exec, s[70:71]
	s_cbranch_vccz .LBB6_5840
; %bb.5823:                             ;   in Loop: Header=BB6_5342 Depth=3
	v_mov_b32_e32 v7, 0
	v_mov_b32_e32 v1, 0
	s_and_saveexec_b64 s[34:35], s[30:31]
	s_cbranch_execz .LBB6_5831
; %bb.5824:                             ;   in Loop: Header=BB6_5342 Depth=3
	v_cmp_ne_u16_sdwa vcc, v6, s97 src0_sel:BYTE_0 src1_sel:DWORD
	v_bfrev_b32_e32 v1, 1
	s_and_saveexec_b64 s[72:73], vcc
	s_cbranch_execz .LBB6_5830
; %bb.5825:                             ;   in Loop: Header=BB6_5342 Depth=3
	v_and_b32_e32 v1, 0x7c0000, v2
	v_bfe_u32 v8, v2, 16, 2
	v_cmp_ne_u32_e32 vcc, s36, v1
                                        ; implicit-def: $vgpr1
	s_and_saveexec_b64 s[74:75], vcc
	s_xor_b64 s[74:75], exec, s[74:75]
	s_cbranch_execz .LBB6_5827
; %bb.5826:                             ;   in Loop: Header=BB6_5342 Depth=3
	v_ffbh_u32_e32 v9, v8
	v_min_u32_e32 v9, 32, v9
	v_subrev_u32_e32 v34, 29, v9
	v_bfe_u32 v1, v2, 18, 5
	v_lshlrev_b64 v[34:35], v34, v[6:7]
	v_sub_u32_e32 v9, 30, v9
	v_and_b32_e32 v34, 3, v34
	v_cmp_eq_u32_e32 vcc, 0, v1
	v_cndmask_b32_e32 v1, v1, v9, vcc
	v_cndmask_b32_e32 v8, v8, v34, vcc
	v_bfrev_b32_e32 v34, 28
	v_lshlrev_b32_e32 v9, 24, v6
	v_lshl_add_u32 v1, v1, 23, v34
	v_and_or_b32 v1, v9, s96, v1
	v_lshl_or_b32 v1, v8, 21, v1
                                        ; implicit-def: $vgpr8
.LBB6_5827:                             ;   in Loop: Header=BB6_5342 Depth=3
	s_andn2_saveexec_b64 s[74:75], s[74:75]
; %bb.5828:                             ;   in Loop: Header=BB6_5342 Depth=3
	v_mov_b32_e32 v1, -1
	v_cmp_gt_i16_sdwa vcc, sext(v6), v1 src0_sel:BYTE_0 src1_sel:DWORD
	v_mov_b32_e32 v1, 0xc7600000
	v_mov_b32_e32 v9, 0x47600000
	v_cndmask_b32_e32 v1, v1, v9, vcc
	v_cmp_eq_u32_e32 vcc, 0, v8
	v_mov_b32_e32 v8, 0x7f800001
	v_cndmask_b32_e32 v1, v8, v1, vcc
; %bb.5829:                             ;   in Loop: Header=BB6_5342 Depth=3
	s_or_b64 exec, exec, s[74:75]
.LBB6_5830:                             ;   in Loop: Header=BB6_5342 Depth=3
	s_or_b64 exec, exec, s[72:73]
.LBB6_5831:                             ;   in Loop: Header=BB6_5342 Depth=3
	s_or_b64 exec, exec, s[34:35]
	v_cmp_ne_u16_sdwa vcc, v0, v51 src0_sel:BYTE_0 src1_sel:DWORD
	s_and_saveexec_b64 s[34:35], vcc
	s_cbranch_execz .LBB6_5839
; %bb.5832:                             ;   in Loop: Header=BB6_5342 Depth=3
	v_cmp_ne_u16_sdwa vcc, v0, s97 src0_sel:BYTE_0 src1_sel:DWORD
	v_bfrev_b32_e32 v7, 1
	s_and_saveexec_b64 s[72:73], vcc
	s_cbranch_execz .LBB6_5838
; %bb.5833:                             ;   in Loop: Header=BB6_5342 Depth=3
	v_and_b32_e32 v7, 0x7c0000, v10
	v_bfe_u32 v8, v10, 16, 2
	v_cmp_ne_u32_e32 vcc, s36, v7
                                        ; implicit-def: $vgpr7
	s_and_saveexec_b64 s[74:75], vcc
	s_xor_b64 s[74:75], exec, s[74:75]
	s_cbranch_execz .LBB6_5835
; %bb.5834:                             ;   in Loop: Header=BB6_5342 Depth=3
	v_ffbh_u32_e32 v9, v8
	v_min_u32_e32 v9, 32, v9
	v_subrev_u32_e32 v34, 29, v9
	v_bfe_u32 v7, v10, 18, 5
	v_lshlrev_b64 v[34:35], v34, v[0:1]
	v_sub_u32_e32 v9, 30, v9
	v_and_b32_e32 v34, 3, v34
	v_cmp_eq_u32_e32 vcc, 0, v7
	v_cndmask_b32_e32 v7, v7, v9, vcc
	v_cndmask_b32_e32 v8, v8, v34, vcc
	v_bfrev_b32_e32 v34, 28
	v_lshlrev_b32_e32 v9, 24, v0
	v_lshl_add_u32 v7, v7, 23, v34
	v_and_or_b32 v7, v9, s96, v7
	v_lshl_or_b32 v7, v8, 21, v7
                                        ; implicit-def: $vgpr8
.LBB6_5835:                             ;   in Loop: Header=BB6_5342 Depth=3
	s_andn2_saveexec_b64 s[74:75], s[74:75]
; %bb.5836:                             ;   in Loop: Header=BB6_5342 Depth=3
	v_mov_b32_e32 v7, -1
	v_cmp_gt_i16_sdwa vcc, sext(v0), v7 src0_sel:BYTE_0 src1_sel:DWORD
	v_mov_b32_e32 v7, 0xc7600000
	v_mov_b32_e32 v9, 0x47600000
	v_cndmask_b32_e32 v7, v7, v9, vcc
	v_cmp_eq_u32_e32 vcc, 0, v8
	v_mov_b32_e32 v8, 0x7f800001
	v_cndmask_b32_e32 v7, v8, v7, vcc
; %bb.5837:                             ;   in Loop: Header=BB6_5342 Depth=3
	s_or_b64 exec, exec, s[74:75]
.LBB6_5838:                             ;   in Loop: Header=BB6_5342 Depth=3
	s_or_b64 exec, exec, s[72:73]
.LBB6_5839:                             ;   in Loop: Header=BB6_5342 Depth=3
	s_or_b64 exec, exec, s[34:35]
	v_max_f32_e32 v7, v7, v7
	v_max_f32_e32 v1, v1, v1
	;; [unrolled: 1-line block ×3, first 2 shown]
	s_branch .LBB6_5858
.LBB6_5840:                             ;   in Loop: Header=BB6_5342 Depth=3
                                        ; implicit-def: $vgpr1
	s_cbranch_execz .LBB6_5858
; %bb.5841:                             ;   in Loop: Header=BB6_5342 Depth=3
	v_mov_b32_e32 v7, 0
	v_mov_b32_e32 v1, 0
	s_and_saveexec_b64 s[34:35], s[30:31]
	s_cbranch_execz .LBB6_5849
; %bb.5842:                             ;   in Loop: Header=BB6_5342 Depth=3
	v_cmp_ne_u16_sdwa vcc, v6, s97 src0_sel:BYTE_0 src1_sel:DWORD
	v_bfrev_b32_e32 v1, 1
	s_and_saveexec_b64 s[30:31], vcc
	s_cbranch_execz .LBB6_5848
; %bb.5843:                             ;   in Loop: Header=BB6_5342 Depth=3
	v_and_b32_e32 v1, 0x7c0000, v2
	v_bfe_u32 v8, v2, 16, 2
	v_cmp_ne_u32_e32 vcc, s36, v1
                                        ; implicit-def: $vgpr1
	s_and_saveexec_b64 s[72:73], vcc
	s_xor_b64 s[72:73], exec, s[72:73]
	s_cbranch_execz .LBB6_5845
; %bb.5844:                             ;   in Loop: Header=BB6_5342 Depth=3
	v_ffbh_u32_e32 v9, v8
	v_bfe_u32 v1, v2, 18, 5
	v_min_u32_e32 v9, 32, v9
	v_subrev_u32_e32 v34, 29, v9
	v_sub_u32_e32 v9, 30, v9
	v_cmp_eq_u32_e32 vcc, 0, v1
	v_lshlrev_b64 v[34:35], v34, v[6:7]
	v_cndmask_b32_e32 v1, v1, v9, vcc
	v_bfrev_b32_e32 v9, 28
	v_and_b32_e32 v34, 3, v34
	v_lshlrev_b32_e32 v6, 24, v6
	v_lshl_add_u32 v1, v1, 23, v9
	v_cndmask_b32_e32 v8, v8, v34, vcc
	v_and_or_b32 v1, v6, s96, v1
	v_lshl_or_b32 v1, v8, 21, v1
                                        ; implicit-def: $vgpr8
                                        ; implicit-def: $vgpr6
.LBB6_5845:                             ;   in Loop: Header=BB6_5342 Depth=3
	s_andn2_saveexec_b64 s[72:73], s[72:73]
; %bb.5846:                             ;   in Loop: Header=BB6_5342 Depth=3
	v_mov_b32_e32 v1, -1
	v_cmp_gt_i16_sdwa vcc, sext(v6), v1 src0_sel:BYTE_0 src1_sel:DWORD
	v_mov_b32_e32 v1, 0xc7600000
	v_mov_b32_e32 v6, 0x47600000
	v_cndmask_b32_e32 v1, v1, v6, vcc
	v_cmp_eq_u32_e32 vcc, 0, v8
	v_mov_b32_e32 v6, 0x7f800001
	v_cndmask_b32_e32 v1, v6, v1, vcc
; %bb.5847:                             ;   in Loop: Header=BB6_5342 Depth=3
	s_or_b64 exec, exec, s[72:73]
.LBB6_5848:                             ;   in Loop: Header=BB6_5342 Depth=3
	s_or_b64 exec, exec, s[30:31]
.LBB6_5849:                             ;   in Loop: Header=BB6_5342 Depth=3
	s_or_b64 exec, exec, s[34:35]
	v_cmp_ne_u16_sdwa vcc, v0, v51 src0_sel:BYTE_0 src1_sel:DWORD
	s_and_saveexec_b64 s[30:31], vcc
	s_cbranch_execz .LBB6_5857
; %bb.5850:                             ;   in Loop: Header=BB6_5342 Depth=3
	v_cmp_ne_u16_sdwa vcc, v0, s97 src0_sel:BYTE_0 src1_sel:DWORD
	v_bfrev_b32_e32 v7, 1
	s_and_saveexec_b64 s[34:35], vcc
	s_cbranch_execz .LBB6_5856
; %bb.5851:                             ;   in Loop: Header=BB6_5342 Depth=3
	v_and_b32_e32 v7, 0x7c0000, v10
	v_bfe_u32 v6, v10, 16, 2
	v_cmp_ne_u32_e32 vcc, s36, v7
                                        ; implicit-def: $vgpr7
	s_and_saveexec_b64 s[72:73], vcc
	s_xor_b64 s[72:73], exec, s[72:73]
	s_cbranch_execz .LBB6_5853
; %bb.5852:                             ;   in Loop: Header=BB6_5342 Depth=3
	v_ffbh_u32_e32 v8, v6
	v_min_u32_e32 v34, 32, v8
	v_subrev_u32_e32 v8, 29, v34
	v_bfe_u32 v7, v10, 18, 5
	v_lshlrev_b64 v[8:9], v8, v[0:1]
	v_sub_u32_e32 v9, 30, v34
	v_and_b32_e32 v8, 3, v8
	v_cmp_eq_u32_e32 vcc, 0, v7
	v_cndmask_b32_e32 v7, v7, v9, vcc
	v_cndmask_b32_e32 v6, v6, v8, vcc
	v_bfrev_b32_e32 v8, 28
	v_lshlrev_b32_e32 v0, 24, v0
	v_lshl_add_u32 v7, v7, 23, v8
	v_and_or_b32 v0, v0, s96, v7
	v_lshl_or_b32 v7, v6, 21, v0
                                        ; implicit-def: $vgpr6
                                        ; implicit-def: $vgpr0
.LBB6_5853:                             ;   in Loop: Header=BB6_5342 Depth=3
	s_andn2_saveexec_b64 s[72:73], s[72:73]
; %bb.5854:                             ;   in Loop: Header=BB6_5342 Depth=3
	v_mov_b32_e32 v7, -1
	v_cmp_gt_i16_sdwa vcc, sext(v0), v7 src0_sel:BYTE_0 src1_sel:DWORD
	v_mov_b32_e32 v0, 0xc7600000
	v_mov_b32_e32 v7, 0x47600000
	v_cndmask_b32_e32 v0, v0, v7, vcc
	v_cmp_eq_u32_e32 vcc, 0, v6
	v_mov_b32_e32 v6, 0x7f800001
	v_cndmask_b32_e32 v7, v6, v0, vcc
; %bb.5855:                             ;   in Loop: Header=BB6_5342 Depth=3
	s_or_b64 exec, exec, s[72:73]
.LBB6_5856:                             ;   in Loop: Header=BB6_5342 Depth=3
	s_or_b64 exec, exec, s[34:35]
.LBB6_5857:                             ;   in Loop: Header=BB6_5342 Depth=3
	s_or_b64 exec, exec, s[30:31]
	v_max_f32_e32 v0, v7, v7
	v_max_f32_e32 v1, v1, v1
	v_min_f32_e32 v1, v1, v0
.LBB6_5858:                             ;   in Loop: Header=BB6_5342 Depth=3
	v_and_b32_sdwa v6, v1, s97 dst_sel:DWORD dst_unused:UNUSED_PAD src0_sel:BYTE_3 src1_sel:DWORD
	v_and_b32_e32 v8, 0x7f800000, v1
	v_mov_b32_e32 v9, v51
	v_and_b32_e32 v50, 0x7fffff, v1
	v_or_b32_e32 v34, 0x7b, v6
	v_cmp_ne_u64_e32 vcc, s[52:53], v[8:9]
	s_and_saveexec_b64 s[30:31], vcc
	s_xor_b64 s[34:35], exec, s[30:31]
	s_cbranch_execz .LBB6_5868
; %bb.5859:                             ;   in Loop: Header=BB6_5342 Depth=3
	v_and_b32_e32 v8, 0x7fffffff, v1
	v_mov_b32_e32 v9, v51
	v_cmp_gt_u64_e32 vcc, s[54:55], v[8:9]
	s_and_saveexec_b64 s[72:73], vcc
	s_cbranch_execz .LBB6_5867
; %bb.5860:                             ;   in Loop: Header=BB6_5342 Depth=3
	v_cmp_ne_u32_e32 vcc, 0, v1
	v_mov_b32_e32 v34, 0
	s_and_saveexec_b64 s[74:75], vcc
	s_cbranch_execz .LBB6_5866
; %bb.5861:                             ;   in Loop: Header=BB6_5342 Depth=3
	v_bfe_u32 v0, v1, 23, 8
	v_cmp_eq_u32_e32 vcc, 0, v0
	v_add_u32_e32 v1, 0xffffff81, v0
	v_cmp_gt_u32_e64 s[30:31], s38, v0
	v_sub_u32_e32 v0, 0x71, v0
	v_mov_b32_e32 v8, 0xffffff82
	v_cndmask_b32_e64 v0, 0, v0, s[30:31]
	v_cndmask_b32_e32 v34, v1, v8, vcc
	v_mov_b32_e32 v1, 0x70
	v_cndmask_b32_e32 v35, v0, v1, vcc
	v_add_u32_e32 v0, 21, v35
	v_or_b32_e32 v7, 0x800000, v50
	v_lshlrev_b64 v[0:1], v0, -1
	v_cndmask_b32_e32 v50, v7, v50, vcc
	v_not_b32_e32 v1, v1
	v_not_b32_e32 v0, v0
	v_add_u32_e32 v7, 20, v35
	v_and_b32_e32 v1, 0, v1
	v_and_b32_e32 v0, v50, v0
	v_lshlrev_b64 v[8:9], v7, 1
	v_cmp_eq_u64_e32 vcc, v[0:1], v[8:9]
	v_lshrrev_b64 v[0:1], v35, v[50:51]
	v_lshrrev_b32_e32 v7, 23, v0
	v_add3_u32 v9, v35, v34, v7
	v_bfe_u32 v7, v0, 21, 1
	v_add_u32_e32 v7, -1, v7
	v_cndmask_b32_e32 v7, 0, v7, vcc
	v_add_u32_e32 v7, v7, v0
	v_and_b32_e32 v7, 0x1fffff, v7
	v_add_co_u32_e32 v0, vcc, v7, v0
	v_add_u32_e32 v8, 14, v9
	v_addc_co_u32_e32 v1, vcc, 0, v1, vcc
	v_cmp_ne_u32_e32 vcc, 0, v8
                                        ; implicit-def: $vgpr7
	s_and_saveexec_b64 s[30:31], vcc
	s_xor_b64 s[30:31], exec, s[30:31]
; %bb.5862:                             ;   in Loop: Header=BB6_5342 Depth=3
	v_add_u32_e32 v7, 15, v9
	v_cmp_lt_u64_e32 vcc, s[56:57], v[0:1]
	v_cndmask_b32_e32 v7, v8, v7, vcc
	v_cndmask_b32_e64 v8, 0, 1, vcc
	v_lshrrev_b64 v[0:1], v8, v[0:1]
; %bb.5863:                             ;   in Loop: Header=BB6_5342 Depth=3
	s_andn2_saveexec_b64 vcc, s[30:31]
; %bb.5864:                             ;   in Loop: Header=BB6_5342 Depth=3
	v_bfe_u32 v7, v0, 23, 1
; %bb.5865:                             ;   in Loop: Header=BB6_5342 Depth=3
	s_or_b64 exec, exec, vcc
	v_lshrrev_b64 v[0:1], 21, v[0:1]
	v_cmp_gt_i32_e32 vcc, 32, v7
	v_cndmask_b32_e32 v1, 0, v1, vcc
	v_cndmask_b32_e32 v0, 3, v0, vcc
	v_cmp_eq_u64_e64 s[30:31], 0, v[0:1]
	v_min_i32_e32 v1, 31, v7
	v_cmp_eq_u32_e32 vcc, 0, v7
	v_lshlrev_b32_e32 v1, 2, v1
	v_and_or_b32 v0, v0, 3, v1
	s_and_b64 vcc, vcc, s[30:31]
	v_cndmask_b32_e64 v0, v0, 0, vcc
	v_or_b32_e32 v34, v0, v6
.LBB6_5866:                             ;   in Loop: Header=BB6_5342 Depth=3
	s_or_b64 exec, exec, s[74:75]
.LBB6_5867:                             ;   in Loop: Header=BB6_5342 Depth=3
	s_or_b64 exec, exec, s[72:73]
                                        ; implicit-def: $vgpr1
.LBB6_5868:                             ;   in Loop: Header=BB6_5342 Depth=3
	s_andn2_saveexec_b64 s[30:31], s[34:35]
; %bb.5869:                             ;   in Loop: Header=BB6_5342 Depth=3
	v_or_b32_sdwa v0, v1, s39 dst_sel:DWORD dst_unused:UNUSED_PAD src0_sel:BYTE_3 src1_sel:DWORD
	v_cmp_eq_u64_e32 vcc, 0, v[50:51]
	v_cndmask_b32_e32 v34, v0, v34, vcc
; %bb.5870:                             ;   in Loop: Header=BB6_5342 Depth=3
	s_or_b64 exec, exec, s[30:31]
	v_lshrrev_b32_e32 v6, 24, v2
	v_lshrrev_b32_e32 v0, 24, v10
	v_cmp_lt_u32_e64 s[30:31], s43, v2
	s_and_b64 vcc, exec, s[70:71]
	s_cbranch_vccz .LBB6_5888
; %bb.5871:                             ;   in Loop: Header=BB6_5342 Depth=3
	v_mov_b32_e32 v7, 0
	v_mov_b32_e32 v1, 0
	s_and_saveexec_b64 s[34:35], s[30:31]
	s_cbranch_execz .LBB6_5879
; %bb.5872:                             ;   in Loop: Header=BB6_5342 Depth=3
	v_cmp_ne_u32_e32 vcc, s97, v6
	v_bfrev_b32_e32 v1, 1
	s_and_saveexec_b64 s[72:73], vcc
	s_cbranch_execz .LBB6_5878
; %bb.5873:                             ;   in Loop: Header=BB6_5342 Depth=3
	v_and_b32_e32 v1, 0x7c000000, v2
	v_bfe_u32 v8, v2, 24, 2
	v_cmp_ne_u32_e32 vcc, s37, v1
                                        ; implicit-def: $vgpr1
	s_and_saveexec_b64 s[74:75], vcc
	s_xor_b64 s[74:75], exec, s[74:75]
	s_cbranch_execz .LBB6_5875
; %bb.5874:                             ;   in Loop: Header=BB6_5342 Depth=3
	v_ffbh_u32_e32 v9, v8
	v_bfe_u32 v1, v2, 26, 5
	v_min_u32_e32 v9, 32, v9
	v_subrev_u32_e32 v35, 29, v9
	v_sub_u32_e32 v9, 30, v9
	v_cmp_eq_u32_e32 vcc, 0, v1
	v_lshlrev_b64 v[36:37], v35, v[6:7]
	v_cndmask_b32_e32 v1, v1, v9, vcc
	v_bfrev_b32_e32 v9, 28
	v_and_b32_e32 v35, 3, v36
	v_lshl_add_u32 v1, v1, 23, v9
	v_cndmask_b32_e32 v8, v8, v35, vcc
	v_and_or_b32 v1, v2, s96, v1
	v_lshl_or_b32 v1, v8, 21, v1
                                        ; implicit-def: $vgpr8
.LBB6_5875:                             ;   in Loop: Header=BB6_5342 Depth=3
	s_andn2_saveexec_b64 s[74:75], s[74:75]
; %bb.5876:                             ;   in Loop: Header=BB6_5342 Depth=3
	v_cmp_lt_i32_e32 vcc, -1, v2
	v_mov_b32_e32 v1, 0xc7600000
	v_mov_b32_e32 v9, 0x47600000
	v_cndmask_b32_e32 v1, v1, v9, vcc
	v_cmp_eq_u32_e32 vcc, 0, v8
	v_mov_b32_e32 v8, 0x7f800001
	v_cndmask_b32_e32 v1, v8, v1, vcc
; %bb.5877:                             ;   in Loop: Header=BB6_5342 Depth=3
	s_or_b64 exec, exec, s[74:75]
.LBB6_5878:                             ;   in Loop: Header=BB6_5342 Depth=3
	s_or_b64 exec, exec, s[72:73]
.LBB6_5879:                             ;   in Loop: Header=BB6_5342 Depth=3
	s_or_b64 exec, exec, s[34:35]
	v_cmp_lt_u32_e32 vcc, s43, v10
	s_and_saveexec_b64 s[34:35], vcc
	s_cbranch_execz .LBB6_5887
; %bb.5880:                             ;   in Loop: Header=BB6_5342 Depth=3
	v_cmp_ne_u32_e32 vcc, s97, v0
	v_bfrev_b32_e32 v7, 1
	s_and_saveexec_b64 s[72:73], vcc
	s_cbranch_execz .LBB6_5886
; %bb.5881:                             ;   in Loop: Header=BB6_5342 Depth=3
	v_and_b32_e32 v7, 0x7c000000, v10
	v_bfe_u32 v8, v10, 24, 2
	v_cmp_ne_u32_e32 vcc, s37, v7
                                        ; implicit-def: $vgpr7
	s_and_saveexec_b64 s[74:75], vcc
	s_xor_b64 s[74:75], exec, s[74:75]
	s_cbranch_execz .LBB6_5883
; %bb.5882:                             ;   in Loop: Header=BB6_5342 Depth=3
	v_ffbh_u32_e32 v9, v8
	v_bfe_u32 v7, v10, 26, 5
	v_min_u32_e32 v9, 32, v9
	v_subrev_u32_e32 v35, 29, v9
	v_sub_u32_e32 v9, 30, v9
	v_cmp_eq_u32_e32 vcc, 0, v7
	v_lshlrev_b64 v[36:37], v35, v[0:1]
	v_cndmask_b32_e32 v7, v7, v9, vcc
	v_bfrev_b32_e32 v9, 28
	v_and_b32_e32 v35, 3, v36
	v_lshl_add_u32 v7, v7, 23, v9
	v_cndmask_b32_e32 v8, v8, v35, vcc
	v_and_or_b32 v7, v10, s96, v7
	v_lshl_or_b32 v7, v8, 21, v7
                                        ; implicit-def: $vgpr8
.LBB6_5883:                             ;   in Loop: Header=BB6_5342 Depth=3
	s_andn2_saveexec_b64 s[74:75], s[74:75]
; %bb.5884:                             ;   in Loop: Header=BB6_5342 Depth=3
	v_cmp_lt_i32_e32 vcc, -1, v10
	v_mov_b32_e32 v7, 0xc7600000
	v_mov_b32_e32 v9, 0x47600000
	v_cndmask_b32_e32 v7, v7, v9, vcc
	v_cmp_eq_u32_e32 vcc, 0, v8
	v_mov_b32_e32 v8, 0x7f800001
	v_cndmask_b32_e32 v7, v8, v7, vcc
; %bb.5885:                             ;   in Loop: Header=BB6_5342 Depth=3
	s_or_b64 exec, exec, s[74:75]
.LBB6_5886:                             ;   in Loop: Header=BB6_5342 Depth=3
	s_or_b64 exec, exec, s[72:73]
.LBB6_5887:                             ;   in Loop: Header=BB6_5342 Depth=3
	s_or_b64 exec, exec, s[34:35]
	v_max_f32_e32 v7, v7, v7
	v_max_f32_e32 v1, v1, v1
	;; [unrolled: 1-line block ×3, first 2 shown]
	s_branch .LBB6_5906
.LBB6_5888:                             ;   in Loop: Header=BB6_5342 Depth=3
                                        ; implicit-def: $vgpr1
	s_cbranch_execz .LBB6_5906
; %bb.5889:                             ;   in Loop: Header=BB6_5342 Depth=3
	v_mov_b32_e32 v7, 0
	v_mov_b32_e32 v1, 0
	s_and_saveexec_b64 s[34:35], s[30:31]
	s_cbranch_execz .LBB6_5897
; %bb.5890:                             ;   in Loop: Header=BB6_5342 Depth=3
	v_cmp_ne_u32_e32 vcc, s97, v6
	v_bfrev_b32_e32 v1, 1
	s_and_saveexec_b64 s[30:31], vcc
	s_cbranch_execz .LBB6_5896
; %bb.5891:                             ;   in Loop: Header=BB6_5342 Depth=3
	v_and_b32_e32 v1, 0x7c000000, v2
	v_bfe_u32 v8, v2, 24, 2
	v_cmp_ne_u32_e32 vcc, s37, v1
                                        ; implicit-def: $vgpr1
	s_and_saveexec_b64 s[72:73], vcc
	s_xor_b64 s[72:73], exec, s[72:73]
	s_cbranch_execz .LBB6_5893
; %bb.5892:                             ;   in Loop: Header=BB6_5342 Depth=3
	v_ffbh_u32_e32 v9, v8
	v_min_u32_e32 v9, 32, v9
	v_subrev_u32_e32 v35, 29, v9
	v_bfe_u32 v1, v2, 26, 5
	v_lshlrev_b64 v[36:37], v35, v[6:7]
	v_sub_u32_e32 v6, 30, v9
	v_and_b32_e32 v9, 3, v36
	v_cmp_eq_u32_e32 vcc, 0, v1
	v_cndmask_b32_e32 v1, v1, v6, vcc
	v_cndmask_b32_e32 v6, v8, v9, vcc
	v_bfrev_b32_e32 v8, 28
	v_lshl_add_u32 v1, v1, 23, v8
	v_and_or_b32 v1, v2, s96, v1
	v_lshl_or_b32 v1, v6, 21, v1
                                        ; implicit-def: $vgpr8
.LBB6_5893:                             ;   in Loop: Header=BB6_5342 Depth=3
	s_andn2_saveexec_b64 s[72:73], s[72:73]
; %bb.5894:                             ;   in Loop: Header=BB6_5342 Depth=3
	v_cmp_lt_i32_e32 vcc, -1, v2
	v_mov_b32_e32 v1, 0xc7600000
	v_mov_b32_e32 v6, 0x47600000
	v_cndmask_b32_e32 v1, v1, v6, vcc
	v_cmp_eq_u32_e32 vcc, 0, v8
	v_mov_b32_e32 v6, 0x7f800001
	v_cndmask_b32_e32 v1, v6, v1, vcc
; %bb.5895:                             ;   in Loop: Header=BB6_5342 Depth=3
	s_or_b64 exec, exec, s[72:73]
.LBB6_5896:                             ;   in Loop: Header=BB6_5342 Depth=3
	s_or_b64 exec, exec, s[30:31]
.LBB6_5897:                             ;   in Loop: Header=BB6_5342 Depth=3
	s_or_b64 exec, exec, s[34:35]
	v_cmp_lt_u32_e32 vcc, s43, v10
	s_and_saveexec_b64 s[30:31], vcc
	s_cbranch_execz .LBB6_5905
; %bb.5898:                             ;   in Loop: Header=BB6_5342 Depth=3
	v_cmp_ne_u32_e32 vcc, s97, v0
	v_bfrev_b32_e32 v7, 1
	s_and_saveexec_b64 s[34:35], vcc
	s_cbranch_execz .LBB6_5904
; %bb.5899:                             ;   in Loop: Header=BB6_5342 Depth=3
	v_and_b32_e32 v7, 0x7c000000, v10
	v_bfe_u32 v6, v10, 24, 2
	v_cmp_ne_u32_e32 vcc, s37, v7
                                        ; implicit-def: $vgpr7
	s_and_saveexec_b64 s[72:73], vcc
	s_xor_b64 s[72:73], exec, s[72:73]
	s_cbranch_execz .LBB6_5901
; %bb.5900:                             ;   in Loop: Header=BB6_5342 Depth=3
	v_ffbh_u32_e32 v8, v6
	v_min_u32_e32 v35, 32, v8
	v_bfe_u32 v7, v10, 26, 5
	v_subrev_u32_e32 v8, 29, v35
	v_lshlrev_b64 v[8:9], v8, v[0:1]
	v_sub_u32_e32 v0, 30, v35
	v_cmp_eq_u32_e32 vcc, 0, v7
	v_cndmask_b32_e32 v0, v7, v0, vcc
	v_bfrev_b32_e32 v7, 28
	v_and_b32_e32 v8, 3, v8
	v_lshl_add_u32 v0, v0, 23, v7
	v_cndmask_b32_e32 v6, v6, v8, vcc
	v_and_or_b32 v0, v10, s96, v0
	v_lshl_or_b32 v7, v6, 21, v0
                                        ; implicit-def: $vgpr6
.LBB6_5901:                             ;   in Loop: Header=BB6_5342 Depth=3
	s_andn2_saveexec_b64 s[72:73], s[72:73]
; %bb.5902:                             ;   in Loop: Header=BB6_5342 Depth=3
	v_cmp_lt_i32_e32 vcc, -1, v10
	v_mov_b32_e32 v0, 0xc7600000
	v_mov_b32_e32 v7, 0x47600000
	v_cndmask_b32_e32 v0, v0, v7, vcc
	v_cmp_eq_u32_e32 vcc, 0, v6
	v_mov_b32_e32 v6, 0x7f800001
	v_cndmask_b32_e32 v7, v6, v0, vcc
; %bb.5903:                             ;   in Loop: Header=BB6_5342 Depth=3
	s_or_b64 exec, exec, s[72:73]
.LBB6_5904:                             ;   in Loop: Header=BB6_5342 Depth=3
	s_or_b64 exec, exec, s[34:35]
.LBB6_5905:                             ;   in Loop: Header=BB6_5342 Depth=3
	s_or_b64 exec, exec, s[30:31]
	v_max_f32_e32 v0, v7, v7
	v_max_f32_e32 v1, v1, v1
	v_min_f32_e32 v1, v1, v0
.LBB6_5906:                             ;   in Loop: Header=BB6_5342 Depth=3
	v_and_b32_sdwa v6, v1, s97 dst_sel:DWORD dst_unused:UNUSED_PAD src0_sel:BYTE_3 src1_sel:DWORD
	v_and_b32_e32 v8, 0x7f800000, v1
	v_mov_b32_e32 v9, v51
	v_and_b32_e32 v50, 0x7fffff, v1
	v_or_b32_e32 v35, 0x7b, v6
	v_cmp_ne_u64_e32 vcc, s[52:53], v[8:9]
	s_and_saveexec_b64 s[30:31], vcc
	s_xor_b64 s[34:35], exec, s[30:31]
	s_cbranch_execz .LBB6_5916
; %bb.5907:                             ;   in Loop: Header=BB6_5342 Depth=3
	v_and_b32_e32 v8, 0x7fffffff, v1
	v_mov_b32_e32 v9, v51
	v_cmp_gt_u64_e32 vcc, s[54:55], v[8:9]
	s_and_saveexec_b64 s[72:73], vcc
	s_cbranch_execz .LBB6_5915
; %bb.5908:                             ;   in Loop: Header=BB6_5342 Depth=3
	v_cmp_ne_u32_e32 vcc, 0, v1
	v_mov_b32_e32 v35, 0
	s_and_saveexec_b64 s[74:75], vcc
	s_cbranch_execz .LBB6_5914
; %bb.5909:                             ;   in Loop: Header=BB6_5342 Depth=3
	v_bfe_u32 v0, v1, 23, 8
	v_cmp_eq_u32_e32 vcc, 0, v0
	v_add_u32_e32 v1, 0xffffff81, v0
	v_cmp_gt_u32_e64 s[30:31], s38, v0
	v_sub_u32_e32 v0, 0x71, v0
	v_mov_b32_e32 v8, 0xffffff82
	v_cndmask_b32_e64 v0, 0, v0, s[30:31]
	v_cndmask_b32_e32 v35, v1, v8, vcc
	v_mov_b32_e32 v1, 0x70
	v_cndmask_b32_e32 v36, v0, v1, vcc
	v_add_u32_e32 v0, 21, v36
	v_or_b32_e32 v7, 0x800000, v50
	v_lshlrev_b64 v[0:1], v0, -1
	v_cndmask_b32_e32 v50, v7, v50, vcc
	v_not_b32_e32 v1, v1
	v_not_b32_e32 v0, v0
	v_add_u32_e32 v7, 20, v36
	v_and_b32_e32 v1, 0, v1
	v_and_b32_e32 v0, v50, v0
	v_lshlrev_b64 v[8:9], v7, 1
	v_cmp_eq_u64_e32 vcc, v[0:1], v[8:9]
	v_lshrrev_b64 v[0:1], v36, v[50:51]
	v_lshrrev_b32_e32 v7, 23, v0
	v_add3_u32 v9, v36, v35, v7
	v_bfe_u32 v7, v0, 21, 1
	v_add_u32_e32 v7, -1, v7
	v_cndmask_b32_e32 v7, 0, v7, vcc
	v_add_u32_e32 v7, v7, v0
	v_and_b32_e32 v7, 0x1fffff, v7
	v_add_co_u32_e32 v0, vcc, v7, v0
	v_add_u32_e32 v8, 14, v9
	v_addc_co_u32_e32 v1, vcc, 0, v1, vcc
	v_cmp_ne_u32_e32 vcc, 0, v8
                                        ; implicit-def: $vgpr7
	s_and_saveexec_b64 s[30:31], vcc
	s_xor_b64 s[30:31], exec, s[30:31]
; %bb.5910:                             ;   in Loop: Header=BB6_5342 Depth=3
	v_add_u32_e32 v7, 15, v9
	v_cmp_lt_u64_e32 vcc, s[56:57], v[0:1]
	v_cndmask_b32_e32 v7, v8, v7, vcc
	v_cndmask_b32_e64 v8, 0, 1, vcc
	v_lshrrev_b64 v[0:1], v8, v[0:1]
; %bb.5911:                             ;   in Loop: Header=BB6_5342 Depth=3
	s_andn2_saveexec_b64 vcc, s[30:31]
; %bb.5912:                             ;   in Loop: Header=BB6_5342 Depth=3
	v_bfe_u32 v7, v0, 23, 1
; %bb.5913:                             ;   in Loop: Header=BB6_5342 Depth=3
	s_or_b64 exec, exec, vcc
	v_lshrrev_b64 v[0:1], 21, v[0:1]
	v_cmp_gt_i32_e32 vcc, 32, v7
	v_cndmask_b32_e32 v1, 0, v1, vcc
	v_cndmask_b32_e32 v0, 3, v0, vcc
	v_cmp_eq_u64_e64 s[30:31], 0, v[0:1]
	v_min_i32_e32 v1, 31, v7
	v_cmp_eq_u32_e32 vcc, 0, v7
	v_lshlrev_b32_e32 v1, 2, v1
	v_and_or_b32 v0, v0, 3, v1
	s_and_b64 vcc, vcc, s[30:31]
	v_cndmask_b32_e64 v0, v0, 0, vcc
	v_or_b32_e32 v35, v0, v6
.LBB6_5914:                             ;   in Loop: Header=BB6_5342 Depth=3
	s_or_b64 exec, exec, s[74:75]
.LBB6_5915:                             ;   in Loop: Header=BB6_5342 Depth=3
	s_or_b64 exec, exec, s[72:73]
                                        ; implicit-def: $vgpr1
.LBB6_5916:                             ;   in Loop: Header=BB6_5342 Depth=3
	s_andn2_saveexec_b64 s[30:31], s[34:35]
; %bb.5917:                             ;   in Loop: Header=BB6_5342 Depth=3
	v_or_b32_sdwa v0, v1, s39 dst_sel:DWORD dst_unused:UNUSED_PAD src0_sel:BYTE_3 src1_sel:DWORD
	v_cmp_eq_u64_e32 vcc, 0, v[50:51]
	v_cndmask_b32_e32 v35, v0, v35, vcc
; %bb.5918:                             ;   in Loop: Header=BB6_5342 Depth=3
	s_or_b64 exec, exec, s[30:31]
	v_mov_b32_e32 v50, v3
	v_mov_b32_e32 v0, v11
	v_mov_b32_e32 v1, v51
	v_cmp_ne_u16_sdwa s[30:31], v3, v51 src0_sel:BYTE_0 src1_sel:DWORD
	s_and_b64 vcc, exec, s[70:71]
	s_cbranch_vccz .LBB6_5936
; %bb.5919:                             ;   in Loop: Header=BB6_5342 Depth=3
	v_mov_b32_e32 v7, 0
	v_mov_b32_e32 v6, 0
	s_and_saveexec_b64 s[34:35], s[30:31]
	s_cbranch_execz .LBB6_5927
; %bb.5920:                             ;   in Loop: Header=BB6_5342 Depth=3
	v_cmp_ne_u16_sdwa vcc, v3, s97 src0_sel:BYTE_0 src1_sel:DWORD
	v_bfrev_b32_e32 v6, 1
	s_and_saveexec_b64 s[72:73], vcc
	s_cbranch_execz .LBB6_5926
; %bb.5921:                             ;   in Loop: Header=BB6_5342 Depth=3
	v_and_b32_e32 v6, 0x7c, v3
	v_and_b32_e32 v8, 3, v3
	v_cmp_ne_u32_e32 vcc, s95, v6
                                        ; implicit-def: $vgpr6
	s_and_saveexec_b64 s[74:75], vcc
	s_xor_b64 s[74:75], exec, s[74:75]
	s_cbranch_execz .LBB6_5923
; %bb.5922:                             ;   in Loop: Header=BB6_5342 Depth=3
	v_ffbh_u32_e32 v9, v8
	v_min_u32_e32 v9, 32, v9
	v_subrev_u32_e32 v36, 29, v9
	v_bfe_u32 v6, v3, 2, 5
	v_lshlrev_b64 v[36:37], v36, v[50:51]
	v_sub_u32_e32 v9, 30, v9
	v_and_b32_e32 v36, 3, v36
	v_cmp_eq_u32_e32 vcc, 0, v6
	v_cndmask_b32_e32 v6, v6, v9, vcc
	v_cndmask_b32_e32 v8, v8, v36, vcc
	v_bfrev_b32_e32 v36, 28
	v_lshlrev_b32_e32 v9, 24, v3
	v_lshl_add_u32 v6, v6, 23, v36
	v_and_or_b32 v6, v9, s96, v6
	v_lshl_or_b32 v6, v8, 21, v6
                                        ; implicit-def: $vgpr8
.LBB6_5923:                             ;   in Loop: Header=BB6_5342 Depth=3
	s_andn2_saveexec_b64 s[74:75], s[74:75]
; %bb.5924:                             ;   in Loop: Header=BB6_5342 Depth=3
	v_mov_b32_e32 v6, -1
	v_cmp_gt_i16_sdwa vcc, sext(v3), v6 src0_sel:BYTE_0 src1_sel:DWORD
	v_mov_b32_e32 v6, 0xc7600000
	v_mov_b32_e32 v9, 0x47600000
	v_cndmask_b32_e32 v6, v6, v9, vcc
	v_cmp_eq_u32_e32 vcc, 0, v8
	v_mov_b32_e32 v8, 0x7f800001
	v_cndmask_b32_e32 v6, v8, v6, vcc
; %bb.5925:                             ;   in Loop: Header=BB6_5342 Depth=3
	s_or_b64 exec, exec, s[74:75]
.LBB6_5926:                             ;   in Loop: Header=BB6_5342 Depth=3
	s_or_b64 exec, exec, s[72:73]
.LBB6_5927:                             ;   in Loop: Header=BB6_5342 Depth=3
	s_or_b64 exec, exec, s[34:35]
	v_cmp_ne_u16_sdwa vcc, v11, v51 src0_sel:BYTE_0 src1_sel:DWORD
	s_and_saveexec_b64 s[34:35], vcc
	s_cbranch_execz .LBB6_5935
; %bb.5928:                             ;   in Loop: Header=BB6_5342 Depth=3
	v_cmp_ne_u16_sdwa vcc, v11, s97 src0_sel:BYTE_0 src1_sel:DWORD
	v_bfrev_b32_e32 v7, 1
	s_and_saveexec_b64 s[72:73], vcc
	s_cbranch_execz .LBB6_5934
; %bb.5929:                             ;   in Loop: Header=BB6_5342 Depth=3
	v_and_b32_e32 v7, 0x7c, v11
	v_and_b32_e32 v8, 3, v11
	v_cmp_ne_u32_e32 vcc, s95, v7
                                        ; implicit-def: $vgpr7
	s_and_saveexec_b64 s[74:75], vcc
	s_xor_b64 s[74:75], exec, s[74:75]
	s_cbranch_execz .LBB6_5931
; %bb.5930:                             ;   in Loop: Header=BB6_5342 Depth=3
	v_ffbh_u32_e32 v9, v8
	v_min_u32_e32 v9, 32, v9
	v_subrev_u32_e32 v36, 29, v9
	v_bfe_u32 v7, v11, 2, 5
	v_lshlrev_b64 v[36:37], v36, v[0:1]
	v_sub_u32_e32 v9, 30, v9
	v_and_b32_e32 v36, 3, v36
	v_cmp_eq_u32_e32 vcc, 0, v7
	v_cndmask_b32_e32 v7, v7, v9, vcc
	v_cndmask_b32_e32 v8, v8, v36, vcc
	v_bfrev_b32_e32 v36, 28
	v_lshlrev_b32_e32 v9, 24, v11
	v_lshl_add_u32 v7, v7, 23, v36
	v_and_or_b32 v7, v9, s96, v7
	v_lshl_or_b32 v7, v8, 21, v7
                                        ; implicit-def: $vgpr8
.LBB6_5931:                             ;   in Loop: Header=BB6_5342 Depth=3
	s_andn2_saveexec_b64 s[74:75], s[74:75]
; %bb.5932:                             ;   in Loop: Header=BB6_5342 Depth=3
	v_mov_b32_e32 v7, -1
	v_cmp_gt_i16_sdwa vcc, sext(v11), v7 src0_sel:BYTE_0 src1_sel:DWORD
	v_mov_b32_e32 v7, 0xc7600000
	v_mov_b32_e32 v9, 0x47600000
	v_cndmask_b32_e32 v7, v7, v9, vcc
	v_cmp_eq_u32_e32 vcc, 0, v8
	v_mov_b32_e32 v8, 0x7f800001
	v_cndmask_b32_e32 v7, v8, v7, vcc
; %bb.5933:                             ;   in Loop: Header=BB6_5342 Depth=3
	s_or_b64 exec, exec, s[74:75]
.LBB6_5934:                             ;   in Loop: Header=BB6_5342 Depth=3
	s_or_b64 exec, exec, s[72:73]
.LBB6_5935:                             ;   in Loop: Header=BB6_5342 Depth=3
	s_or_b64 exec, exec, s[34:35]
	v_max_f32_e32 v7, v7, v7
	v_max_f32_e32 v6, v6, v6
	;; [unrolled: 1-line block ×3, first 2 shown]
	s_branch .LBB6_5954
.LBB6_5936:                             ;   in Loop: Header=BB6_5342 Depth=3
                                        ; implicit-def: $vgpr8
	s_cbranch_execz .LBB6_5954
; %bb.5937:                             ;   in Loop: Header=BB6_5342 Depth=3
	v_mov_b32_e32 v7, 0
	v_mov_b32_e32 v6, 0
	s_and_saveexec_b64 s[34:35], s[30:31]
	s_cbranch_execz .LBB6_5945
; %bb.5938:                             ;   in Loop: Header=BB6_5342 Depth=3
	v_cmp_ne_u16_sdwa vcc, v3, s97 src0_sel:BYTE_0 src1_sel:DWORD
	v_bfrev_b32_e32 v6, 1
	s_and_saveexec_b64 s[30:31], vcc
	s_cbranch_execz .LBB6_5944
; %bb.5939:                             ;   in Loop: Header=BB6_5342 Depth=3
	v_and_b32_e32 v6, 0x7c, v3
	v_and_b32_e32 v8, 3, v3
	v_cmp_ne_u32_e32 vcc, s95, v6
                                        ; implicit-def: $vgpr6
	s_and_saveexec_b64 s[72:73], vcc
	s_xor_b64 s[72:73], exec, s[72:73]
	s_cbranch_execz .LBB6_5941
; %bb.5940:                             ;   in Loop: Header=BB6_5342 Depth=3
	v_ffbh_u32_e32 v9, v8
	v_min_u32_e32 v9, 32, v9
	v_subrev_u32_e32 v36, 29, v9
	v_bfe_u32 v6, v3, 2, 5
	v_lshlrev_b64 v[36:37], v36, v[50:51]
	v_sub_u32_e32 v9, 30, v9
	v_and_b32_e32 v36, 3, v36
	v_cmp_eq_u32_e32 vcc, 0, v6
	v_cndmask_b32_e32 v6, v6, v9, vcc
	v_cndmask_b32_e32 v8, v8, v36, vcc
	v_bfrev_b32_e32 v36, 28
	v_lshlrev_b32_e32 v9, 24, v3
	v_lshl_add_u32 v6, v6, 23, v36
	v_and_or_b32 v6, v9, s96, v6
	v_lshl_or_b32 v6, v8, 21, v6
                                        ; implicit-def: $vgpr8
.LBB6_5941:                             ;   in Loop: Header=BB6_5342 Depth=3
	s_andn2_saveexec_b64 s[72:73], s[72:73]
; %bb.5942:                             ;   in Loop: Header=BB6_5342 Depth=3
	v_mov_b32_e32 v6, -1
	v_cmp_gt_i16_sdwa vcc, sext(v3), v6 src0_sel:BYTE_0 src1_sel:DWORD
	v_mov_b32_e32 v6, 0xc7600000
	v_mov_b32_e32 v9, 0x47600000
	v_cndmask_b32_e32 v6, v6, v9, vcc
	v_cmp_eq_u32_e32 vcc, 0, v8
	v_mov_b32_e32 v8, 0x7f800001
	v_cndmask_b32_e32 v6, v8, v6, vcc
; %bb.5943:                             ;   in Loop: Header=BB6_5342 Depth=3
	s_or_b64 exec, exec, s[72:73]
.LBB6_5944:                             ;   in Loop: Header=BB6_5342 Depth=3
	s_or_b64 exec, exec, s[30:31]
.LBB6_5945:                             ;   in Loop: Header=BB6_5342 Depth=3
	s_or_b64 exec, exec, s[34:35]
	v_cmp_ne_u16_sdwa vcc, v11, v51 src0_sel:BYTE_0 src1_sel:DWORD
	s_and_saveexec_b64 s[30:31], vcc
	s_cbranch_execz .LBB6_5953
; %bb.5946:                             ;   in Loop: Header=BB6_5342 Depth=3
	v_cmp_ne_u16_sdwa vcc, v11, s97 src0_sel:BYTE_0 src1_sel:DWORD
	v_bfrev_b32_e32 v7, 1
	s_and_saveexec_b64 s[34:35], vcc
	s_cbranch_execz .LBB6_5952
; %bb.5947:                             ;   in Loop: Header=BB6_5342 Depth=3
	v_and_b32_e32 v7, 0x7c, v11
	v_and_b32_e32 v8, 3, v11
	v_cmp_ne_u32_e32 vcc, s95, v7
                                        ; implicit-def: $vgpr7
	s_and_saveexec_b64 s[72:73], vcc
	s_xor_b64 s[72:73], exec, s[72:73]
	s_cbranch_execz .LBB6_5949
; %bb.5948:                             ;   in Loop: Header=BB6_5342 Depth=3
	v_ffbh_u32_e32 v9, v8
	v_min_u32_e32 v9, 32, v9
	v_subrev_u32_e32 v36, 29, v9
	v_bfe_u32 v7, v11, 2, 5
	v_lshlrev_b64 v[36:37], v36, v[0:1]
	v_sub_u32_e32 v1, 30, v9
	v_and_b32_e32 v9, 3, v36
	v_cmp_eq_u32_e32 vcc, 0, v7
	v_cndmask_b32_e32 v1, v7, v1, vcc
	v_cndmask_b32_e32 v7, v8, v9, vcc
	v_bfrev_b32_e32 v9, 28
	v_lshlrev_b32_e32 v8, 24, v11
	v_lshl_add_u32 v1, v1, 23, v9
	v_and_or_b32 v1, v8, s96, v1
	v_lshl_or_b32 v7, v7, 21, v1
                                        ; implicit-def: $vgpr8
.LBB6_5949:                             ;   in Loop: Header=BB6_5342 Depth=3
	s_andn2_saveexec_b64 s[72:73], s[72:73]
; %bb.5950:                             ;   in Loop: Header=BB6_5342 Depth=3
	v_mov_b32_e32 v1, -1
	v_cmp_gt_i16_sdwa vcc, sext(v11), v1 src0_sel:BYTE_0 src1_sel:DWORD
	v_mov_b32_e32 v1, 0xc7600000
	v_mov_b32_e32 v7, 0x47600000
	v_cndmask_b32_e32 v1, v1, v7, vcc
	v_cmp_eq_u32_e32 vcc, 0, v8
	v_mov_b32_e32 v7, 0x7f800001
	v_cndmask_b32_e32 v7, v7, v1, vcc
; %bb.5951:                             ;   in Loop: Header=BB6_5342 Depth=3
	s_or_b64 exec, exec, s[72:73]
.LBB6_5952:                             ;   in Loop: Header=BB6_5342 Depth=3
	s_or_b64 exec, exec, s[34:35]
.LBB6_5953:                             ;   in Loop: Header=BB6_5342 Depth=3
	s_or_b64 exec, exec, s[30:31]
	v_max_f32_e32 v1, v7, v7
	v_max_f32_e32 v6, v6, v6
	v_min_f32_e32 v8, v6, v1
.LBB6_5954:                             ;   in Loop: Header=BB6_5342 Depth=3
	v_and_b32_sdwa v1, v8, s97 dst_sel:DWORD dst_unused:UNUSED_PAD src0_sel:BYTE_3 src1_sel:DWORD
	v_and_b32_e32 v38, 0x7f800000, v8
	v_mov_b32_e32 v39, v51
	v_and_b32_e32 v6, 0x7fffff, v8
	v_mov_b32_e32 v7, v51
	v_or_b32_e32 v36, 0x7b, v1
	v_cmp_ne_u64_e32 vcc, s[52:53], v[38:39]
	s_and_saveexec_b64 s[30:31], vcc
	s_xor_b64 s[34:35], exec, s[30:31]
	s_cbranch_execz .LBB6_5964
; %bb.5955:                             ;   in Loop: Header=BB6_5342 Depth=3
	v_and_b32_e32 v38, 0x7fffffff, v8
	v_mov_b32_e32 v39, v51
	v_cmp_gt_u64_e32 vcc, s[54:55], v[38:39]
	s_and_saveexec_b64 s[72:73], vcc
	s_cbranch_execz .LBB6_5963
; %bb.5956:                             ;   in Loop: Header=BB6_5342 Depth=3
	v_cmp_ne_u32_e32 vcc, 0, v8
	v_mov_b32_e32 v36, 0
	s_and_saveexec_b64 s[74:75], vcc
	s_cbranch_execz .LBB6_5962
; %bb.5957:                             ;   in Loop: Header=BB6_5342 Depth=3
	v_bfe_u32 v8, v8, 23, 8
	v_cmp_eq_u32_e32 vcc, 0, v8
	v_add_u32_e32 v9, 0xffffff81, v8
	v_cmp_gt_u32_e64 s[30:31], s38, v8
	v_sub_u32_e32 v8, 0x71, v8
	v_mov_b32_e32 v37, 0xffffff82
	v_cndmask_b32_e64 v8, 0, v8, s[30:31]
	v_cndmask_b32_e32 v38, v9, v37, vcc
	v_mov_b32_e32 v9, 0x70
	v_cndmask_b32_e32 v39, v8, v9, vcc
	v_add_u32_e32 v8, 21, v39
	v_or_b32_e32 v36, 0x800000, v6
	v_lshlrev_b64 v[8:9], v8, -1
	v_cndmask_b32_e32 v6, v36, v6, vcc
	v_not_b32_e32 v9, v9
	v_not_b32_e32 v8, v8
	v_add_u32_e32 v36, 20, v39
	v_and_b32_e32 v9, 0, v9
	v_and_b32_e32 v8, v6, v8
	v_lshlrev_b64 v[36:37], v36, 1
	v_lshrrev_b64 v[6:7], v39, v[6:7]
	v_cmp_eq_u64_e32 vcc, v[8:9], v[36:37]
	v_lshrrev_b32_e32 v8, 23, v6
	v_add3_u32 v36, v39, v38, v8
	v_bfe_u32 v8, v6, 21, 1
	v_add_u32_e32 v8, -1, v8
	v_cndmask_b32_e32 v8, 0, v8, vcc
	v_add_u32_e32 v8, v8, v6
	v_and_b32_e32 v8, 0x1fffff, v8
	v_add_co_u32_e32 v6, vcc, v8, v6
	v_add_u32_e32 v9, 14, v36
	v_addc_co_u32_e32 v7, vcc, 0, v7, vcc
	v_cmp_ne_u32_e32 vcc, 0, v9
                                        ; implicit-def: $vgpr8
	s_and_saveexec_b64 s[30:31], vcc
	s_xor_b64 s[30:31], exec, s[30:31]
; %bb.5958:                             ;   in Loop: Header=BB6_5342 Depth=3
	v_add_u32_e32 v8, 15, v36
	v_cmp_lt_u64_e32 vcc, s[56:57], v[6:7]
	v_cndmask_b32_e32 v8, v9, v8, vcc
	v_cndmask_b32_e64 v9, 0, 1, vcc
	v_lshrrev_b64 v[6:7], v9, v[6:7]
; %bb.5959:                             ;   in Loop: Header=BB6_5342 Depth=3
	s_andn2_saveexec_b64 vcc, s[30:31]
; %bb.5960:                             ;   in Loop: Header=BB6_5342 Depth=3
	v_bfe_u32 v8, v6, 23, 1
; %bb.5961:                             ;   in Loop: Header=BB6_5342 Depth=3
	s_or_b64 exec, exec, vcc
	v_lshrrev_b64 v[6:7], 21, v[6:7]
	v_cmp_gt_i32_e32 vcc, 32, v8
	v_cndmask_b32_e32 v7, 0, v7, vcc
	v_cndmask_b32_e32 v6, 3, v6, vcc
	v_cmp_eq_u64_e64 s[30:31], 0, v[6:7]
	v_min_i32_e32 v7, 31, v8
	v_cmp_eq_u32_e32 vcc, 0, v8
	v_lshlrev_b32_e32 v7, 2, v7
	v_and_or_b32 v6, v6, 3, v7
	s_and_b64 vcc, vcc, s[30:31]
	v_cndmask_b32_e64 v6, v6, 0, vcc
	v_or_b32_e32 v36, v6, v1
.LBB6_5962:                             ;   in Loop: Header=BB6_5342 Depth=3
	s_or_b64 exec, exec, s[74:75]
.LBB6_5963:                             ;   in Loop: Header=BB6_5342 Depth=3
	s_or_b64 exec, exec, s[72:73]
                                        ; implicit-def: $vgpr8
                                        ; implicit-def: $vgpr6_vgpr7
.LBB6_5964:                             ;   in Loop: Header=BB6_5342 Depth=3
	s_andn2_saveexec_b64 s[30:31], s[34:35]
; %bb.5965:                             ;   in Loop: Header=BB6_5342 Depth=3
	v_or_b32_sdwa v1, v8, s39 dst_sel:DWORD dst_unused:UNUSED_PAD src0_sel:BYTE_3 src1_sel:DWORD
	v_cmp_eq_u64_e32 vcc, 0, v[6:7]
	v_cndmask_b32_e32 v36, v1, v36, vcc
; %bb.5966:                             ;   in Loop: Header=BB6_5342 Depth=3
	s_or_b64 exec, exec, s[30:31]
	v_lshrrev_b16_e32 v8, 8, v50
	v_lshrrev_b16_e32 v6, 8, v0
	v_cmp_ne_u16_e64 s[30:31], 0, v8
	s_and_b64 vcc, exec, s[70:71]
	s_cbranch_vccz .LBB6_5984
; %bb.5967:                             ;   in Loop: Header=BB6_5342 Depth=3
	v_mov_b32_e32 v7, 0
	v_mov_b32_e32 v1, 0
	s_and_saveexec_b64 s[34:35], s[30:31]
	s_cbranch_execz .LBB6_5975
; %bb.5968:                             ;   in Loop: Header=BB6_5342 Depth=3
	v_cmp_ne_u16_e32 vcc, s97, v8
	v_bfrev_b32_e32 v1, 1
	s_and_saveexec_b64 s[72:73], vcc
	s_cbranch_execz .LBB6_5974
; %bb.5969:                             ;   in Loop: Header=BB6_5342 Depth=3
	v_and_b32_e32 v1, 0x7c, v8
	v_and_b32_e32 v37, 3, v8
	v_cmp_ne_u32_e32 vcc, s95, v1
                                        ; implicit-def: $vgpr1
	s_and_saveexec_b64 s[74:75], vcc
	s_xor_b64 s[74:75], exec, s[74:75]
	s_cbranch_execz .LBB6_5971
; %bb.5970:                             ;   in Loop: Header=BB6_5342 Depth=3
	v_ffbh_u32_e32 v38, v37
	v_min_u32_e32 v48, 32, v38
	v_mov_b32_e32 v9, v51
	v_subrev_u32_e32 v38, 29, v48
	v_bfe_u32 v1, v8, 2, 5
	v_lshlrev_b64 v[38:39], v38, v[8:9]
	v_sub_u32_e32 v9, 30, v48
	v_and_b32_e32 v38, 3, v38
	v_cmp_eq_u32_e32 vcc, 0, v1
	v_cndmask_b32_e32 v1, v1, v9, vcc
	v_cndmask_b32_e32 v9, v37, v38, vcc
	v_bfrev_b32_e32 v38, 28
	v_lshlrev_b32_e32 v37, 16, v50
	v_lshl_add_u32 v1, v1, 23, v38
	v_and_or_b32 v1, v37, s96, v1
	v_lshl_or_b32 v1, v9, 21, v1
                                        ; implicit-def: $vgpr37
.LBB6_5971:                             ;   in Loop: Header=BB6_5342 Depth=3
	s_andn2_saveexec_b64 s[74:75], s[74:75]
; %bb.5972:                             ;   in Loop: Header=BB6_5342 Depth=3
	v_cmp_lt_i16_e32 vcc, -1, v50
	v_mov_b32_e32 v1, 0xc7600000
	v_mov_b32_e32 v9, 0x47600000
	v_cndmask_b32_e32 v1, v1, v9, vcc
	v_cmp_eq_u32_e32 vcc, 0, v37
	v_mov_b32_e32 v9, 0x7f800001
	v_cndmask_b32_e32 v1, v9, v1, vcc
; %bb.5973:                             ;   in Loop: Header=BB6_5342 Depth=3
	s_or_b64 exec, exec, s[74:75]
.LBB6_5974:                             ;   in Loop: Header=BB6_5342 Depth=3
	s_or_b64 exec, exec, s[72:73]
.LBB6_5975:                             ;   in Loop: Header=BB6_5342 Depth=3
	s_or_b64 exec, exec, s[34:35]
	v_cmp_ne_u16_e32 vcc, 0, v6
	s_and_saveexec_b64 s[34:35], vcc
	s_cbranch_execz .LBB6_5983
; %bb.5976:                             ;   in Loop: Header=BB6_5342 Depth=3
	v_cmp_ne_u16_e32 vcc, s97, v6
	v_bfrev_b32_e32 v7, 1
	s_and_saveexec_b64 s[72:73], vcc
	s_cbranch_execz .LBB6_5982
; %bb.5977:                             ;   in Loop: Header=BB6_5342 Depth=3
	v_and_b32_e32 v7, 0x7c, v6
	v_and_b32_e32 v9, 3, v6
	v_cmp_ne_u32_e32 vcc, s95, v7
                                        ; implicit-def: $vgpr7
	s_and_saveexec_b64 s[74:75], vcc
	s_xor_b64 s[74:75], exec, s[74:75]
	s_cbranch_execz .LBB6_5979
; %bb.5978:                             ;   in Loop: Header=BB6_5342 Depth=3
	v_ffbh_u32_e32 v38, v9
	v_min_u32_e32 v48, 32, v38
	v_mov_b32_e32 v7, v51
	v_subrev_u32_e32 v38, 29, v48
	v_bfe_u32 v37, v6, 2, 5
	v_lshlrev_b64 v[38:39], v38, v[6:7]
	v_sub_u32_e32 v7, 30, v48
	v_and_b32_e32 v38, 3, v38
	v_cmp_eq_u32_e32 vcc, 0, v37
	v_cndmask_b32_e32 v7, v37, v7, vcc
	v_cndmask_b32_e32 v9, v9, v38, vcc
	v_bfrev_b32_e32 v38, 28
	v_lshlrev_b32_e32 v37, 16, v0
	v_lshl_add_u32 v7, v7, 23, v38
	v_and_or_b32 v7, v37, s96, v7
	v_lshl_or_b32 v7, v9, 21, v7
                                        ; implicit-def: $vgpr9
.LBB6_5979:                             ;   in Loop: Header=BB6_5342 Depth=3
	s_andn2_saveexec_b64 s[74:75], s[74:75]
; %bb.5980:                             ;   in Loop: Header=BB6_5342 Depth=3
	v_cmp_lt_i16_e32 vcc, -1, v0
	v_mov_b32_e32 v7, 0xc7600000
	v_mov_b32_e32 v37, 0x47600000
	v_cndmask_b32_e32 v7, v7, v37, vcc
	v_cmp_eq_u32_e32 vcc, 0, v9
	v_mov_b32_e32 v9, 0x7f800001
	v_cndmask_b32_e32 v7, v9, v7, vcc
; %bb.5981:                             ;   in Loop: Header=BB6_5342 Depth=3
	s_or_b64 exec, exec, s[74:75]
.LBB6_5982:                             ;   in Loop: Header=BB6_5342 Depth=3
	s_or_b64 exec, exec, s[72:73]
.LBB6_5983:                             ;   in Loop: Header=BB6_5342 Depth=3
	s_or_b64 exec, exec, s[34:35]
	v_max_f32_e32 v7, v7, v7
	v_max_f32_e32 v1, v1, v1
	;; [unrolled: 1-line block ×3, first 2 shown]
	s_branch .LBB6_6002
.LBB6_5984:                             ;   in Loop: Header=BB6_5342 Depth=3
                                        ; implicit-def: $vgpr1
	s_cbranch_execz .LBB6_6002
; %bb.5985:                             ;   in Loop: Header=BB6_5342 Depth=3
	v_mov_b32_e32 v7, 0
	v_mov_b32_e32 v9, 0
	s_and_saveexec_b64 s[34:35], s[30:31]
	s_cbranch_execz .LBB6_5993
; %bb.5986:                             ;   in Loop: Header=BB6_5342 Depth=3
	v_cmp_ne_u16_e32 vcc, s97, v8
	v_bfrev_b32_e32 v9, 1
	s_and_saveexec_b64 s[30:31], vcc
	s_cbranch_execz .LBB6_5992
; %bb.5987:                             ;   in Loop: Header=BB6_5342 Depth=3
	v_and_b32_e32 v9, 0x7c, v8
	v_and_b32_e32 v1, 3, v8
	v_cmp_ne_u32_e32 vcc, s95, v9
                                        ; implicit-def: $vgpr9
	s_and_saveexec_b64 s[72:73], vcc
	s_xor_b64 s[72:73], exec, s[72:73]
	s_cbranch_execz .LBB6_5989
; %bb.5988:                             ;   in Loop: Header=BB6_5342 Depth=3
	v_ffbh_u32_e32 v38, v1
	v_min_u32_e32 v38, 32, v38
	v_mov_b32_e32 v9, v51
	v_subrev_u32_e32 v39, 29, v38
	v_bfe_u32 v37, v8, 2, 5
	v_lshlrev_b64 v[8:9], v39, v[8:9]
	v_sub_u32_e32 v9, 30, v38
	v_cmp_eq_u32_e32 vcc, 0, v37
	v_and_b32_e32 v8, 3, v8
	v_cndmask_b32_e32 v9, v37, v9, vcc
	v_bfrev_b32_e32 v37, 28
	v_cndmask_b32_e32 v1, v1, v8, vcc
	v_lshlrev_b32_e32 v8, 16, v50
	v_lshl_add_u32 v9, v9, 23, v37
	v_and_or_b32 v8, v8, s96, v9
	v_lshl_or_b32 v9, v1, 21, v8
                                        ; implicit-def: $vgpr1
.LBB6_5989:                             ;   in Loop: Header=BB6_5342 Depth=3
	s_andn2_saveexec_b64 s[72:73], s[72:73]
; %bb.5990:                             ;   in Loop: Header=BB6_5342 Depth=3
	v_cmp_lt_i16_e32 vcc, -1, v50
	v_mov_b32_e32 v8, 0xc7600000
	v_mov_b32_e32 v9, 0x47600000
	v_cndmask_b32_e32 v8, v8, v9, vcc
	v_cmp_eq_u32_e32 vcc, 0, v1
	v_mov_b32_e32 v1, 0x7f800001
	v_cndmask_b32_e32 v9, v1, v8, vcc
; %bb.5991:                             ;   in Loop: Header=BB6_5342 Depth=3
	s_or_b64 exec, exec, s[72:73]
.LBB6_5992:                             ;   in Loop: Header=BB6_5342 Depth=3
	s_or_b64 exec, exec, s[30:31]
.LBB6_5993:                             ;   in Loop: Header=BB6_5342 Depth=3
	s_or_b64 exec, exec, s[34:35]
	v_cmp_ne_u16_e32 vcc, 0, v6
	s_and_saveexec_b64 s[30:31], vcc
	s_cbranch_execz .LBB6_6001
; %bb.5994:                             ;   in Loop: Header=BB6_5342 Depth=3
	v_cmp_ne_u16_e32 vcc, s97, v6
	v_bfrev_b32_e32 v7, 1
	s_and_saveexec_b64 s[34:35], vcc
	s_cbranch_execz .LBB6_6000
; %bb.5995:                             ;   in Loop: Header=BB6_5342 Depth=3
	v_and_b32_e32 v1, 0x7c, v6
	v_and_b32_e32 v8, 3, v6
	v_cmp_ne_u32_e32 vcc, s95, v1
                                        ; implicit-def: $vgpr7
	s_and_saveexec_b64 s[72:73], vcc
	s_xor_b64 s[72:73], exec, s[72:73]
	s_cbranch_execz .LBB6_5997
; %bb.5996:                             ;   in Loop: Header=BB6_5342 Depth=3
	v_ffbh_u32_e32 v37, v8
	v_min_u32_e32 v37, 32, v37
	v_mov_b32_e32 v7, v51
	v_subrev_u32_e32 v38, 29, v37
	v_bfe_u32 v1, v6, 2, 5
	v_lshlrev_b64 v[6:7], v38, v[6:7]
	v_sub_u32_e32 v7, 30, v37
	v_cmp_eq_u32_e32 vcc, 0, v1
	v_cndmask_b32_e32 v1, v1, v7, vcc
	v_bfrev_b32_e32 v7, 28
	v_and_b32_e32 v6, 3, v6
	v_lshlrev_b32_e32 v0, 16, v0
	v_lshl_add_u32 v1, v1, 23, v7
	v_cndmask_b32_e32 v6, v8, v6, vcc
	v_and_or_b32 v0, v0, s96, v1
	v_lshl_or_b32 v7, v6, 21, v0
                                        ; implicit-def: $vgpr8
                                        ; implicit-def: $vgpr0_vgpr1
.LBB6_5997:                             ;   in Loop: Header=BB6_5342 Depth=3
	s_andn2_saveexec_b64 s[72:73], s[72:73]
; %bb.5998:                             ;   in Loop: Header=BB6_5342 Depth=3
	v_cmp_lt_i16_e32 vcc, -1, v0
	v_mov_b32_e32 v0, 0xc7600000
	v_mov_b32_e32 v1, 0x47600000
	v_cndmask_b32_e32 v0, v0, v1, vcc
	v_cmp_eq_u32_e32 vcc, 0, v8
	v_mov_b32_e32 v1, 0x7f800001
	v_cndmask_b32_e32 v7, v1, v0, vcc
; %bb.5999:                             ;   in Loop: Header=BB6_5342 Depth=3
	s_or_b64 exec, exec, s[72:73]
.LBB6_6000:                             ;   in Loop: Header=BB6_5342 Depth=3
	s_or_b64 exec, exec, s[34:35]
.LBB6_6001:                             ;   in Loop: Header=BB6_5342 Depth=3
	s_or_b64 exec, exec, s[30:31]
	v_max_f32_e32 v0, v7, v7
	v_max_f32_e32 v1, v9, v9
	v_min_f32_e32 v1, v1, v0
.LBB6_6002:                             ;   in Loop: Header=BB6_5342 Depth=3
	v_and_b32_sdwa v6, v1, s97 dst_sel:DWORD dst_unused:UNUSED_PAD src0_sel:BYTE_3 src1_sel:DWORD
	v_and_b32_e32 v8, 0x7f800000, v1
	v_mov_b32_e32 v9, v51
	v_and_b32_e32 v50, 0x7fffff, v1
	v_or_b32_e32 v7, 0x7b, v6
	v_cmp_ne_u64_e32 vcc, s[52:53], v[8:9]
	s_and_saveexec_b64 s[30:31], vcc
	s_xor_b64 s[34:35], exec, s[30:31]
	s_cbranch_execz .LBB6_6012
; %bb.6003:                             ;   in Loop: Header=BB6_5342 Depth=3
	v_and_b32_e32 v8, 0x7fffffff, v1
	v_mov_b32_e32 v9, v51
	v_cmp_gt_u64_e32 vcc, s[54:55], v[8:9]
	s_and_saveexec_b64 s[72:73], vcc
	s_cbranch_execz .LBB6_6011
; %bb.6004:                             ;   in Loop: Header=BB6_5342 Depth=3
	v_cmp_ne_u32_e32 vcc, 0, v1
	v_mov_b32_e32 v7, 0
	s_and_saveexec_b64 s[74:75], vcc
	s_cbranch_execz .LBB6_6010
; %bb.6005:                             ;   in Loop: Header=BB6_5342 Depth=3
	v_bfe_u32 v0, v1, 23, 8
	v_cmp_eq_u32_e32 vcc, 0, v0
	v_add_u32_e32 v1, 0xffffff81, v0
	v_cmp_gt_u32_e64 s[30:31], s38, v0
	v_sub_u32_e32 v0, 0x71, v0
	v_mov_b32_e32 v8, 0xffffff82
	v_cndmask_b32_e64 v0, 0, v0, s[30:31]
	v_cndmask_b32_e32 v37, v1, v8, vcc
	v_mov_b32_e32 v1, 0x70
	v_cndmask_b32_e32 v38, v0, v1, vcc
	v_add_u32_e32 v0, 21, v38
	v_or_b32_e32 v7, 0x800000, v50
	v_lshlrev_b64 v[0:1], v0, -1
	v_cndmask_b32_e32 v50, v7, v50, vcc
	v_not_b32_e32 v1, v1
	v_not_b32_e32 v0, v0
	v_add_u32_e32 v7, 20, v38
	v_and_b32_e32 v1, 0, v1
	v_and_b32_e32 v0, v50, v0
	v_lshlrev_b64 v[8:9], v7, 1
	v_cmp_eq_u64_e32 vcc, v[0:1], v[8:9]
	v_lshrrev_b64 v[0:1], v38, v[50:51]
	v_lshrrev_b32_e32 v7, 23, v0
	v_add3_u32 v9, v38, v37, v7
	v_bfe_u32 v7, v0, 21, 1
	v_add_u32_e32 v7, -1, v7
	v_cndmask_b32_e32 v7, 0, v7, vcc
	v_add_u32_e32 v7, v7, v0
	v_and_b32_e32 v7, 0x1fffff, v7
	v_add_co_u32_e32 v0, vcc, v7, v0
	v_add_u32_e32 v8, 14, v9
	v_addc_co_u32_e32 v1, vcc, 0, v1, vcc
	v_cmp_ne_u32_e32 vcc, 0, v8
                                        ; implicit-def: $vgpr7
	s_and_saveexec_b64 s[30:31], vcc
	s_xor_b64 s[30:31], exec, s[30:31]
; %bb.6006:                             ;   in Loop: Header=BB6_5342 Depth=3
	v_add_u32_e32 v7, 15, v9
	v_cmp_lt_u64_e32 vcc, s[56:57], v[0:1]
	v_cndmask_b32_e32 v7, v8, v7, vcc
	v_cndmask_b32_e64 v8, 0, 1, vcc
	v_lshrrev_b64 v[0:1], v8, v[0:1]
; %bb.6007:                             ;   in Loop: Header=BB6_5342 Depth=3
	s_andn2_saveexec_b64 vcc, s[30:31]
; %bb.6008:                             ;   in Loop: Header=BB6_5342 Depth=3
	v_bfe_u32 v7, v0, 23, 1
; %bb.6009:                             ;   in Loop: Header=BB6_5342 Depth=3
	s_or_b64 exec, exec, vcc
	v_lshrrev_b64 v[0:1], 21, v[0:1]
	v_cmp_gt_i32_e32 vcc, 32, v7
	v_cndmask_b32_e32 v1, 0, v1, vcc
	v_cndmask_b32_e32 v0, 3, v0, vcc
	v_cmp_eq_u64_e64 s[30:31], 0, v[0:1]
	v_min_i32_e32 v1, 31, v7
	v_cmp_eq_u32_e32 vcc, 0, v7
	v_lshlrev_b32_e32 v1, 2, v1
	v_and_or_b32 v0, v0, 3, v1
	s_and_b64 vcc, vcc, s[30:31]
	v_cndmask_b32_e64 v0, v0, 0, vcc
	v_or_b32_e32 v7, v0, v6
.LBB6_6010:                             ;   in Loop: Header=BB6_5342 Depth=3
	s_or_b64 exec, exec, s[74:75]
.LBB6_6011:                             ;   in Loop: Header=BB6_5342 Depth=3
	s_or_b64 exec, exec, s[72:73]
                                        ; implicit-def: $vgpr1
.LBB6_6012:                             ;   in Loop: Header=BB6_5342 Depth=3
	s_andn2_saveexec_b64 s[30:31], s[34:35]
; %bb.6013:                             ;   in Loop: Header=BB6_5342 Depth=3
	v_or_b32_sdwa v0, v1, s39 dst_sel:DWORD dst_unused:UNUSED_PAD src0_sel:BYTE_3 src1_sel:DWORD
	v_cmp_eq_u64_e32 vcc, 0, v[50:51]
	v_cndmask_b32_e32 v7, v0, v7, vcc
; %bb.6014:                             ;   in Loop: Header=BB6_5342 Depth=3
	s_or_b64 exec, exec, s[30:31]
	v_lshrrev_b32_e32 v6, 16, v3
	v_lshrrev_b32_e32 v0, 16, v11
	v_cmp_ne_u16_sdwa s[30:31], v6, v51 src0_sel:BYTE_0 src1_sel:DWORD
	s_and_b64 vcc, exec, s[70:71]
	s_cbranch_vccz .LBB6_6032
; %bb.6015:                             ;   in Loop: Header=BB6_5342 Depth=3
	v_mov_b32_e32 v8, 0
	v_mov_b32_e32 v1, 0
	s_and_saveexec_b64 s[34:35], s[30:31]
	s_cbranch_execz .LBB6_6023
; %bb.6016:                             ;   in Loop: Header=BB6_5342 Depth=3
	v_cmp_ne_u16_sdwa vcc, v6, s97 src0_sel:BYTE_0 src1_sel:DWORD
	v_bfrev_b32_e32 v1, 1
	s_and_saveexec_b64 s[72:73], vcc
	s_cbranch_execz .LBB6_6022
; %bb.6017:                             ;   in Loop: Header=BB6_5342 Depth=3
	v_and_b32_e32 v1, 0x7c0000, v3
	v_bfe_u32 v9, v3, 16, 2
	v_cmp_ne_u32_e32 vcc, s36, v1
                                        ; implicit-def: $vgpr1
	s_and_saveexec_b64 s[74:75], vcc
	s_xor_b64 s[74:75], exec, s[74:75]
	s_cbranch_execz .LBB6_6019
; %bb.6018:                             ;   in Loop: Header=BB6_5342 Depth=3
	v_ffbh_u32_e32 v37, v9
	v_min_u32_e32 v37, 32, v37
	v_subrev_u32_e32 v38, 29, v37
	v_bfe_u32 v1, v3, 18, 5
	v_lshlrev_b64 v[38:39], v38, v[6:7]
	v_sub_u32_e32 v37, 30, v37
	v_and_b32_e32 v38, 3, v38
	v_cmp_eq_u32_e32 vcc, 0, v1
	v_cndmask_b32_e32 v1, v1, v37, vcc
	v_cndmask_b32_e32 v9, v9, v38, vcc
	v_bfrev_b32_e32 v38, 28
	v_lshlrev_b32_e32 v37, 24, v6
	v_lshl_add_u32 v1, v1, 23, v38
	v_and_or_b32 v1, v37, s96, v1
	v_lshl_or_b32 v1, v9, 21, v1
                                        ; implicit-def: $vgpr9
.LBB6_6019:                             ;   in Loop: Header=BB6_5342 Depth=3
	s_andn2_saveexec_b64 s[74:75], s[74:75]
; %bb.6020:                             ;   in Loop: Header=BB6_5342 Depth=3
	v_mov_b32_e32 v1, -1
	v_cmp_gt_i16_sdwa vcc, sext(v6), v1 src0_sel:BYTE_0 src1_sel:DWORD
	v_mov_b32_e32 v1, 0xc7600000
	v_mov_b32_e32 v37, 0x47600000
	v_cndmask_b32_e32 v1, v1, v37, vcc
	v_cmp_eq_u32_e32 vcc, 0, v9
	v_mov_b32_e32 v9, 0x7f800001
	v_cndmask_b32_e32 v1, v9, v1, vcc
; %bb.6021:                             ;   in Loop: Header=BB6_5342 Depth=3
	s_or_b64 exec, exec, s[74:75]
.LBB6_6022:                             ;   in Loop: Header=BB6_5342 Depth=3
	s_or_b64 exec, exec, s[72:73]
.LBB6_6023:                             ;   in Loop: Header=BB6_5342 Depth=3
	s_or_b64 exec, exec, s[34:35]
	v_cmp_ne_u16_sdwa vcc, v0, v51 src0_sel:BYTE_0 src1_sel:DWORD
	s_and_saveexec_b64 s[34:35], vcc
	s_cbranch_execz .LBB6_6031
; %bb.6024:                             ;   in Loop: Header=BB6_5342 Depth=3
	v_cmp_ne_u16_sdwa vcc, v0, s97 src0_sel:BYTE_0 src1_sel:DWORD
	v_bfrev_b32_e32 v8, 1
	s_and_saveexec_b64 s[72:73], vcc
	s_cbranch_execz .LBB6_6030
; %bb.6025:                             ;   in Loop: Header=BB6_5342 Depth=3
	v_and_b32_e32 v8, 0x7c0000, v11
	v_bfe_u32 v9, v11, 16, 2
	v_cmp_ne_u32_e32 vcc, s36, v8
                                        ; implicit-def: $vgpr8
	s_and_saveexec_b64 s[74:75], vcc
	s_xor_b64 s[74:75], exec, s[74:75]
	s_cbranch_execz .LBB6_6027
; %bb.6026:                             ;   in Loop: Header=BB6_5342 Depth=3
	v_ffbh_u32_e32 v37, v9
	v_min_u32_e32 v37, 32, v37
	v_subrev_u32_e32 v38, 29, v37
	v_bfe_u32 v8, v11, 18, 5
	v_lshlrev_b64 v[38:39], v38, v[0:1]
	v_sub_u32_e32 v37, 30, v37
	v_and_b32_e32 v38, 3, v38
	v_cmp_eq_u32_e32 vcc, 0, v8
	v_cndmask_b32_e32 v8, v8, v37, vcc
	v_cndmask_b32_e32 v9, v9, v38, vcc
	v_bfrev_b32_e32 v38, 28
	v_lshlrev_b32_e32 v37, 24, v0
	v_lshl_add_u32 v8, v8, 23, v38
	v_and_or_b32 v8, v37, s96, v8
	v_lshl_or_b32 v8, v9, 21, v8
                                        ; implicit-def: $vgpr9
.LBB6_6027:                             ;   in Loop: Header=BB6_5342 Depth=3
	s_andn2_saveexec_b64 s[74:75], s[74:75]
; %bb.6028:                             ;   in Loop: Header=BB6_5342 Depth=3
	v_mov_b32_e32 v8, -1
	v_cmp_gt_i16_sdwa vcc, sext(v0), v8 src0_sel:BYTE_0 src1_sel:DWORD
	v_mov_b32_e32 v8, 0xc7600000
	v_mov_b32_e32 v37, 0x47600000
	v_cndmask_b32_e32 v8, v8, v37, vcc
	v_cmp_eq_u32_e32 vcc, 0, v9
	v_mov_b32_e32 v9, 0x7f800001
	v_cndmask_b32_e32 v8, v9, v8, vcc
; %bb.6029:                             ;   in Loop: Header=BB6_5342 Depth=3
	s_or_b64 exec, exec, s[74:75]
.LBB6_6030:                             ;   in Loop: Header=BB6_5342 Depth=3
	s_or_b64 exec, exec, s[72:73]
.LBB6_6031:                             ;   in Loop: Header=BB6_5342 Depth=3
	s_or_b64 exec, exec, s[34:35]
	v_max_f32_e32 v8, v8, v8
	v_max_f32_e32 v1, v1, v1
	;; [unrolled: 1-line block ×3, first 2 shown]
	s_branch .LBB6_6050
.LBB6_6032:                             ;   in Loop: Header=BB6_5342 Depth=3
                                        ; implicit-def: $vgpr1
	s_cbranch_execz .LBB6_6050
; %bb.6033:                             ;   in Loop: Header=BB6_5342 Depth=3
	v_mov_b32_e32 v8, 0
	v_mov_b32_e32 v1, 0
	s_and_saveexec_b64 s[34:35], s[30:31]
	s_cbranch_execz .LBB6_6041
; %bb.6034:                             ;   in Loop: Header=BB6_5342 Depth=3
	v_cmp_ne_u16_sdwa vcc, v6, s97 src0_sel:BYTE_0 src1_sel:DWORD
	v_bfrev_b32_e32 v1, 1
	s_and_saveexec_b64 s[30:31], vcc
	s_cbranch_execz .LBB6_6040
; %bb.6035:                             ;   in Loop: Header=BB6_5342 Depth=3
	v_and_b32_e32 v1, 0x7c0000, v3
	v_bfe_u32 v9, v3, 16, 2
	v_cmp_ne_u32_e32 vcc, s36, v1
                                        ; implicit-def: $vgpr1
	s_and_saveexec_b64 s[72:73], vcc
	s_xor_b64 s[72:73], exec, s[72:73]
	s_cbranch_execz .LBB6_6037
; %bb.6036:                             ;   in Loop: Header=BB6_5342 Depth=3
	v_ffbh_u32_e32 v37, v9
	v_bfe_u32 v1, v3, 18, 5
	v_min_u32_e32 v37, 32, v37
	v_subrev_u32_e32 v38, 29, v37
	v_sub_u32_e32 v37, 30, v37
	v_cmp_eq_u32_e32 vcc, 0, v1
	v_lshlrev_b64 v[38:39], v38, v[6:7]
	v_cndmask_b32_e32 v1, v1, v37, vcc
	v_bfrev_b32_e32 v37, 28
	v_and_b32_e32 v38, 3, v38
	v_lshlrev_b32_e32 v6, 24, v6
	v_lshl_add_u32 v1, v1, 23, v37
	v_cndmask_b32_e32 v9, v9, v38, vcc
	v_and_or_b32 v1, v6, s96, v1
	v_lshl_or_b32 v1, v9, 21, v1
                                        ; implicit-def: $vgpr9
                                        ; implicit-def: $vgpr6
.LBB6_6037:                             ;   in Loop: Header=BB6_5342 Depth=3
	s_andn2_saveexec_b64 s[72:73], s[72:73]
; %bb.6038:                             ;   in Loop: Header=BB6_5342 Depth=3
	v_mov_b32_e32 v1, -1
	v_cmp_gt_i16_sdwa vcc, sext(v6), v1 src0_sel:BYTE_0 src1_sel:DWORD
	v_mov_b32_e32 v1, 0xc7600000
	v_mov_b32_e32 v6, 0x47600000
	v_cndmask_b32_e32 v1, v1, v6, vcc
	v_cmp_eq_u32_e32 vcc, 0, v9
	v_mov_b32_e32 v6, 0x7f800001
	v_cndmask_b32_e32 v1, v6, v1, vcc
; %bb.6039:                             ;   in Loop: Header=BB6_5342 Depth=3
	s_or_b64 exec, exec, s[72:73]
.LBB6_6040:                             ;   in Loop: Header=BB6_5342 Depth=3
	s_or_b64 exec, exec, s[30:31]
.LBB6_6041:                             ;   in Loop: Header=BB6_5342 Depth=3
	s_or_b64 exec, exec, s[34:35]
	v_cmp_ne_u16_sdwa vcc, v0, v51 src0_sel:BYTE_0 src1_sel:DWORD
	s_and_saveexec_b64 s[30:31], vcc
	s_cbranch_execz .LBB6_6049
; %bb.6042:                             ;   in Loop: Header=BB6_5342 Depth=3
	v_cmp_ne_u16_sdwa vcc, v0, s97 src0_sel:BYTE_0 src1_sel:DWORD
	v_bfrev_b32_e32 v8, 1
	s_and_saveexec_b64 s[34:35], vcc
	s_cbranch_execz .LBB6_6048
; %bb.6043:                             ;   in Loop: Header=BB6_5342 Depth=3
	v_and_b32_e32 v8, 0x7c0000, v11
	v_bfe_u32 v6, v11, 16, 2
	v_cmp_ne_u32_e32 vcc, s36, v8
                                        ; implicit-def: $vgpr8
	s_and_saveexec_b64 s[72:73], vcc
	s_xor_b64 s[72:73], exec, s[72:73]
	s_cbranch_execz .LBB6_6045
; %bb.6044:                             ;   in Loop: Header=BB6_5342 Depth=3
	v_ffbh_u32_e32 v8, v6
	v_min_u32_e32 v38, 32, v8
	v_subrev_u32_e32 v8, 29, v38
	v_bfe_u32 v37, v11, 18, 5
	v_lshlrev_b64 v[8:9], v8, v[0:1]
	v_sub_u32_e32 v9, 30, v38
	v_and_b32_e32 v8, 3, v8
	v_cmp_eq_u32_e32 vcc, 0, v37
	v_cndmask_b32_e32 v9, v37, v9, vcc
	v_cndmask_b32_e32 v6, v6, v8, vcc
	v_bfrev_b32_e32 v8, 28
	v_lshlrev_b32_e32 v0, 24, v0
	v_lshl_add_u32 v8, v9, 23, v8
	v_and_or_b32 v0, v0, s96, v8
	v_lshl_or_b32 v8, v6, 21, v0
                                        ; implicit-def: $vgpr6
                                        ; implicit-def: $vgpr0
.LBB6_6045:                             ;   in Loop: Header=BB6_5342 Depth=3
	s_andn2_saveexec_b64 s[72:73], s[72:73]
; %bb.6046:                             ;   in Loop: Header=BB6_5342 Depth=3
	v_mov_b32_e32 v8, -1
	v_cmp_gt_i16_sdwa vcc, sext(v0), v8 src0_sel:BYTE_0 src1_sel:DWORD
	v_mov_b32_e32 v0, 0xc7600000
	v_mov_b32_e32 v8, 0x47600000
	v_cndmask_b32_e32 v0, v0, v8, vcc
	v_cmp_eq_u32_e32 vcc, 0, v6
	v_mov_b32_e32 v6, 0x7f800001
	v_cndmask_b32_e32 v8, v6, v0, vcc
; %bb.6047:                             ;   in Loop: Header=BB6_5342 Depth=3
	s_or_b64 exec, exec, s[72:73]
.LBB6_6048:                             ;   in Loop: Header=BB6_5342 Depth=3
	s_or_b64 exec, exec, s[34:35]
.LBB6_6049:                             ;   in Loop: Header=BB6_5342 Depth=3
	s_or_b64 exec, exec, s[30:31]
	v_max_f32_e32 v0, v8, v8
	v_max_f32_e32 v1, v1, v1
	v_min_f32_e32 v1, v1, v0
.LBB6_6050:                             ;   in Loop: Header=BB6_5342 Depth=3
	v_and_b32_sdwa v6, v1, s97 dst_sel:DWORD dst_unused:UNUSED_PAD src0_sel:BYTE_3 src1_sel:DWORD
	v_and_b32_e32 v8, 0x7f800000, v1
	v_mov_b32_e32 v9, v51
	v_and_b32_e32 v50, 0x7fffff, v1
	v_or_b32_e32 v37, 0x7b, v6
	v_cmp_ne_u64_e32 vcc, s[52:53], v[8:9]
	s_and_saveexec_b64 s[30:31], vcc
	s_xor_b64 s[34:35], exec, s[30:31]
	s_cbranch_execz .LBB6_6060
; %bb.6051:                             ;   in Loop: Header=BB6_5342 Depth=3
	v_and_b32_e32 v8, 0x7fffffff, v1
	v_mov_b32_e32 v9, v51
	v_cmp_gt_u64_e32 vcc, s[54:55], v[8:9]
	s_and_saveexec_b64 s[72:73], vcc
	s_cbranch_execz .LBB6_6059
; %bb.6052:                             ;   in Loop: Header=BB6_5342 Depth=3
	v_cmp_ne_u32_e32 vcc, 0, v1
	v_mov_b32_e32 v37, 0
	s_and_saveexec_b64 s[74:75], vcc
	s_cbranch_execz .LBB6_6058
; %bb.6053:                             ;   in Loop: Header=BB6_5342 Depth=3
	v_bfe_u32 v0, v1, 23, 8
	v_cmp_eq_u32_e32 vcc, 0, v0
	v_add_u32_e32 v1, 0xffffff81, v0
	v_cmp_gt_u32_e64 s[30:31], s38, v0
	v_sub_u32_e32 v0, 0x71, v0
	v_mov_b32_e32 v9, 0xffffff82
	v_cndmask_b32_e64 v0, 0, v0, s[30:31]
	v_cndmask_b32_e32 v37, v1, v9, vcc
	v_mov_b32_e32 v1, 0x70
	v_cndmask_b32_e32 v38, v0, v1, vcc
	v_add_u32_e32 v0, 21, v38
	v_or_b32_e32 v8, 0x800000, v50
	v_lshlrev_b64 v[0:1], v0, -1
	v_cndmask_b32_e32 v50, v8, v50, vcc
	v_not_b32_e32 v1, v1
	v_not_b32_e32 v0, v0
	v_add_u32_e32 v8, 20, v38
	v_and_b32_e32 v1, 0, v1
	v_and_b32_e32 v0, v50, v0
	v_lshlrev_b64 v[8:9], v8, 1
	v_cmp_eq_u64_e32 vcc, v[0:1], v[8:9]
	v_lshrrev_b64 v[0:1], v38, v[50:51]
	v_lshrrev_b32_e32 v8, 23, v0
	v_add3_u32 v37, v38, v37, v8
	v_bfe_u32 v8, v0, 21, 1
	v_add_u32_e32 v8, -1, v8
	v_cndmask_b32_e32 v8, 0, v8, vcc
	v_add_u32_e32 v8, v8, v0
	v_and_b32_e32 v8, 0x1fffff, v8
	v_add_co_u32_e32 v0, vcc, v8, v0
	v_add_u32_e32 v9, 14, v37
	v_addc_co_u32_e32 v1, vcc, 0, v1, vcc
	v_cmp_ne_u32_e32 vcc, 0, v9
                                        ; implicit-def: $vgpr8
	s_and_saveexec_b64 s[30:31], vcc
	s_xor_b64 s[30:31], exec, s[30:31]
; %bb.6054:                             ;   in Loop: Header=BB6_5342 Depth=3
	v_add_u32_e32 v8, 15, v37
	v_cmp_lt_u64_e32 vcc, s[56:57], v[0:1]
	v_cndmask_b32_e32 v8, v9, v8, vcc
	v_cndmask_b32_e64 v9, 0, 1, vcc
	v_lshrrev_b64 v[0:1], v9, v[0:1]
; %bb.6055:                             ;   in Loop: Header=BB6_5342 Depth=3
	s_andn2_saveexec_b64 vcc, s[30:31]
; %bb.6056:                             ;   in Loop: Header=BB6_5342 Depth=3
	v_bfe_u32 v8, v0, 23, 1
; %bb.6057:                             ;   in Loop: Header=BB6_5342 Depth=3
	s_or_b64 exec, exec, vcc
	v_lshrrev_b64 v[0:1], 21, v[0:1]
	v_cmp_gt_i32_e32 vcc, 32, v8
	v_cndmask_b32_e32 v1, 0, v1, vcc
	v_cndmask_b32_e32 v0, 3, v0, vcc
	v_cmp_eq_u64_e64 s[30:31], 0, v[0:1]
	v_min_i32_e32 v1, 31, v8
	v_cmp_eq_u32_e32 vcc, 0, v8
	v_lshlrev_b32_e32 v1, 2, v1
	v_and_or_b32 v0, v0, 3, v1
	s_and_b64 vcc, vcc, s[30:31]
	v_cndmask_b32_e64 v0, v0, 0, vcc
	v_or_b32_e32 v37, v0, v6
.LBB6_6058:                             ;   in Loop: Header=BB6_5342 Depth=3
	s_or_b64 exec, exec, s[74:75]
.LBB6_6059:                             ;   in Loop: Header=BB6_5342 Depth=3
	s_or_b64 exec, exec, s[72:73]
                                        ; implicit-def: $vgpr1
.LBB6_6060:                             ;   in Loop: Header=BB6_5342 Depth=3
	s_andn2_saveexec_b64 s[30:31], s[34:35]
; %bb.6061:                             ;   in Loop: Header=BB6_5342 Depth=3
	v_or_b32_sdwa v0, v1, s39 dst_sel:DWORD dst_unused:UNUSED_PAD src0_sel:BYTE_3 src1_sel:DWORD
	v_cmp_eq_u64_e32 vcc, 0, v[50:51]
	v_cndmask_b32_e32 v37, v0, v37, vcc
; %bb.6062:                             ;   in Loop: Header=BB6_5342 Depth=3
	s_or_b64 exec, exec, s[30:31]
	v_lshrrev_b32_e32 v6, 24, v3
	v_lshrrev_b32_e32 v0, 24, v11
	v_cmp_lt_u64_e64 s[30:31], s[42:43], v[2:3]
	s_and_b64 vcc, exec, s[70:71]
	s_cbranch_vccz .LBB6_6080
; %bb.6063:                             ;   in Loop: Header=BB6_5342 Depth=3
	v_mov_b32_e32 v8, 0
	v_mov_b32_e32 v1, 0
	s_and_saveexec_b64 s[34:35], s[30:31]
	s_cbranch_execz .LBB6_6071
; %bb.6064:                             ;   in Loop: Header=BB6_5342 Depth=3
	v_cmp_ne_u32_e32 vcc, s97, v6
	v_bfrev_b32_e32 v1, 1
	s_and_saveexec_b64 s[72:73], vcc
	s_cbranch_execz .LBB6_6070
; %bb.6065:                             ;   in Loop: Header=BB6_5342 Depth=3
	v_and_b32_e32 v1, 0x7c000000, v3
	v_bfe_u32 v9, v3, 24, 2
	v_cmp_ne_u32_e32 vcc, s37, v1
                                        ; implicit-def: $vgpr1
	s_and_saveexec_b64 s[74:75], vcc
	s_xor_b64 s[74:75], exec, s[74:75]
	s_cbranch_execz .LBB6_6067
; %bb.6066:                             ;   in Loop: Header=BB6_5342 Depth=3
	v_ffbh_u32_e32 v38, v9
	v_min_u32_e32 v48, 32, v38
	v_subrev_u32_e32 v38, 29, v48
	v_bfe_u32 v1, v3, 26, 5
	v_lshlrev_b64 v[38:39], v38, v[6:7]
	v_sub_u32_e32 v39, 30, v48
	v_and_b32_e32 v38, 3, v38
	v_cmp_eq_u32_e32 vcc, 0, v1
	v_cndmask_b32_e32 v1, v1, v39, vcc
	v_cndmask_b32_e32 v9, v9, v38, vcc
	v_bfrev_b32_e32 v38, 28
	v_lshl_add_u32 v1, v1, 23, v38
	v_and_or_b32 v1, v3, s96, v1
	v_lshl_or_b32 v1, v9, 21, v1
                                        ; implicit-def: $vgpr9
.LBB6_6067:                             ;   in Loop: Header=BB6_5342 Depth=3
	s_andn2_saveexec_b64 s[74:75], s[74:75]
; %bb.6068:                             ;   in Loop: Header=BB6_5342 Depth=3
	v_cmp_lt_i64_e32 vcc, -1, v[2:3]
	v_mov_b32_e32 v1, 0xc7600000
	v_mov_b32_e32 v38, 0x47600000
	v_cndmask_b32_e32 v1, v1, v38, vcc
	v_cmp_eq_u32_e32 vcc, 0, v9
	v_mov_b32_e32 v9, 0x7f800001
	v_cndmask_b32_e32 v1, v9, v1, vcc
; %bb.6069:                             ;   in Loop: Header=BB6_5342 Depth=3
	s_or_b64 exec, exec, s[74:75]
.LBB6_6070:                             ;   in Loop: Header=BB6_5342 Depth=3
	s_or_b64 exec, exec, s[72:73]
.LBB6_6071:                             ;   in Loop: Header=BB6_5342 Depth=3
	s_or_b64 exec, exec, s[34:35]
	v_cmp_lt_u64_e32 vcc, s[42:43], v[10:11]
	s_and_saveexec_b64 s[34:35], vcc
	s_cbranch_execz .LBB6_6079
; %bb.6072:                             ;   in Loop: Header=BB6_5342 Depth=3
	v_cmp_ne_u32_e32 vcc, s97, v0
	v_bfrev_b32_e32 v8, 1
	s_and_saveexec_b64 s[72:73], vcc
	s_cbranch_execz .LBB6_6078
; %bb.6073:                             ;   in Loop: Header=BB6_5342 Depth=3
	v_and_b32_e32 v8, 0x7c000000, v11
	v_bfe_u32 v9, v11, 24, 2
	v_cmp_ne_u32_e32 vcc, s37, v8
                                        ; implicit-def: $vgpr8
	s_and_saveexec_b64 s[74:75], vcc
	s_xor_b64 s[74:75], exec, s[74:75]
	s_cbranch_execz .LBB6_6075
; %bb.6074:                             ;   in Loop: Header=BB6_5342 Depth=3
	v_ffbh_u32_e32 v38, v9
	v_min_u32_e32 v48, 32, v38
	v_subrev_u32_e32 v38, 29, v48
	v_bfe_u32 v8, v11, 26, 5
	v_lshlrev_b64 v[38:39], v38, v[0:1]
	v_sub_u32_e32 v39, 30, v48
	v_and_b32_e32 v38, 3, v38
	v_cmp_eq_u32_e32 vcc, 0, v8
	v_cndmask_b32_e32 v8, v8, v39, vcc
	v_cndmask_b32_e32 v9, v9, v38, vcc
	v_bfrev_b32_e32 v38, 28
	v_lshl_add_u32 v8, v8, 23, v38
	v_and_or_b32 v8, v11, s96, v8
	v_lshl_or_b32 v8, v9, 21, v8
                                        ; implicit-def: $vgpr9
.LBB6_6075:                             ;   in Loop: Header=BB6_5342 Depth=3
	s_andn2_saveexec_b64 s[74:75], s[74:75]
; %bb.6076:                             ;   in Loop: Header=BB6_5342 Depth=3
	v_cmp_lt_i64_e32 vcc, -1, v[10:11]
	v_mov_b32_e32 v8, 0xc7600000
	v_mov_b32_e32 v38, 0x47600000
	v_cndmask_b32_e32 v8, v8, v38, vcc
	v_cmp_eq_u32_e32 vcc, 0, v9
	v_mov_b32_e32 v9, 0x7f800001
	v_cndmask_b32_e32 v8, v9, v8, vcc
; %bb.6077:                             ;   in Loop: Header=BB6_5342 Depth=3
	s_or_b64 exec, exec, s[74:75]
.LBB6_6078:                             ;   in Loop: Header=BB6_5342 Depth=3
	s_or_b64 exec, exec, s[72:73]
.LBB6_6079:                             ;   in Loop: Header=BB6_5342 Depth=3
	s_or_b64 exec, exec, s[34:35]
	v_max_f32_e32 v8, v8, v8
	v_max_f32_e32 v1, v1, v1
	;; [unrolled: 1-line block ×3, first 2 shown]
	s_branch .LBB6_6098
.LBB6_6080:                             ;   in Loop: Header=BB6_5342 Depth=3
                                        ; implicit-def: $vgpr1
	s_cbranch_execz .LBB6_6098
; %bb.6081:                             ;   in Loop: Header=BB6_5342 Depth=3
	v_mov_b32_e32 v8, 0
	v_mov_b32_e32 v1, 0
	s_and_saveexec_b64 s[34:35], s[30:31]
	s_cbranch_execz .LBB6_6089
; %bb.6082:                             ;   in Loop: Header=BB6_5342 Depth=3
	v_cmp_ne_u32_e32 vcc, s97, v6
	v_bfrev_b32_e32 v1, 1
	s_and_saveexec_b64 s[30:31], vcc
	s_cbranch_execz .LBB6_6088
; %bb.6083:                             ;   in Loop: Header=BB6_5342 Depth=3
	v_and_b32_e32 v1, 0x7c000000, v3
	v_bfe_u32 v9, v3, 24, 2
	v_cmp_ne_u32_e32 vcc, s37, v1
                                        ; implicit-def: $vgpr1
	s_and_saveexec_b64 s[72:73], vcc
	s_xor_b64 s[72:73], exec, s[72:73]
	s_cbranch_execz .LBB6_6085
; %bb.6084:                             ;   in Loop: Header=BB6_5342 Depth=3
	v_ffbh_u32_e32 v2, v9
	v_min_u32_e32 v2, 32, v2
	v_subrev_u32_e32 v38, 29, v2
	v_bfe_u32 v1, v3, 26, 5
	v_lshlrev_b64 v[38:39], v38, v[6:7]
	v_sub_u32_e32 v2, 30, v2
	v_and_b32_e32 v6, 3, v38
	v_cmp_eq_u32_e32 vcc, 0, v1
	v_cndmask_b32_e32 v1, v1, v2, vcc
	v_cndmask_b32_e32 v2, v9, v6, vcc
	v_bfrev_b32_e32 v6, 28
	v_lshl_add_u32 v1, v1, 23, v6
	v_and_or_b32 v1, v3, s96, v1
	v_lshl_or_b32 v1, v2, 21, v1
                                        ; implicit-def: $vgpr9
                                        ; implicit-def: $vgpr2_vgpr3
.LBB6_6085:                             ;   in Loop: Header=BB6_5342 Depth=3
	s_andn2_saveexec_b64 s[72:73], s[72:73]
; %bb.6086:                             ;   in Loop: Header=BB6_5342 Depth=3
	v_cmp_lt_i64_e32 vcc, -1, v[2:3]
	v_mov_b32_e32 v1, 0xc7600000
	v_mov_b32_e32 v2, 0x47600000
	v_cndmask_b32_e32 v1, v1, v2, vcc
	v_cmp_eq_u32_e32 vcc, 0, v9
	v_mov_b32_e32 v2, 0x7f800001
	v_cndmask_b32_e32 v1, v2, v1, vcc
; %bb.6087:                             ;   in Loop: Header=BB6_5342 Depth=3
	s_or_b64 exec, exec, s[72:73]
.LBB6_6088:                             ;   in Loop: Header=BB6_5342 Depth=3
	s_or_b64 exec, exec, s[30:31]
.LBB6_6089:                             ;   in Loop: Header=BB6_5342 Depth=3
	s_or_b64 exec, exec, s[34:35]
	v_cmp_lt_u64_e32 vcc, s[42:43], v[10:11]
	s_and_saveexec_b64 s[30:31], vcc
	s_cbranch_execz .LBB6_6097
; %bb.6090:                             ;   in Loop: Header=BB6_5342 Depth=3
	v_cmp_ne_u32_e32 vcc, s97, v0
	v_bfrev_b32_e32 v8, 1
	s_and_saveexec_b64 s[34:35], vcc
	s_cbranch_execz .LBB6_6096
; %bb.6091:                             ;   in Loop: Header=BB6_5342 Depth=3
	v_and_b32_e32 v3, 0x7c000000, v11
	v_bfe_u32 v2, v11, 24, 2
	v_cmp_ne_u32_e32 vcc, s37, v3
                                        ; implicit-def: $vgpr8
	s_and_saveexec_b64 s[72:73], vcc
	s_xor_b64 s[72:73], exec, s[72:73]
	s_cbranch_execz .LBB6_6093
; %bb.6092:                             ;   in Loop: Header=BB6_5342 Depth=3
	v_ffbh_u32_e32 v6, v2
	v_min_u32_e32 v6, 32, v6
	v_bfe_u32 v3, v11, 26, 5
	v_subrev_u32_e32 v8, 29, v6
	v_lshlrev_b64 v[8:9], v8, v[0:1]
	v_sub_u32_e32 v0, 30, v6
	v_cmp_eq_u32_e32 vcc, 0, v3
	v_cndmask_b32_e32 v0, v3, v0, vcc
	v_bfrev_b32_e32 v3, 28
	v_and_b32_e32 v6, 3, v8
	v_lshl_add_u32 v0, v0, 23, v3
	v_cndmask_b32_e32 v2, v2, v6, vcc
	v_and_or_b32 v0, v11, s96, v0
	v_lshl_or_b32 v8, v2, 21, v0
                                        ; implicit-def: $vgpr2
                                        ; implicit-def: $vgpr10_vgpr11
.LBB6_6093:                             ;   in Loop: Header=BB6_5342 Depth=3
	s_andn2_saveexec_b64 s[72:73], s[72:73]
; %bb.6094:                             ;   in Loop: Header=BB6_5342 Depth=3
	v_cmp_lt_i64_e32 vcc, -1, v[10:11]
	v_mov_b32_e32 v0, 0xc7600000
	v_mov_b32_e32 v3, 0x47600000
	v_cndmask_b32_e32 v0, v0, v3, vcc
	v_cmp_eq_u32_e32 vcc, 0, v2
	v_mov_b32_e32 v2, 0x7f800001
	v_cndmask_b32_e32 v8, v2, v0, vcc
; %bb.6095:                             ;   in Loop: Header=BB6_5342 Depth=3
	s_or_b64 exec, exec, s[72:73]
.LBB6_6096:                             ;   in Loop: Header=BB6_5342 Depth=3
	s_or_b64 exec, exec, s[34:35]
.LBB6_6097:                             ;   in Loop: Header=BB6_5342 Depth=3
	s_or_b64 exec, exec, s[30:31]
	v_max_f32_e32 v0, v8, v8
	v_max_f32_e32 v1, v1, v1
	v_min_f32_e32 v1, v1, v0
.LBB6_6098:                             ;   in Loop: Header=BB6_5342 Depth=3
	v_and_b32_sdwa v2, v1, s97 dst_sel:DWORD dst_unused:UNUSED_PAD src0_sel:BYTE_3 src1_sel:DWORD
	v_and_b32_e32 v50, 0x7fffff, v1
	v_or_b32_e32 v0, 0x7b, v2
	v_and_b32_e32 v8, 0x7f800000, v1
	v_mov_b32_e32 v9, v51
	v_cmp_ne_u64_e32 vcc, s[52:53], v[8:9]
	s_mov_b64 s[30:31], exec
	s_and_b64 vcc, s[30:31], vcc
	s_xor_b64 s[34:35], vcc, s[30:31]
	v_accvgpr_read_b32 v6, a34
	s_mov_b64 exec, vcc
	s_cbranch_execz .LBB6_6108
; %bb.6099:                             ;   in Loop: Header=BB6_5342 Depth=3
	v_and_b32_e32 v8, 0x7fffffff, v1
	v_mov_b32_e32 v9, v51
	v_cmp_gt_u64_e32 vcc, s[54:55], v[8:9]
	s_and_saveexec_b64 s[72:73], vcc
	s_cbranch_execz .LBB6_6107
; %bb.6100:                             ;   in Loop: Header=BB6_5342 Depth=3
	v_cmp_ne_u32_e32 vcc, 0, v1
	v_mov_b32_e32 v0, 0
	s_and_saveexec_b64 s[74:75], vcc
	s_cbranch_execz .LBB6_6106
; %bb.6101:                             ;   in Loop: Header=BB6_5342 Depth=3
	v_bfe_u32 v0, v1, 23, 8
	v_cmp_eq_u32_e32 vcc, 0, v0
	v_add_u32_e32 v1, 0xffffff81, v0
	v_cmp_gt_u32_e64 s[30:31], s38, v0
	v_sub_u32_e32 v0, 0x71, v0
	v_mov_b32_e32 v6, 0xffffff82
	v_cndmask_b32_e64 v0, 0, v0, s[30:31]
	v_cndmask_b32_e32 v6, v1, v6, vcc
	v_mov_b32_e32 v1, 0x70
	v_cndmask_b32_e32 v10, v0, v1, vcc
	v_add_u32_e32 v0, 21, v10
	v_or_b32_e32 v3, 0x800000, v50
	v_lshlrev_b64 v[0:1], v0, -1
	v_cndmask_b32_e32 v50, v3, v50, vcc
	v_not_b32_e32 v1, v1
	v_not_b32_e32 v0, v0
	v_add_u32_e32 v3, 20, v10
	v_and_b32_e32 v1, 0, v1
	v_and_b32_e32 v0, v50, v0
	v_lshlrev_b64 v[8:9], v3, 1
	v_cmp_eq_u64_e32 vcc, v[0:1], v[8:9]
	v_lshrrev_b64 v[0:1], v10, v[50:51]
	v_lshrrev_b32_e32 v3, 23, v0
	v_add3_u32 v8, v10, v6, v3
	v_bfe_u32 v3, v0, 21, 1
	v_add_u32_e32 v3, -1, v3
	v_cndmask_b32_e32 v3, 0, v3, vcc
	v_add_u32_e32 v3, v3, v0
	v_and_b32_e32 v3, 0x1fffff, v3
	v_add_co_u32_e32 v0, vcc, v3, v0
	v_add_u32_e32 v6, 14, v8
	v_addc_co_u32_e32 v1, vcc, 0, v1, vcc
	v_cmp_ne_u32_e32 vcc, 0, v6
                                        ; implicit-def: $vgpr3
	s_and_saveexec_b64 s[30:31], vcc
	s_xor_b64 s[30:31], exec, s[30:31]
; %bb.6102:                             ;   in Loop: Header=BB6_5342 Depth=3
	v_add_u32_e32 v3, 15, v8
	v_cmp_lt_u64_e32 vcc, s[56:57], v[0:1]
	v_cndmask_b32_e32 v3, v6, v3, vcc
	v_cndmask_b32_e64 v6, 0, 1, vcc
	v_lshrrev_b64 v[0:1], v6, v[0:1]
; %bb.6103:                             ;   in Loop: Header=BB6_5342 Depth=3
	s_andn2_saveexec_b64 vcc, s[30:31]
; %bb.6104:                             ;   in Loop: Header=BB6_5342 Depth=3
	v_bfe_u32 v3, v0, 23, 1
; %bb.6105:                             ;   in Loop: Header=BB6_5342 Depth=3
	s_or_b64 exec, exec, vcc
	v_lshrrev_b64 v[0:1], 21, v[0:1]
	v_cmp_gt_i32_e32 vcc, 32, v3
	v_cndmask_b32_e32 v1, 0, v1, vcc
	v_cndmask_b32_e32 v0, 3, v0, vcc
	v_cmp_eq_u64_e64 s[30:31], 0, v[0:1]
	v_min_i32_e32 v1, 31, v3
	v_lshlrev_b32_e32 v1, 2, v1
	v_cmp_eq_u32_e32 vcc, 0, v3
	v_and_b32_e32 v1, 0xfc, v1
	v_and_or_b32 v0, v0, 3, v1
	s_and_b64 vcc, vcc, s[30:31]
	v_cndmask_b32_e64 v0, v0, 0, vcc
	v_or_b32_e32 v0, v0, v2
	v_accvgpr_read_b32 v6, a34
.LBB6_6106:                             ;   in Loop: Header=BB6_5342 Depth=3
	s_or_b64 exec, exec, s[74:75]
.LBB6_6107:                             ;   in Loop: Header=BB6_5342 Depth=3
	s_or_b64 exec, exec, s[72:73]
                                        ; implicit-def: $vgpr1
.LBB6_6108:                             ;   in Loop: Header=BB6_5342 Depth=3
	s_andn2_saveexec_b64 s[30:31], s[34:35]
; %bb.6109:                             ;   in Loop: Header=BB6_5342 Depth=3
	v_or_b32_sdwa v1, v1, s39 dst_sel:DWORD dst_unused:UNUSED_PAD src0_sel:BYTE_3 src1_sel:DWORD
	v_cmp_eq_u64_e32 vcc, 0, v[50:51]
	v_cndmask_b32_e32 v0, v1, v0, vcc
; %bb.6110:                             ;   in Loop: Header=BB6_5342 Depth=3
	s_or_b64 exec, exec, s[30:31]
	v_lshlrev_b32_e32 v1, 16, v14
	v_lshlrev_b32_e32 v2, 8, v13
	v_perm_b32 v1, v12, v1, s82
	v_perm_b32 v2, v2, v32, s9
	v_or_b32_e32 v9, v1, v2
	v_and_b32_e32 v1, 0xff, v30
	v_lshlrev_b32_e32 v3, 8, v29
	v_lshlrev_b32_e32 v2, 24, v31
	;; [unrolled: 1-line block ×3, first 2 shown]
	v_perm_b32 v3, v3, v28, s9
	v_or3_b32 v8, v2, v1, v3
	v_and_b32_e32 v1, 0xff, v34
	v_lshlrev_b32_e32 v3, 8, v33
	v_lshlrev_b32_e32 v2, 24, v35
	;; [unrolled: 1-line block ×3, first 2 shown]
	v_perm_b32 v3, v3, v15, s9
	v_or3_b32 v10, v2, v1, v3
	v_lshlrev_b32_e32 v1, 8, v7
	v_lshlrev_b32_e32 v2, 16, v37
	v_perm_b32 v1, v1, v36, s9
	v_perm_b32 v0, v0, v2, s82
	v_or_b32_e32 v11, v0, v1
	s_mov_b64 s[34:35], 0
	s_mov_b64 s[72:73], -1
.LBB6_6111:                             ;   Parent Loop BB6_47 Depth=1
                                        ;     Parent Loop BB6_3679 Depth=2
                                        ;       Parent Loop BB6_5342 Depth=3
                                        ; =>      This Inner Loop Header: Depth=4
	s_cmp_eq_u32 s34, 0
	s_cselect_b64 s[30:31], -1, 0
	s_cmp_eq_u32 s34, 1
	s_cselect_b64 s[34:35], -1, 0
	v_cndmask_b32_e64 v1, v5, v17, s[34:35]
	v_cndmask_b32_e64 v0, v4, v16, s[34:35]
	global_store_dwordx4 v[0:1], v[8:11], off glc slc
	v_add_co_u32_e32 v0, vcc, 0x400, v0
	v_addc_co_u32_e32 v1, vcc, 0, v1, vcc
	v_cndmask_b32_e64 v17, v17, v1, s[34:35]
	v_cndmask_b32_e64 v16, v16, v0, s[34:35]
	;; [unrolled: 1-line block ×4, first 2 shown]
	s_mov_b64 s[34:35], 1
	s_andn2_b64 vcc, exec, s[72:73]
	s_mov_b64 s[72:73], 0
	s_cbranch_vccz .LBB6_6111
; %bb.6112:                             ;   in Loop: Header=BB6_5342 Depth=3
	v_accvgpr_read_b32 v0, a47
	v_add_co_u32_e32 v18, vcc, v18, v0
	v_accvgpr_read_b32 v1, a48
	v_addc_co_u32_e32 v19, vcc, v19, v1, vcc
	v_add_co_u32_e32 v20, vcc, v20, v0
	v_addc_co_u32_e32 v21, vcc, v21, v1, vcc
	v_accvgpr_read_b32 v0, a38
	v_add_co_u32_e32 v4, vcc, v4, v0
	v_accvgpr_read_b32 v1, a41
	v_addc_co_u32_e32 v5, vcc, v5, v1, vcc
	v_add_co_u32_e32 v16, vcc, v16, v0
	v_addc_co_u32_e32 v17, vcc, v17, v1, vcc
	v_sub_u32_e32 v27, v27, v6
	v_cmp_gt_i32_e32 vcc, 16, v27
	s_or_b64 s[68:69], vcc, s[68:69]
	v_sub_u32_e32 v25, v25, v40
	s_andn2_b64 exec, exec, s[68:69]
	s_cbranch_execnz .LBB6_5342
; %bb.6113:                             ;   in Loop: Header=BB6_3679 Depth=2
	s_or_b64 exec, exec, s[68:69]
.LBB6_6114:                             ;   in Loop: Header=BB6_3679 Depth=2
	s_or_b64 exec, exec, s[66:67]
	v_and_b32_e32 v1, 15, v44
	v_cndmask_b32_e64 v3, v26, v1, s[28:29]
	v_cmp_ne_u32_e32 vcc, 0, v3
	s_mov_b64 s[30:31], 0
	v_mov_b32_e32 v8, 0
                                        ; implicit-def: $vgpr2
                                        ; implicit-def: $vgpr0
	s_and_saveexec_b64 s[34:35], vcc
	s_cbranch_execz .LBB6_6116
; %bb.6115:                             ;   in Loop: Header=BB6_3679 Depth=2
	v_sub_u32_e32 v0, v26, v1
	v_cndmask_b32_e64 v0, 0, v0, s[28:29]
	v_cmp_lt_i32_e32 vcc, 0, v25
	v_add3_u32 v8, v24, v22, v0
	v_cndmask_b32_e32 v0, 0, v40, vcc
	v_sub_u32_e32 v0, v0, v25
	v_lshl_add_u32 v2, v0, 6, v23
	v_ashrrev_i32_e32 v0, 31, v2
	v_lshrrev_b32_e32 v0, 26, v0
	v_add_u32_e32 v0, v2, v0
	s_mov_b64 s[30:31], exec
	v_ashrrev_i32_e32 v0, 6, v0
.LBB6_6116:                             ;   in Loop: Header=BB6_3679 Depth=2
	s_or_b64 exec, exec, s[34:35]
	s_and_b64 s[28:29], s[30:31], exec
.LBB6_6117:                             ;   in Loop: Header=BB6_3679 Depth=2
	s_or_b64 exec, exec, s[64:65]
	v_accvgpr_read_b32 v25, a17
	v_accvgpr_read_b32 v24, a16
	;; [unrolled: 1-line block ×4, first 2 shown]
	s_and_saveexec_b64 s[64:65], s[28:29]
	s_cbranch_execz .LBB6_3751
.LBB6_6118:                             ;   in Loop: Header=BB6_3679 Depth=2
	v_ashrrev_i32_e32 v1, 31, v3
	v_lshrrev_b32_e32 v1, 22, v1
	v_add_u32_e32 v1, v3, v1
	v_ashrrev_i32_e32 v4, 10, v1
	v_sub_u32_e32 v60, v4, v0
	v_ashrrev_i32_e32 v1, 31, v2
	v_cmp_lt_i32_e32 vcc, 0, v60
	v_lshrrev_b32_e32 v1, 26, v1
	s_and_saveexec_b64 s[34:35], vcc
	s_cbranch_execz .LBB6_6954
; %bb.6119:                             ;   in Loop: Header=BB6_3679 Depth=2
	v_accvgpr_write_b32 a51, v4
	s_trap 2
	ds_read_b128 v[4:7], v0
	v_accvgpr_write_b32 a9, v1
	v_add_u32_e32 v1, v2, v1
	v_and_b32_e32 v1, 0xffffffc0, v1
	v_sub_u32_e32 v1, v2, v1
	v_lshlrev_b32_e32 v0, 10, v0
	v_add3_u32 v0, v8, v1, v0
	v_ashrrev_i32_e32 v1, 31, v0
	s_waitcnt lgkmcnt(0)
	v_add_co_u32_e32 v4, vcc, v4, v0
	v_addc_co_u32_e32 v5, vcc, v5, v1, vcc
	v_accvgpr_write_b32 a6, v8
	v_add_co_u32_e32 v8, vcc, v6, v0
	v_accvgpr_write_b32 a14, v58
	v_addc_co_u32_e32 v9, vcc, v7, v1, vcc
	s_bitcmp1_b32 s27, 0
	v_accvgpr_write_b32 a7, v3
	v_accvgpr_write_b32 a11, v44
	;; [unrolled: 1-line block ×7, first 2 shown]
	s_mov_b64 s[66:67], 0
	s_cselect_b64 s[68:69], -1, 0
	v_pk_mov_b32 v[10:11], v[4:5], v[4:5] op_sel:[0,1]
	v_pk_mov_b32 v[12:13], v[8:9], v[8:9] op_sel:[0,1]
	s_branch .LBB6_6121
.LBB6_6120:                             ;   in Loop: Header=BB6_6121 Depth=3
	s_or_b64 exec, exec, s[28:29]
	v_accvgpr_read_b32 v0, a47
	flat_store_byte v[10:11], v41 glc slc
	flat_store_byte v[10:11], v21 offset:64 glc slc
	flat_store_byte v[10:11], v18 offset:128 glc slc
	;; [unrolled: 1-line block ×15, first 2 shown]
	flat_store_byte v[12:13], v41 glc slc
	flat_store_byte v[12:13], v21 offset:64 glc slc
	flat_store_byte v[12:13], v18 offset:128 glc slc
	;; [unrolled: 1-line block ×15, first 2 shown]
	v_add_co_u32_e32 v4, vcc, v4, v0
	v_accvgpr_read_b32 v1, a48
	v_addc_co_u32_e32 v5, vcc, v5, v1, vcc
	v_add_co_u32_e32 v8, vcc, v8, v0
	v_addc_co_u32_e32 v9, vcc, v9, v1, vcc
	v_add_co_u32_e32 v10, vcc, v10, v0
	v_accvgpr_read_b32 v40, a30
	v_addc_co_u32_e32 v11, vcc, v11, v1, vcc
	v_sub_u32_e32 v60, v60, v40
	v_cmp_gt_i32_e32 vcc, 1, v60
	s_or_b64 s[66:67], vcc, s[66:67]
	v_add_co_u32_e32 v12, vcc, v12, v0
	v_addc_co_u32_e32 v13, vcc, v13, v1, vcc
	s_andn2_b64 exec, exec, s[66:67]
	s_cbranch_execz .LBB6_6953
.LBB6_6121:                             ;   Parent Loop BB6_47 Depth=1
                                        ;     Parent Loop BB6_3679 Depth=2
                                        ; =>    This Inner Loop Header: Depth=3
	flat_load_ubyte v3, v[4:5] glc slc
	flat_load_sbyte v20, v[4:5] offset:64 glc slc
	flat_load_sbyte v16, v[4:5] offset:128 glc slc
	;; [unrolled: 1-line block ×15, first 2 shown]
	flat_load_sbyte v40, v[8:9] glc slc
	flat_load_sbyte v22, v[8:9] offset:64 glc slc
	flat_load_sbyte v18, v[8:9] offset:128 glc slc
	;; [unrolled: 1-line block ×15, first 2 shown]
	s_and_b64 vcc, exec, s[68:69]
	s_waitcnt vmcnt(0) lgkmcnt(0)
	v_bfe_i32 v50, v3, 0, 8
	v_and_b32_e32 v1, 0xffff, v3
	v_cmp_ne_u16_e64 s[28:29], 0, v3
	s_cbranch_vccz .LBB6_6139
; %bb.6122:                             ;   in Loop: Header=BB6_6121 Depth=3
	v_mov_b32_e32 v7, 0
	v_mov_b32_e32 v3, 0
	s_and_saveexec_b64 s[30:31], s[28:29]
	s_cbranch_execz .LBB6_6130
; %bb.6123:                             ;   in Loop: Header=BB6_6121 Depth=3
	v_cmp_ne_u16_e32 vcc, s94, v50
	v_bfrev_b32_e32 v3, 1
	s_and_saveexec_b64 s[70:71], vcc
	s_cbranch_execz .LBB6_6129
; %bb.6124:                             ;   in Loop: Header=BB6_6121 Depth=3
	v_and_b32_e32 v3, 0x7c, v1
	v_and_b32_e32 v15, 3, v1
	v_cmp_ne_u32_e32 vcc, s95, v3
                                        ; implicit-def: $vgpr3
	s_and_saveexec_b64 s[72:73], vcc
	s_xor_b64 s[72:73], exec, s[72:73]
	s_cbranch_execz .LBB6_6126
; %bb.6125:                             ;   in Loop: Header=BB6_6121 Depth=3
	v_ffbh_u32_e32 v19, v15
	v_bfe_u32 v3, v1, 2, 5
	v_min_u32_e32 v19, 32, v19
	v_subrev_u32_e32 v21, 29, v19
	v_sub_u32_e32 v19, 30, v19
	v_cmp_eq_u32_e32 vcc, 0, v3
	v_lshlrev_b64 v[24:25], v21, v[50:51]
	v_cndmask_b32_e32 v3, v3, v19, vcc
	v_bfrev_b32_e32 v19, 28
	v_bfe_i32 v17, v50, 0, 16
	v_and_b32_e32 v21, 3, v24
	v_lshl_add_u32 v3, v3, 23, v19
	v_cndmask_b32_e32 v15, v15, v21, vcc
	v_and_or_b32 v3, v17, s96, v3
	v_lshl_or_b32 v3, v15, 21, v3
                                        ; implicit-def: $vgpr15
.LBB6_6126:                             ;   in Loop: Header=BB6_6121 Depth=3
	s_andn2_saveexec_b64 s[72:73], s[72:73]
; %bb.6127:                             ;   in Loop: Header=BB6_6121 Depth=3
	v_cmp_lt_i16_e32 vcc, -1, v50
	v_mov_b32_e32 v3, 0xc7600000
	v_mov_b32_e32 v17, 0x47600000
	v_cndmask_b32_e32 v3, v3, v17, vcc
	v_cmp_eq_u32_e32 vcc, 0, v15
	v_mov_b32_e32 v15, 0x7f800001
	v_cndmask_b32_e32 v3, v15, v3, vcc
; %bb.6128:                             ;   in Loop: Header=BB6_6121 Depth=3
	s_or_b64 exec, exec, s[72:73]
.LBB6_6129:                             ;   in Loop: Header=BB6_6121 Depth=3
	s_or_b64 exec, exec, s[70:71]
.LBB6_6130:                             ;   in Loop: Header=BB6_6121 Depth=3
	s_or_b64 exec, exec, s[30:31]
	v_cmp_ne_u16_e32 vcc, 0, v40
	s_and_saveexec_b64 s[30:31], vcc
	s_cbranch_execz .LBB6_6138
; %bb.6131:                             ;   in Loop: Header=BB6_6121 Depth=3
	v_cmp_ne_u16_e32 vcc, s94, v40
	v_bfrev_b32_e32 v7, 1
	s_and_saveexec_b64 s[70:71], vcc
	s_cbranch_execz .LBB6_6137
; %bb.6132:                             ;   in Loop: Header=BB6_6121 Depth=3
	v_and_b32_e32 v7, 0x7c, v40
	v_and_b32_e32 v15, 3, v40
	v_cmp_ne_u32_e32 vcc, s95, v7
                                        ; implicit-def: $vgpr7
	s_and_saveexec_b64 s[72:73], vcc
	s_xor_b64 s[72:73], exec, s[72:73]
	s_cbranch_execz .LBB6_6134
; %bb.6133:                             ;   in Loop: Header=BB6_6121 Depth=3
	v_and_b32_e32 v7, 0xff, v40
	v_ffbh_u32_e32 v19, v15
	v_bfe_u32 v7, v7, 2, 5
	v_min_u32_e32 v19, 32, v19
	v_mov_b32_e32 v41, v51
	v_subrev_u32_e32 v21, 29, v19
	v_sub_u32_e32 v19, 30, v19
	v_cmp_eq_u32_e32 vcc, 0, v7
	v_lshlrev_b64 v[24:25], v21, v[40:41]
	v_cndmask_b32_e32 v7, v7, v19, vcc
	v_bfrev_b32_e32 v19, 28
	v_bfe_i32 v17, v40, 0, 16
	v_and_b32_e32 v21, 3, v24
	v_lshl_add_u32 v7, v7, 23, v19
	v_cndmask_b32_e32 v15, v15, v21, vcc
	v_and_or_b32 v7, v17, s96, v7
	v_lshl_or_b32 v7, v15, 21, v7
                                        ; implicit-def: $vgpr15
.LBB6_6134:                             ;   in Loop: Header=BB6_6121 Depth=3
	s_andn2_saveexec_b64 s[72:73], s[72:73]
; %bb.6135:                             ;   in Loop: Header=BB6_6121 Depth=3
	v_cmp_lt_i16_e32 vcc, -1, v40
	v_mov_b32_e32 v7, 0xc7600000
	v_mov_b32_e32 v17, 0x47600000
	v_cndmask_b32_e32 v7, v7, v17, vcc
	v_cmp_eq_u32_e32 vcc, 0, v15
	v_mov_b32_e32 v15, 0x7f800001
	v_cndmask_b32_e32 v7, v15, v7, vcc
; %bb.6136:                             ;   in Loop: Header=BB6_6121 Depth=3
	s_or_b64 exec, exec, s[72:73]
.LBB6_6137:                             ;   in Loop: Header=BB6_6121 Depth=3
	s_or_b64 exec, exec, s[70:71]
.LBB6_6138:                             ;   in Loop: Header=BB6_6121 Depth=3
	s_or_b64 exec, exec, s[30:31]
	v_max_f32_e32 v7, v7, v7
	v_max_f32_e32 v3, v3, v3
	;; [unrolled: 1-line block ×3, first 2 shown]
	s_branch .LBB6_6157
.LBB6_6139:                             ;   in Loop: Header=BB6_6121 Depth=3
                                        ; implicit-def: $vgpr3
	s_cbranch_execz .LBB6_6157
; %bb.6140:                             ;   in Loop: Header=BB6_6121 Depth=3
	v_mov_b32_e32 v7, 0
	v_mov_b32_e32 v3, 0
	s_and_saveexec_b64 s[30:31], s[28:29]
	s_cbranch_execz .LBB6_6148
; %bb.6141:                             ;   in Loop: Header=BB6_6121 Depth=3
	v_cmp_ne_u16_e32 vcc, s94, v50
	v_bfrev_b32_e32 v3, 1
	s_and_saveexec_b64 s[28:29], vcc
	s_cbranch_execz .LBB6_6147
; %bb.6142:                             ;   in Loop: Header=BB6_6121 Depth=3
	v_and_b32_e32 v3, 0x7c, v1
	v_and_b32_e32 v15, 3, v1
	v_cmp_ne_u32_e32 vcc, s95, v3
                                        ; implicit-def: $vgpr3
	s_and_saveexec_b64 s[70:71], vcc
	s_xor_b64 s[70:71], exec, s[70:71]
	s_cbranch_execz .LBB6_6144
; %bb.6143:                             ;   in Loop: Header=BB6_6121 Depth=3
	v_ffbh_u32_e32 v17, v15
	v_bfe_u32 v1, v1, 2, 5
	v_min_u32_e32 v17, 32, v17
	v_subrev_u32_e32 v19, 29, v17
	v_sub_u32_e32 v17, 30, v17
	v_cmp_eq_u32_e32 vcc, 0, v1
	v_lshlrev_b64 v[24:25], v19, v[50:51]
	v_cndmask_b32_e32 v1, v1, v17, vcc
	v_bfrev_b32_e32 v17, 28
	v_bfe_i32 v3, v50, 0, 16
	v_and_b32_e32 v19, 3, v24
	v_lshl_add_u32 v1, v1, 23, v17
	v_cndmask_b32_e32 v15, v15, v19, vcc
	v_and_or_b32 v1, v3, s96, v1
	v_lshl_or_b32 v3, v15, 21, v1
                                        ; implicit-def: $vgpr15
.LBB6_6144:                             ;   in Loop: Header=BB6_6121 Depth=3
	s_andn2_saveexec_b64 s[70:71], s[70:71]
; %bb.6145:                             ;   in Loop: Header=BB6_6121 Depth=3
	v_cmp_lt_i16_e32 vcc, -1, v50
	v_mov_b32_e32 v1, 0xc7600000
	v_mov_b32_e32 v3, 0x47600000
	v_cndmask_b32_e32 v1, v1, v3, vcc
	v_cmp_eq_u32_e32 vcc, 0, v15
	v_mov_b32_e32 v3, 0x7f800001
	v_cndmask_b32_e32 v3, v3, v1, vcc
; %bb.6146:                             ;   in Loop: Header=BB6_6121 Depth=3
	s_or_b64 exec, exec, s[70:71]
.LBB6_6147:                             ;   in Loop: Header=BB6_6121 Depth=3
	s_or_b64 exec, exec, s[28:29]
.LBB6_6148:                             ;   in Loop: Header=BB6_6121 Depth=3
	s_or_b64 exec, exec, s[30:31]
	v_cmp_ne_u16_e32 vcc, 0, v40
	s_and_saveexec_b64 s[28:29], vcc
	s_cbranch_execz .LBB6_6156
; %bb.6149:                             ;   in Loop: Header=BB6_6121 Depth=3
	v_cmp_ne_u16_e32 vcc, s94, v40
	v_bfrev_b32_e32 v7, 1
	s_and_saveexec_b64 s[30:31], vcc
	s_cbranch_execz .LBB6_6155
; %bb.6150:                             ;   in Loop: Header=BB6_6121 Depth=3
	v_and_b32_e32 v7, 0x7c, v40
	v_and_b32_e32 v1, 3, v40
	v_cmp_ne_u32_e32 vcc, s95, v7
                                        ; implicit-def: $vgpr7
	s_and_saveexec_b64 s[70:71], vcc
	s_xor_b64 s[70:71], exec, s[70:71]
	s_cbranch_execz .LBB6_6152
; %bb.6151:                             ;   in Loop: Header=BB6_6121 Depth=3
	v_and_b32_e32 v7, 0xff, v40
	v_ffbh_u32_e32 v17, v1
	v_bfe_u32 v7, v7, 2, 5
	v_min_u32_e32 v17, 32, v17
	v_mov_b32_e32 v41, v51
	v_subrev_u32_e32 v19, 29, v17
	v_sub_u32_e32 v17, 30, v17
	v_cmp_eq_u32_e32 vcc, 0, v7
	v_lshlrev_b64 v[24:25], v19, v[40:41]
	v_cndmask_b32_e32 v7, v7, v17, vcc
	v_bfrev_b32_e32 v17, 28
	v_bfe_i32 v15, v40, 0, 16
	v_and_b32_e32 v19, 3, v24
	v_lshl_add_u32 v7, v7, 23, v17
	v_cndmask_b32_e32 v1, v1, v19, vcc
	v_and_or_b32 v7, v15, s96, v7
	v_lshl_or_b32 v7, v1, 21, v7
                                        ; implicit-def: $vgpr1
                                        ; implicit-def: $vgpr40
.LBB6_6152:                             ;   in Loop: Header=BB6_6121 Depth=3
	s_andn2_saveexec_b64 s[70:71], s[70:71]
; %bb.6153:                             ;   in Loop: Header=BB6_6121 Depth=3
	v_cmp_lt_i16_e32 vcc, -1, v40
	v_mov_b32_e32 v7, 0xc7600000
	v_mov_b32_e32 v15, 0x47600000
	v_cndmask_b32_e32 v7, v7, v15, vcc
	v_cmp_eq_u32_e32 vcc, 0, v1
	v_mov_b32_e32 v1, 0x7f800001
	v_cndmask_b32_e32 v7, v1, v7, vcc
; %bb.6154:                             ;   in Loop: Header=BB6_6121 Depth=3
	s_or_b64 exec, exec, s[70:71]
.LBB6_6155:                             ;   in Loop: Header=BB6_6121 Depth=3
	s_or_b64 exec, exec, s[30:31]
.LBB6_6156:                             ;   in Loop: Header=BB6_6121 Depth=3
	s_or_b64 exec, exec, s[28:29]
	v_max_f32_e32 v1, v7, v7
	v_max_f32_e32 v3, v3, v3
	v_min_f32_e32 v3, v3, v1
.LBB6_6157:                             ;   in Loop: Header=BB6_6121 Depth=3
	v_and_b32_sdwa v1, v3, s97 dst_sel:DWORD dst_unused:UNUSED_PAD src0_sel:BYTE_3 src1_sel:DWORD
	v_and_b32_e32 v24, 0x7f800000, v3
	v_mov_b32_e32 v25, v51
	v_and_b32_e32 v50, 0x7fffff, v3
	v_or_b32_e32 v41, 0x7b, v1
	v_cmp_ne_u64_e32 vcc, s[52:53], v[24:25]
	s_and_saveexec_b64 s[28:29], vcc
	s_xor_b64 s[30:31], exec, s[28:29]
	s_cbranch_execz .LBB6_6171
; %bb.6158:                             ;   in Loop: Header=BB6_6121 Depth=3
	v_and_b32_e32 v24, 0x7fffffff, v3
	v_mov_b32_e32 v25, v51
	v_cmp_gt_u64_e32 vcc, s[54:55], v[24:25]
	s_and_saveexec_b64 s[28:29], vcc
	s_xor_b64 s[70:71], exec, s[28:29]
	s_cbranch_execz .LBB6_6170
; %bb.6159:                             ;   in Loop: Header=BB6_6121 Depth=3
	v_cmp_ne_u32_e32 vcc, 0, v3
	v_mov_b32_e32 v41, 0
	s_and_saveexec_b64 s[72:73], vcc
	s_cbranch_execz .LBB6_6169
; %bb.6160:                             ;   in Loop: Header=BB6_6121 Depth=3
	v_bfe_u32 v3, v3, 23, 8
	v_cmp_eq_u32_e32 vcc, 0, v3
	v_add_u32_e32 v7, 0xffffff81, v3
	v_cmp_gt_u32_e64 s[28:29], s38, v3
	v_sub_u32_e32 v3, 0x71, v3
	v_mov_b32_e32 v17, 0xffffff82
	v_cndmask_b32_e64 v3, 0, v3, s[28:29]
	v_cndmask_b32_e32 v7, v7, v17, vcc
	v_mov_b32_e32 v17, 0x70
	v_or_b32_e32 v15, 0x800000, v50
	v_cndmask_b32_e32 v3, v3, v17, vcc
	v_cndmask_b32_e32 v50, v15, v50, vcc
	v_add_u32_e32 v15, 21, v3
	v_lshlrev_b64 v[24:25], v15, -1
	v_not_b32_e32 v15, v25
	v_not_b32_e32 v17, v24
	v_and_b32_e32 v25, 0, v15
	v_add_u32_e32 v15, 20, v3
	v_and_b32_e32 v24, v50, v17
	v_lshlrev_b64 v[40:41], v15, 1
	v_cmp_eq_u64_e32 vcc, v[24:25], v[40:41]
	v_lshrrev_b64 v[24:25], v3, v[50:51]
	v_lshrrev_b32_e32 v15, 23, v24
	v_add3_u32 v15, v3, v7, v15
	v_bfe_u32 v3, v24, 21, 1
	v_add_u32_e32 v3, -1, v3
	v_cndmask_b32_e32 v3, 0, v3, vcc
	v_add_u32_e32 v3, v3, v24
	v_and_b32_e32 v3, 0x1fffff, v3
	v_add_co_u32_e32 v40, vcc, v3, v24
	v_add_u32_e32 v7, 14, v15
	v_addc_co_u32_e32 v41, vcc, 0, v25, vcc
	v_cmp_ne_u32_e32 vcc, 0, v7
                                        ; implicit-def: $vgpr3
	s_and_saveexec_b64 s[28:29], vcc
	s_xor_b64 s[28:29], exec, s[28:29]
; %bb.6161:                             ;   in Loop: Header=BB6_6121 Depth=3
	v_add_u32_e32 v3, 15, v15
	v_cmp_lt_u64_e32 vcc, s[56:57], v[40:41]
	v_cndmask_b32_e32 v3, v7, v3, vcc
	v_cndmask_b32_e64 v7, 0, 1, vcc
	v_lshrrev_b64 v[40:41], v7, v[40:41]
; %bb.6162:                             ;   in Loop: Header=BB6_6121 Depth=3
	s_andn2_saveexec_b64 s[28:29], s[28:29]
; %bb.6163:                             ;   in Loop: Header=BB6_6121 Depth=3
	v_bfe_u32 v3, v40, 23, 1
; %bb.6164:                             ;   in Loop: Header=BB6_6121 Depth=3
	s_or_b64 exec, exec, s[28:29]
	v_lshrrev_b64 v[24:25], 21, v[40:41]
	v_cmp_gt_i32_e32 vcc, 32, v3
	v_cndmask_b32_e32 v41, 0, v25, vcc
	v_cndmask_b32_e32 v40, 3, v24, vcc
	v_cmp_ne_u32_e32 vcc, 0, v3
	v_cmp_ne_u64_e64 s[28:29], 0, v[40:41]
	s_or_b64 s[28:29], vcc, s[28:29]
                                        ; implicit-def: $vgpr41
	s_and_saveexec_b64 vcc, s[28:29]
	s_xor_b64 s[28:29], exec, vcc
; %bb.6165:                             ;   in Loop: Header=BB6_6121 Depth=3
	v_min_i32_e32 v3, 31, v3
	v_lshl_or_b32 v1, v3, 2, v1
	v_and_or_b32 v41, v40, 3, v1
                                        ; implicit-def: $vgpr1
; %bb.6166:                             ;   in Loop: Header=BB6_6121 Depth=3
	s_andn2_saveexec_b64 s[28:29], s[28:29]
; %bb.6167:                             ;   in Loop: Header=BB6_6121 Depth=3
	v_mov_b32_e32 v41, v1
; %bb.6168:                             ;   in Loop: Header=BB6_6121 Depth=3
	s_or_b64 exec, exec, s[28:29]
.LBB6_6169:                             ;   in Loop: Header=BB6_6121 Depth=3
	s_or_b64 exec, exec, s[72:73]
.LBB6_6170:                             ;   in Loop: Header=BB6_6121 Depth=3
	s_andn2_saveexec_b64 s[28:29], s[70:71]
	s_or_b64 exec, exec, s[28:29]
                                        ; implicit-def: $vgpr3
.LBB6_6171:                             ;   in Loop: Header=BB6_6121 Depth=3
	s_andn2_saveexec_b64 s[28:29], s[30:31]
; %bb.6172:                             ;   in Loop: Header=BB6_6121 Depth=3
	v_or_b32_sdwa v1, v3, s39 dst_sel:DWORD dst_unused:UNUSED_PAD src0_sel:BYTE_3 src1_sel:DWORD
	v_cmp_eq_u64_e32 vcc, 0, v[50:51]
	v_cndmask_b32_e32 v41, v1, v41, vcc
; %bb.6173:                             ;   in Loop: Header=BB6_6121 Depth=3
	s_or_b64 exec, exec, s[28:29]
	v_cndmask_b32_e64 v3, 0, 1, s[68:69]
	v_and_b32_e32 v1, 0xff, v20
	v_cmp_ne_u32_e64 s[28:29], 1, v3
	s_andn2_b64 vcc, exec, s[68:69]
	v_cmp_ne_u16_e64 s[30:31], 0, v20
	s_cbranch_vccnz .LBB6_6191
; %bb.6174:                             ;   in Loop: Header=BB6_6121 Depth=3
	v_mov_b32_e32 v7, 0
	v_mov_b32_e32 v3, 0
	s_and_saveexec_b64 s[70:71], s[30:31]
	s_cbranch_execz .LBB6_6182
; %bb.6175:                             ;   in Loop: Header=BB6_6121 Depth=3
	v_cmp_ne_u16_e32 vcc, s94, v20
	v_bfrev_b32_e32 v3, 1
	s_and_saveexec_b64 s[72:73], vcc
	s_cbranch_execz .LBB6_6181
; %bb.6176:                             ;   in Loop: Header=BB6_6121 Depth=3
	v_and_b32_e32 v3, 0x7c, v1
	v_and_b32_e32 v15, 3, v1
	v_cmp_ne_u32_e32 vcc, s95, v3
                                        ; implicit-def: $vgpr3
	s_and_saveexec_b64 s[74:75], vcc
	s_xor_b64 s[74:75], exec, s[74:75]
	s_cbranch_execz .LBB6_6178
; %bb.6177:                             ;   in Loop: Header=BB6_6121 Depth=3
	v_ffbh_u32_e32 v19, v15
	v_bfe_u32 v3, v1, 2, 5
	v_min_u32_e32 v19, 32, v19
	v_mov_b32_e32 v21, v51
	v_subrev_u32_e32 v23, 29, v19
	v_sub_u32_e32 v19, 30, v19
	v_cmp_eq_u32_e32 vcc, 0, v3
	v_lshlrev_b64 v[24:25], v23, v[20:21]
	v_cndmask_b32_e32 v3, v3, v19, vcc
	v_bfrev_b32_e32 v19, 28
	v_bfe_i32 v17, v20, 0, 16
	v_and_b32_e32 v21, 3, v24
	v_lshl_add_u32 v3, v3, 23, v19
	v_cndmask_b32_e32 v15, v15, v21, vcc
	v_and_or_b32 v3, v17, s96, v3
	v_lshl_or_b32 v3, v15, 21, v3
                                        ; implicit-def: $vgpr15
.LBB6_6178:                             ;   in Loop: Header=BB6_6121 Depth=3
	s_andn2_saveexec_b64 s[74:75], s[74:75]
; %bb.6179:                             ;   in Loop: Header=BB6_6121 Depth=3
	v_cmp_lt_i16_e32 vcc, -1, v20
	v_mov_b32_e32 v3, 0xc7600000
	v_mov_b32_e32 v17, 0x47600000
	v_cndmask_b32_e32 v3, v3, v17, vcc
	v_cmp_eq_u32_e32 vcc, 0, v15
	v_mov_b32_e32 v15, 0x7f800001
	v_cndmask_b32_e32 v3, v15, v3, vcc
; %bb.6180:                             ;   in Loop: Header=BB6_6121 Depth=3
	s_or_b64 exec, exec, s[74:75]
.LBB6_6181:                             ;   in Loop: Header=BB6_6121 Depth=3
	s_or_b64 exec, exec, s[72:73]
.LBB6_6182:                             ;   in Loop: Header=BB6_6121 Depth=3
	s_or_b64 exec, exec, s[70:71]
	v_cmp_ne_u16_e32 vcc, 0, v22
	s_and_saveexec_b64 s[70:71], vcc
	s_cbranch_execz .LBB6_6190
; %bb.6183:                             ;   in Loop: Header=BB6_6121 Depth=3
	v_cmp_ne_u16_e32 vcc, s94, v22
	v_bfrev_b32_e32 v7, 1
	s_and_saveexec_b64 s[72:73], vcc
	s_cbranch_execz .LBB6_6189
; %bb.6184:                             ;   in Loop: Header=BB6_6121 Depth=3
	v_and_b32_e32 v7, 0x7c, v22
	v_and_b32_e32 v15, 3, v22
	v_cmp_ne_u32_e32 vcc, s95, v7
                                        ; implicit-def: $vgpr7
	s_and_saveexec_b64 s[74:75], vcc
	s_xor_b64 s[74:75], exec, s[74:75]
	s_cbranch_execz .LBB6_6186
; %bb.6185:                             ;   in Loop: Header=BB6_6121 Depth=3
	v_and_b32_e32 v7, 0xff, v22
	v_ffbh_u32_e32 v19, v15
	v_bfe_u32 v7, v7, 2, 5
	v_min_u32_e32 v19, 32, v19
	v_mov_b32_e32 v23, v51
	v_subrev_u32_e32 v21, 29, v19
	v_sub_u32_e32 v19, 30, v19
	v_cmp_eq_u32_e32 vcc, 0, v7
	v_lshlrev_b64 v[24:25], v21, v[22:23]
	v_cndmask_b32_e32 v7, v7, v19, vcc
	v_bfrev_b32_e32 v19, 28
	v_bfe_i32 v17, v22, 0, 16
	v_and_b32_e32 v21, 3, v24
	v_lshl_add_u32 v7, v7, 23, v19
	v_cndmask_b32_e32 v15, v15, v21, vcc
	v_and_or_b32 v7, v17, s96, v7
	v_lshl_or_b32 v7, v15, 21, v7
                                        ; implicit-def: $vgpr15
.LBB6_6186:                             ;   in Loop: Header=BB6_6121 Depth=3
	s_andn2_saveexec_b64 s[74:75], s[74:75]
; %bb.6187:                             ;   in Loop: Header=BB6_6121 Depth=3
	v_cmp_lt_i16_e32 vcc, -1, v22
	v_mov_b32_e32 v7, 0xc7600000
	v_mov_b32_e32 v17, 0x47600000
	v_cndmask_b32_e32 v7, v7, v17, vcc
	v_cmp_eq_u32_e32 vcc, 0, v15
	v_mov_b32_e32 v15, 0x7f800001
	v_cndmask_b32_e32 v7, v15, v7, vcc
; %bb.6188:                             ;   in Loop: Header=BB6_6121 Depth=3
	s_or_b64 exec, exec, s[74:75]
.LBB6_6189:                             ;   in Loop: Header=BB6_6121 Depth=3
	s_or_b64 exec, exec, s[72:73]
.LBB6_6190:                             ;   in Loop: Header=BB6_6121 Depth=3
	s_or_b64 exec, exec, s[70:71]
	v_max_f32_e32 v7, v7, v7
	v_max_f32_e32 v3, v3, v3
	;; [unrolled: 1-line block ×3, first 2 shown]
	s_branch .LBB6_6209
.LBB6_6191:                             ;   in Loop: Header=BB6_6121 Depth=3
                                        ; implicit-def: $vgpr3
	s_cbranch_execz .LBB6_6209
; %bb.6192:                             ;   in Loop: Header=BB6_6121 Depth=3
	v_mov_b32_e32 v7, 0
	v_mov_b32_e32 v3, 0
	s_and_saveexec_b64 s[70:71], s[30:31]
	s_cbranch_execz .LBB6_6200
; %bb.6193:                             ;   in Loop: Header=BB6_6121 Depth=3
	v_cmp_ne_u16_e32 vcc, s94, v20
	v_bfrev_b32_e32 v3, 1
	s_and_saveexec_b64 s[30:31], vcc
	s_cbranch_execz .LBB6_6199
; %bb.6194:                             ;   in Loop: Header=BB6_6121 Depth=3
	v_and_b32_e32 v3, 0x7c, v1
	v_and_b32_e32 v15, 3, v1
	v_cmp_ne_u32_e32 vcc, s95, v3
                                        ; implicit-def: $vgpr3
	s_and_saveexec_b64 s[72:73], vcc
	s_xor_b64 s[72:73], exec, s[72:73]
	s_cbranch_execz .LBB6_6196
; %bb.6195:                             ;   in Loop: Header=BB6_6121 Depth=3
	v_ffbh_u32_e32 v17, v15
	v_bfe_u32 v1, v1, 2, 5
	v_min_u32_e32 v17, 32, v17
	v_mov_b32_e32 v21, v51
	v_subrev_u32_e32 v19, 29, v17
	v_sub_u32_e32 v17, 30, v17
	v_cmp_eq_u32_e32 vcc, 0, v1
	v_bfe_i32 v3, v20, 0, 16
	v_lshlrev_b64 v[20:21], v19, v[20:21]
	v_cndmask_b32_e32 v1, v1, v17, vcc
	v_bfrev_b32_e32 v17, 28
	v_and_b32_e32 v19, 3, v20
	v_lshl_add_u32 v1, v1, 23, v17
	v_cndmask_b32_e32 v15, v15, v19, vcc
	v_and_or_b32 v1, v3, s96, v1
	v_lshl_or_b32 v3, v15, 21, v1
                                        ; implicit-def: $vgpr15
                                        ; implicit-def: $vgpr20
.LBB6_6196:                             ;   in Loop: Header=BB6_6121 Depth=3
	s_andn2_saveexec_b64 s[72:73], s[72:73]
; %bb.6197:                             ;   in Loop: Header=BB6_6121 Depth=3
	v_cmp_lt_i16_e32 vcc, -1, v20
	v_mov_b32_e32 v1, 0xc7600000
	v_mov_b32_e32 v3, 0x47600000
	v_cndmask_b32_e32 v1, v1, v3, vcc
	v_cmp_eq_u32_e32 vcc, 0, v15
	v_mov_b32_e32 v3, 0x7f800001
	v_cndmask_b32_e32 v3, v3, v1, vcc
; %bb.6198:                             ;   in Loop: Header=BB6_6121 Depth=3
	s_or_b64 exec, exec, s[72:73]
.LBB6_6199:                             ;   in Loop: Header=BB6_6121 Depth=3
	s_or_b64 exec, exec, s[30:31]
.LBB6_6200:                             ;   in Loop: Header=BB6_6121 Depth=3
	s_or_b64 exec, exec, s[70:71]
	v_cmp_ne_u16_e32 vcc, 0, v22
	s_and_saveexec_b64 s[30:31], vcc
	s_cbranch_execz .LBB6_6208
; %bb.6201:                             ;   in Loop: Header=BB6_6121 Depth=3
	v_cmp_ne_u16_e32 vcc, s94, v22
	v_bfrev_b32_e32 v7, 1
	s_and_saveexec_b64 s[70:71], vcc
	s_cbranch_execz .LBB6_6207
; %bb.6202:                             ;   in Loop: Header=BB6_6121 Depth=3
	v_and_b32_e32 v7, 0x7c, v22
	v_and_b32_e32 v1, 3, v22
	v_cmp_ne_u32_e32 vcc, s95, v7
                                        ; implicit-def: $vgpr7
	s_and_saveexec_b64 s[72:73], vcc
	s_xor_b64 s[72:73], exec, s[72:73]
	s_cbranch_execz .LBB6_6204
; %bb.6203:                             ;   in Loop: Header=BB6_6121 Depth=3
	v_and_b32_e32 v7, 0xff, v22
	v_ffbh_u32_e32 v17, v1
	v_bfe_u32 v7, v7, 2, 5
	v_min_u32_e32 v17, 32, v17
	v_mov_b32_e32 v23, v51
	v_subrev_u32_e32 v19, 29, v17
	v_sub_u32_e32 v17, 30, v17
	v_cmp_eq_u32_e32 vcc, 0, v7
	v_lshlrev_b64 v[20:21], v19, v[22:23]
	v_cndmask_b32_e32 v7, v7, v17, vcc
	v_bfrev_b32_e32 v17, 28
	v_bfe_i32 v15, v22, 0, 16
	v_and_b32_e32 v19, 3, v20
	v_lshl_add_u32 v7, v7, 23, v17
	v_cndmask_b32_e32 v1, v1, v19, vcc
	v_and_or_b32 v7, v15, s96, v7
	v_lshl_or_b32 v7, v1, 21, v7
                                        ; implicit-def: $vgpr1
                                        ; implicit-def: $vgpr22
.LBB6_6204:                             ;   in Loop: Header=BB6_6121 Depth=3
	s_andn2_saveexec_b64 s[72:73], s[72:73]
; %bb.6205:                             ;   in Loop: Header=BB6_6121 Depth=3
	v_cmp_lt_i16_e32 vcc, -1, v22
	v_mov_b32_e32 v7, 0xc7600000
	v_mov_b32_e32 v15, 0x47600000
	v_cndmask_b32_e32 v7, v7, v15, vcc
	v_cmp_eq_u32_e32 vcc, 0, v1
	v_mov_b32_e32 v1, 0x7f800001
	v_cndmask_b32_e32 v7, v1, v7, vcc
; %bb.6206:                             ;   in Loop: Header=BB6_6121 Depth=3
	s_or_b64 exec, exec, s[72:73]
.LBB6_6207:                             ;   in Loop: Header=BB6_6121 Depth=3
	s_or_b64 exec, exec, s[70:71]
.LBB6_6208:                             ;   in Loop: Header=BB6_6121 Depth=3
	s_or_b64 exec, exec, s[30:31]
	v_max_f32_e32 v1, v7, v7
	v_max_f32_e32 v3, v3, v3
	v_min_f32_e32 v3, v3, v1
.LBB6_6209:                             ;   in Loop: Header=BB6_6121 Depth=3
	v_and_b32_sdwa v1, v3, s97 dst_sel:DWORD dst_unused:UNUSED_PAD src0_sel:BYTE_3 src1_sel:DWORD
	v_and_b32_e32 v22, 0x7f800000, v3
	v_mov_b32_e32 v23, v51
	v_and_b32_e32 v50, 0x7fffff, v3
	v_or_b32_e32 v21, 0x7b, v1
	v_cmp_ne_u64_e32 vcc, s[52:53], v[22:23]
	s_and_saveexec_b64 s[30:31], vcc
	s_xor_b64 s[70:71], exec, s[30:31]
	s_cbranch_execz .LBB6_6223
; %bb.6210:                             ;   in Loop: Header=BB6_6121 Depth=3
	v_and_b32_e32 v22, 0x7fffffff, v3
	v_mov_b32_e32 v23, v51
	v_cmp_gt_u64_e32 vcc, s[54:55], v[22:23]
	s_and_saveexec_b64 s[30:31], vcc
	s_xor_b64 s[72:73], exec, s[30:31]
	s_cbranch_execz .LBB6_6222
; %bb.6211:                             ;   in Loop: Header=BB6_6121 Depth=3
	v_cmp_ne_u32_e32 vcc, 0, v3
	v_mov_b32_e32 v21, 0
	s_and_saveexec_b64 s[74:75], vcc
	s_cbranch_execz .LBB6_6221
; %bb.6212:                             ;   in Loop: Header=BB6_6121 Depth=3
	v_bfe_u32 v3, v3, 23, 8
	v_cmp_eq_u32_e32 vcc, 0, v3
	v_add_u32_e32 v7, 0xffffff81, v3
	v_cmp_gt_u32_e64 s[30:31], s38, v3
	v_sub_u32_e32 v3, 0x71, v3
	v_mov_b32_e32 v17, 0xffffff82
	v_cndmask_b32_e64 v3, 0, v3, s[30:31]
	v_cndmask_b32_e32 v7, v7, v17, vcc
	v_mov_b32_e32 v17, 0x70
	v_or_b32_e32 v15, 0x800000, v50
	v_cndmask_b32_e32 v3, v3, v17, vcc
	v_cndmask_b32_e32 v50, v15, v50, vcc
	v_add_u32_e32 v15, 21, v3
	v_lshlrev_b64 v[20:21], v15, -1
	v_not_b32_e32 v15, v21
	v_not_b32_e32 v17, v20
	v_and_b32_e32 v21, 0, v15
	v_add_u32_e32 v15, 20, v3
	v_and_b32_e32 v20, v50, v17
	v_lshlrev_b64 v[22:23], v15, 1
	v_cmp_eq_u64_e32 vcc, v[20:21], v[22:23]
	v_lshrrev_b64 v[20:21], v3, v[50:51]
	v_lshrrev_b32_e32 v15, 23, v20
	v_add3_u32 v15, v3, v7, v15
	v_bfe_u32 v3, v20, 21, 1
	v_add_u32_e32 v3, -1, v3
	v_cndmask_b32_e32 v3, 0, v3, vcc
	v_add_u32_e32 v3, v3, v20
	v_and_b32_e32 v3, 0x1fffff, v3
	v_add_co_u32_e32 v20, vcc, v3, v20
	v_add_u32_e32 v7, 14, v15
	v_addc_co_u32_e32 v21, vcc, 0, v21, vcc
	v_cmp_ne_u32_e32 vcc, 0, v7
                                        ; implicit-def: $vgpr3
	s_and_saveexec_b64 s[30:31], vcc
	s_xor_b64 s[30:31], exec, s[30:31]
; %bb.6213:                             ;   in Loop: Header=BB6_6121 Depth=3
	v_add_u32_e32 v3, 15, v15
	v_cmp_lt_u64_e32 vcc, s[56:57], v[20:21]
	v_cndmask_b32_e32 v3, v7, v3, vcc
	v_cndmask_b32_e64 v7, 0, 1, vcc
	v_lshrrev_b64 v[20:21], v7, v[20:21]
; %bb.6214:                             ;   in Loop: Header=BB6_6121 Depth=3
	s_andn2_saveexec_b64 vcc, s[30:31]
; %bb.6215:                             ;   in Loop: Header=BB6_6121 Depth=3
	v_bfe_u32 v3, v20, 23, 1
; %bb.6216:                             ;   in Loop: Header=BB6_6121 Depth=3
	s_or_b64 exec, exec, vcc
	v_lshrrev_b64 v[20:21], 21, v[20:21]
	v_cmp_gt_i32_e32 vcc, 32, v3
	v_cndmask_b32_e32 v21, 0, v21, vcc
	v_cndmask_b32_e32 v20, 3, v20, vcc
	v_cmp_ne_u32_e32 vcc, 0, v3
	v_cmp_ne_u64_e64 s[30:31], 0, v[20:21]
	s_or_b64 vcc, vcc, s[30:31]
                                        ; implicit-def: $vgpr21
	s_and_saveexec_b64 s[30:31], vcc
	s_xor_b64 vcc, exec, s[30:31]
; %bb.6217:                             ;   in Loop: Header=BB6_6121 Depth=3
	v_min_i32_e32 v3, 31, v3
	v_lshl_or_b32 v1, v3, 2, v1
	v_and_or_b32 v21, v20, 3, v1
                                        ; implicit-def: $vgpr1
; %bb.6218:                             ;   in Loop: Header=BB6_6121 Depth=3
	s_andn2_saveexec_b64 vcc, vcc
; %bb.6219:                             ;   in Loop: Header=BB6_6121 Depth=3
	v_mov_b32_e32 v21, v1
; %bb.6220:                             ;   in Loop: Header=BB6_6121 Depth=3
	s_or_b64 exec, exec, vcc
.LBB6_6221:                             ;   in Loop: Header=BB6_6121 Depth=3
	s_or_b64 exec, exec, s[74:75]
.LBB6_6222:                             ;   in Loop: Header=BB6_6121 Depth=3
	s_andn2_saveexec_b64 vcc, s[72:73]
	s_or_b64 exec, exec, vcc
                                        ; implicit-def: $vgpr3
.LBB6_6223:                             ;   in Loop: Header=BB6_6121 Depth=3
	s_andn2_saveexec_b64 s[30:31], s[70:71]
; %bb.6224:                             ;   in Loop: Header=BB6_6121 Depth=3
	v_or_b32_sdwa v1, v3, s39 dst_sel:DWORD dst_unused:UNUSED_PAD src0_sel:BYTE_3 src1_sel:DWORD
	v_cmp_eq_u64_e32 vcc, 0, v[50:51]
	v_cndmask_b32_e32 v21, v1, v21, vcc
; %bb.6225:                             ;   in Loop: Header=BB6_6121 Depth=3
	s_or_b64 exec, exec, s[30:31]
	v_and_b32_e32 v1, 0xff, v16
	s_and_b64 vcc, exec, s[28:29]
	v_cmp_ne_u16_e64 s[30:31], 0, v16
	s_cbranch_vccnz .LBB6_6243
; %bb.6226:                             ;   in Loop: Header=BB6_6121 Depth=3
	v_mov_b32_e32 v7, 0
	v_mov_b32_e32 v3, 0
	s_and_saveexec_b64 s[70:71], s[30:31]
	s_cbranch_execz .LBB6_6234
; %bb.6227:                             ;   in Loop: Header=BB6_6121 Depth=3
	v_cmp_ne_u16_e32 vcc, s94, v16
	v_bfrev_b32_e32 v3, 1
	s_and_saveexec_b64 s[72:73], vcc
	s_cbranch_execz .LBB6_6233
; %bb.6228:                             ;   in Loop: Header=BB6_6121 Depth=3
	v_and_b32_e32 v3, 0x7c, v1
	v_and_b32_e32 v15, 3, v1
	v_cmp_ne_u32_e32 vcc, s95, v3
                                        ; implicit-def: $vgpr3
	s_and_saveexec_b64 s[74:75], vcc
	s_xor_b64 s[74:75], exec, s[74:75]
	s_cbranch_execz .LBB6_6230
; %bb.6229:                             ;   in Loop: Header=BB6_6121 Depth=3
	v_ffbh_u32_e32 v20, v15
	v_min_u32_e32 v20, 32, v20
	v_mov_b32_e32 v17, v51
	v_bfe_u32 v3, v1, 2, 5
	v_subrev_u32_e32 v22, 29, v20
	v_lshlrev_b64 v[22:23], v22, v[16:17]
	v_sub_u32_e32 v17, 30, v20
	v_cmp_eq_u32_e32 vcc, 0, v3
	v_cndmask_b32_e32 v3, v3, v17, vcc
	v_bfrev_b32_e32 v17, 28
	v_bfe_i32 v19, v16, 0, 16
	v_and_b32_e32 v20, 3, v22
	v_lshl_add_u32 v3, v3, 23, v17
	v_cndmask_b32_e32 v15, v15, v20, vcc
	v_and_or_b32 v3, v19, s96, v3
	v_lshl_or_b32 v3, v15, 21, v3
                                        ; implicit-def: $vgpr15
.LBB6_6230:                             ;   in Loop: Header=BB6_6121 Depth=3
	s_andn2_saveexec_b64 s[74:75], s[74:75]
; %bb.6231:                             ;   in Loop: Header=BB6_6121 Depth=3
	v_cmp_lt_i16_e32 vcc, -1, v16
	v_mov_b32_e32 v3, 0xc7600000
	v_mov_b32_e32 v17, 0x47600000
	v_cndmask_b32_e32 v3, v3, v17, vcc
	v_cmp_eq_u32_e32 vcc, 0, v15
	v_mov_b32_e32 v15, 0x7f800001
	v_cndmask_b32_e32 v3, v15, v3, vcc
; %bb.6232:                             ;   in Loop: Header=BB6_6121 Depth=3
	s_or_b64 exec, exec, s[74:75]
.LBB6_6233:                             ;   in Loop: Header=BB6_6121 Depth=3
	s_or_b64 exec, exec, s[72:73]
.LBB6_6234:                             ;   in Loop: Header=BB6_6121 Depth=3
	s_or_b64 exec, exec, s[70:71]
	v_cmp_ne_u16_e32 vcc, 0, v18
	s_and_saveexec_b64 s[70:71], vcc
	s_cbranch_execz .LBB6_6242
; %bb.6235:                             ;   in Loop: Header=BB6_6121 Depth=3
	v_cmp_ne_u16_e32 vcc, s94, v18
	v_bfrev_b32_e32 v7, 1
	s_and_saveexec_b64 s[72:73], vcc
	s_cbranch_execz .LBB6_6241
; %bb.6236:                             ;   in Loop: Header=BB6_6121 Depth=3
	v_and_b32_e32 v7, 0x7c, v18
	v_and_b32_e32 v15, 3, v18
	v_cmp_ne_u32_e32 vcc, s95, v7
                                        ; implicit-def: $vgpr7
	s_and_saveexec_b64 s[74:75], vcc
	s_xor_b64 s[74:75], exec, s[74:75]
	s_cbranch_execz .LBB6_6238
; %bb.6237:                             ;   in Loop: Header=BB6_6121 Depth=3
	v_ffbh_u32_e32 v20, v15
	v_and_b32_e32 v7, 0xff, v18
	v_min_u32_e32 v20, 32, v20
	v_mov_b32_e32 v19, v51
	v_bfe_u32 v7, v7, 2, 5
	v_subrev_u32_e32 v22, 29, v20
	v_lshlrev_b64 v[22:23], v22, v[18:19]
	v_sub_u32_e32 v19, 30, v20
	v_cmp_eq_u32_e32 vcc, 0, v7
	v_cndmask_b32_e32 v7, v7, v19, vcc
	v_bfrev_b32_e32 v19, 28
	v_bfe_i32 v17, v18, 0, 16
	v_and_b32_e32 v20, 3, v22
	v_lshl_add_u32 v7, v7, 23, v19
	v_cndmask_b32_e32 v15, v15, v20, vcc
	v_and_or_b32 v7, v17, s96, v7
	v_lshl_or_b32 v7, v15, 21, v7
                                        ; implicit-def: $vgpr15
.LBB6_6238:                             ;   in Loop: Header=BB6_6121 Depth=3
	s_andn2_saveexec_b64 s[74:75], s[74:75]
; %bb.6239:                             ;   in Loop: Header=BB6_6121 Depth=3
	v_cmp_lt_i16_e32 vcc, -1, v18
	v_mov_b32_e32 v7, 0xc7600000
	v_mov_b32_e32 v17, 0x47600000
	v_cndmask_b32_e32 v7, v7, v17, vcc
	v_cmp_eq_u32_e32 vcc, 0, v15
	v_mov_b32_e32 v15, 0x7f800001
	v_cndmask_b32_e32 v7, v15, v7, vcc
; %bb.6240:                             ;   in Loop: Header=BB6_6121 Depth=3
	s_or_b64 exec, exec, s[74:75]
.LBB6_6241:                             ;   in Loop: Header=BB6_6121 Depth=3
	s_or_b64 exec, exec, s[72:73]
.LBB6_6242:                             ;   in Loop: Header=BB6_6121 Depth=3
	s_or_b64 exec, exec, s[70:71]
	v_max_f32_e32 v7, v7, v7
	v_max_f32_e32 v3, v3, v3
	;; [unrolled: 1-line block ×3, first 2 shown]
	s_branch .LBB6_6261
.LBB6_6243:                             ;   in Loop: Header=BB6_6121 Depth=3
                                        ; implicit-def: $vgpr3
	s_cbranch_execz .LBB6_6261
; %bb.6244:                             ;   in Loop: Header=BB6_6121 Depth=3
	v_mov_b32_e32 v7, 0
	v_mov_b32_e32 v3, 0
	s_and_saveexec_b64 s[70:71], s[30:31]
	s_cbranch_execz .LBB6_6252
; %bb.6245:                             ;   in Loop: Header=BB6_6121 Depth=3
	v_cmp_ne_u16_e32 vcc, s94, v16
	v_bfrev_b32_e32 v3, 1
	s_and_saveexec_b64 s[30:31], vcc
	s_cbranch_execz .LBB6_6251
; %bb.6246:                             ;   in Loop: Header=BB6_6121 Depth=3
	v_and_b32_e32 v3, 0x7c, v1
	v_and_b32_e32 v15, 3, v1
	v_cmp_ne_u32_e32 vcc, s95, v3
                                        ; implicit-def: $vgpr3
	s_and_saveexec_b64 s[72:73], vcc
	s_xor_b64 s[72:73], exec, s[72:73]
	s_cbranch_execz .LBB6_6248
; %bb.6247:                             ;   in Loop: Header=BB6_6121 Depth=3
	v_ffbh_u32_e32 v19, v15
	v_min_u32_e32 v19, 32, v19
	v_mov_b32_e32 v17, v51
	v_subrev_u32_e32 v20, 29, v19
	v_bfe_u32 v1, v1, 2, 5
	v_bfe_i32 v3, v16, 0, 16
	v_lshlrev_b64 v[16:17], v20, v[16:17]
	v_sub_u32_e32 v17, 30, v19
	v_and_b32_e32 v16, 3, v16
	v_cmp_eq_u32_e32 vcc, 0, v1
	v_cndmask_b32_e32 v1, v1, v17, vcc
	v_cndmask_b32_e32 v15, v15, v16, vcc
	v_bfrev_b32_e32 v16, 28
	v_lshl_add_u32 v1, v1, 23, v16
	v_and_or_b32 v1, v3, s96, v1
	v_lshl_or_b32 v3, v15, 21, v1
                                        ; implicit-def: $vgpr15
                                        ; implicit-def: $vgpr16
.LBB6_6248:                             ;   in Loop: Header=BB6_6121 Depth=3
	s_andn2_saveexec_b64 s[72:73], s[72:73]
; %bb.6249:                             ;   in Loop: Header=BB6_6121 Depth=3
	v_cmp_lt_i16_e32 vcc, -1, v16
	v_mov_b32_e32 v1, 0xc7600000
	v_mov_b32_e32 v3, 0x47600000
	v_cndmask_b32_e32 v1, v1, v3, vcc
	v_cmp_eq_u32_e32 vcc, 0, v15
	v_mov_b32_e32 v3, 0x7f800001
	v_cndmask_b32_e32 v3, v3, v1, vcc
; %bb.6250:                             ;   in Loop: Header=BB6_6121 Depth=3
	s_or_b64 exec, exec, s[72:73]
.LBB6_6251:                             ;   in Loop: Header=BB6_6121 Depth=3
	s_or_b64 exec, exec, s[30:31]
.LBB6_6252:                             ;   in Loop: Header=BB6_6121 Depth=3
	s_or_b64 exec, exec, s[70:71]
	v_cmp_ne_u16_e32 vcc, 0, v18
	s_and_saveexec_b64 s[30:31], vcc
	s_cbranch_execz .LBB6_6260
; %bb.6253:                             ;   in Loop: Header=BB6_6121 Depth=3
	v_cmp_ne_u16_e32 vcc, s94, v18
	v_bfrev_b32_e32 v7, 1
	s_and_saveexec_b64 s[70:71], vcc
	s_cbranch_execz .LBB6_6259
; %bb.6254:                             ;   in Loop: Header=BB6_6121 Depth=3
	v_and_b32_e32 v7, 0x7c, v18
	v_and_b32_e32 v1, 3, v18
	v_cmp_ne_u32_e32 vcc, s95, v7
                                        ; implicit-def: $vgpr7
	s_and_saveexec_b64 s[72:73], vcc
	s_xor_b64 s[72:73], exec, s[72:73]
	s_cbranch_execz .LBB6_6256
; %bb.6255:                             ;   in Loop: Header=BB6_6121 Depth=3
	v_ffbh_u32_e32 v16, v1
	v_min_u32_e32 v20, 32, v16
	v_and_b32_e32 v7, 0xff, v18
	v_mov_b32_e32 v19, v51
	v_subrev_u32_e32 v16, 29, v20
	v_bfe_u32 v7, v7, 2, 5
	v_lshlrev_b64 v[16:17], v16, v[18:19]
	v_sub_u32_e32 v17, 30, v20
	v_and_b32_e32 v16, 3, v16
	v_cmp_eq_u32_e32 vcc, 0, v7
	v_cndmask_b32_e32 v7, v7, v17, vcc
	v_cndmask_b32_e32 v1, v1, v16, vcc
	v_bfrev_b32_e32 v16, 28
	v_bfe_i32 v15, v18, 0, 16
	v_lshl_add_u32 v7, v7, 23, v16
	v_and_or_b32 v7, v15, s96, v7
	v_lshl_or_b32 v7, v1, 21, v7
                                        ; implicit-def: $vgpr1
                                        ; implicit-def: $vgpr18
.LBB6_6256:                             ;   in Loop: Header=BB6_6121 Depth=3
	s_andn2_saveexec_b64 s[72:73], s[72:73]
; %bb.6257:                             ;   in Loop: Header=BB6_6121 Depth=3
	v_cmp_lt_i16_e32 vcc, -1, v18
	v_mov_b32_e32 v7, 0xc7600000
	v_mov_b32_e32 v15, 0x47600000
	v_cndmask_b32_e32 v7, v7, v15, vcc
	v_cmp_eq_u32_e32 vcc, 0, v1
	v_mov_b32_e32 v1, 0x7f800001
	v_cndmask_b32_e32 v7, v1, v7, vcc
; %bb.6258:                             ;   in Loop: Header=BB6_6121 Depth=3
	s_or_b64 exec, exec, s[72:73]
.LBB6_6259:                             ;   in Loop: Header=BB6_6121 Depth=3
	s_or_b64 exec, exec, s[70:71]
.LBB6_6260:                             ;   in Loop: Header=BB6_6121 Depth=3
	s_or_b64 exec, exec, s[30:31]
	v_max_f32_e32 v1, v7, v7
	v_max_f32_e32 v3, v3, v3
	v_min_f32_e32 v3, v3, v1
.LBB6_6261:                             ;   in Loop: Header=BB6_6121 Depth=3
	v_and_b32_sdwa v1, v3, s97 dst_sel:DWORD dst_unused:UNUSED_PAD src0_sel:BYTE_3 src1_sel:DWORD
	v_and_b32_e32 v16, 0x7f800000, v3
	v_mov_b32_e32 v17, v51
	v_and_b32_e32 v50, 0x7fffff, v3
	v_or_b32_e32 v18, 0x7b, v1
	v_cmp_ne_u64_e32 vcc, s[52:53], v[16:17]
	s_and_saveexec_b64 s[30:31], vcc
	s_xor_b64 s[70:71], exec, s[30:31]
	s_cbranch_execz .LBB6_6275
; %bb.6262:                             ;   in Loop: Header=BB6_6121 Depth=3
	v_and_b32_e32 v16, 0x7fffffff, v3
	v_mov_b32_e32 v17, v51
	v_cmp_gt_u64_e32 vcc, s[54:55], v[16:17]
	s_and_saveexec_b64 s[30:31], vcc
	s_xor_b64 s[72:73], exec, s[30:31]
	s_cbranch_execz .LBB6_6274
; %bb.6263:                             ;   in Loop: Header=BB6_6121 Depth=3
	v_cmp_ne_u32_e32 vcc, 0, v3
	v_mov_b32_e32 v18, 0
	s_and_saveexec_b64 s[74:75], vcc
	s_cbranch_execz .LBB6_6273
; %bb.6264:                             ;   in Loop: Header=BB6_6121 Depth=3
	v_bfe_u32 v3, v3, 23, 8
	v_cmp_eq_u32_e32 vcc, 0, v3
	v_add_u32_e32 v7, 0xffffff81, v3
	v_cmp_gt_u32_e64 s[30:31], s38, v3
	v_sub_u32_e32 v3, 0x71, v3
	v_mov_b32_e32 v16, 0xffffff82
	v_cndmask_b32_e64 v3, 0, v3, s[30:31]
	v_cndmask_b32_e32 v7, v7, v16, vcc
	v_mov_b32_e32 v16, 0x70
	v_or_b32_e32 v15, 0x800000, v50
	v_cndmask_b32_e32 v3, v3, v16, vcc
	v_cndmask_b32_e32 v50, v15, v50, vcc
	v_add_u32_e32 v15, 21, v3
	v_lshlrev_b64 v[16:17], v15, -1
	v_not_b32_e32 v15, v17
	v_not_b32_e32 v16, v16
	v_and_b32_e32 v17, 0, v15
	v_add_u32_e32 v15, 20, v3
	v_and_b32_e32 v16, v50, v16
	v_lshlrev_b64 v[18:19], v15, 1
	v_cmp_eq_u64_e32 vcc, v[16:17], v[18:19]
	v_lshrrev_b64 v[16:17], v3, v[50:51]
	v_lshrrev_b32_e32 v15, 23, v16
	v_add3_u32 v15, v3, v7, v15
	v_bfe_u32 v3, v16, 21, 1
	v_add_u32_e32 v3, -1, v3
	v_cndmask_b32_e32 v3, 0, v3, vcc
	v_add_u32_e32 v3, v3, v16
	v_and_b32_e32 v3, 0x1fffff, v3
	v_add_co_u32_e32 v16, vcc, v3, v16
	v_add_u32_e32 v7, 14, v15
	v_addc_co_u32_e32 v17, vcc, 0, v17, vcc
	v_cmp_ne_u32_e32 vcc, 0, v7
                                        ; implicit-def: $vgpr3
	s_and_saveexec_b64 s[30:31], vcc
	s_xor_b64 s[30:31], exec, s[30:31]
; %bb.6265:                             ;   in Loop: Header=BB6_6121 Depth=3
	v_add_u32_e32 v3, 15, v15
	v_cmp_lt_u64_e32 vcc, s[56:57], v[16:17]
	v_cndmask_b32_e32 v3, v7, v3, vcc
	v_cndmask_b32_e64 v7, 0, 1, vcc
	v_lshrrev_b64 v[16:17], v7, v[16:17]
; %bb.6266:                             ;   in Loop: Header=BB6_6121 Depth=3
	s_andn2_saveexec_b64 vcc, s[30:31]
; %bb.6267:                             ;   in Loop: Header=BB6_6121 Depth=3
	v_bfe_u32 v3, v16, 23, 1
; %bb.6268:                             ;   in Loop: Header=BB6_6121 Depth=3
	s_or_b64 exec, exec, vcc
	v_lshrrev_b64 v[16:17], 21, v[16:17]
	v_cmp_gt_i32_e32 vcc, 32, v3
	v_cndmask_b32_e32 v17, 0, v17, vcc
	v_cndmask_b32_e32 v16, 3, v16, vcc
	v_cmp_ne_u32_e32 vcc, 0, v3
	v_cmp_ne_u64_e64 s[30:31], 0, v[16:17]
	s_or_b64 vcc, vcc, s[30:31]
                                        ; implicit-def: $vgpr18
	s_and_saveexec_b64 s[30:31], vcc
	s_xor_b64 vcc, exec, s[30:31]
; %bb.6269:                             ;   in Loop: Header=BB6_6121 Depth=3
	v_min_i32_e32 v3, 31, v3
	v_lshl_or_b32 v1, v3, 2, v1
	v_and_or_b32 v18, v16, 3, v1
                                        ; implicit-def: $vgpr1
; %bb.6270:                             ;   in Loop: Header=BB6_6121 Depth=3
	s_andn2_saveexec_b64 vcc, vcc
; %bb.6271:                             ;   in Loop: Header=BB6_6121 Depth=3
	v_mov_b32_e32 v18, v1
; %bb.6272:                             ;   in Loop: Header=BB6_6121 Depth=3
	s_or_b64 exec, exec, vcc
.LBB6_6273:                             ;   in Loop: Header=BB6_6121 Depth=3
	s_or_b64 exec, exec, s[74:75]
.LBB6_6274:                             ;   in Loop: Header=BB6_6121 Depth=3
	s_andn2_saveexec_b64 vcc, s[72:73]
	s_or_b64 exec, exec, vcc
                                        ; implicit-def: $vgpr3
.LBB6_6275:                             ;   in Loop: Header=BB6_6121 Depth=3
	s_andn2_saveexec_b64 s[30:31], s[70:71]
; %bb.6276:                             ;   in Loop: Header=BB6_6121 Depth=3
	v_or_b32_sdwa v1, v3, s39 dst_sel:DWORD dst_unused:UNUSED_PAD src0_sel:BYTE_3 src1_sel:DWORD
	v_cmp_eq_u64_e32 vcc, 0, v[50:51]
	v_cndmask_b32_e32 v18, v1, v18, vcc
; %bb.6277:                             ;   in Loop: Header=BB6_6121 Depth=3
	s_or_b64 exec, exec, s[30:31]
	v_and_b32_e32 v1, 0xff, v52
	s_and_b64 vcc, exec, s[28:29]
	v_cmp_ne_u16_e64 s[30:31], 0, v52
	s_cbranch_vccnz .LBB6_6295
; %bb.6278:                             ;   in Loop: Header=BB6_6121 Depth=3
	v_mov_b32_e32 v7, 0
	v_mov_b32_e32 v3, 0
	s_and_saveexec_b64 s[70:71], s[30:31]
	s_cbranch_execz .LBB6_6286
; %bb.6279:                             ;   in Loop: Header=BB6_6121 Depth=3
	v_cmp_ne_u16_e32 vcc, s94, v52
	v_bfrev_b32_e32 v3, 1
	s_and_saveexec_b64 s[72:73], vcc
	s_cbranch_execz .LBB6_6285
; %bb.6280:                             ;   in Loop: Header=BB6_6121 Depth=3
	v_and_b32_e32 v3, 0x7c, v1
	v_and_b32_e32 v15, 3, v1
	v_cmp_ne_u32_e32 vcc, s95, v3
                                        ; implicit-def: $vgpr3
	s_and_saveexec_b64 s[74:75], vcc
	s_xor_b64 s[74:75], exec, s[74:75]
	s_cbranch_execz .LBB6_6282
; %bb.6281:                             ;   in Loop: Header=BB6_6121 Depth=3
	v_ffbh_u32_e32 v16, v15
	v_min_u32_e32 v20, 32, v16
	v_mov_b32_e32 v53, v51
	v_subrev_u32_e32 v16, 29, v20
	v_bfe_u32 v3, v1, 2, 5
	v_lshlrev_b64 v[16:17], v16, v[52:53]
	v_sub_u32_e32 v17, 30, v20
	v_and_b32_e32 v16, 3, v16
	v_cmp_eq_u32_e32 vcc, 0, v3
	v_cndmask_b32_e32 v3, v3, v17, vcc
	v_cndmask_b32_e32 v15, v15, v16, vcc
	v_bfrev_b32_e32 v16, 28
	v_bfe_i32 v19, v52, 0, 16
	v_lshl_add_u32 v3, v3, 23, v16
	v_and_or_b32 v3, v19, s96, v3
	v_lshl_or_b32 v3, v15, 21, v3
                                        ; implicit-def: $vgpr15
.LBB6_6282:                             ;   in Loop: Header=BB6_6121 Depth=3
	s_andn2_saveexec_b64 s[74:75], s[74:75]
; %bb.6283:                             ;   in Loop: Header=BB6_6121 Depth=3
	v_cmp_lt_i16_e32 vcc, -1, v52
	v_mov_b32_e32 v3, 0xc7600000
	v_mov_b32_e32 v16, 0x47600000
	v_cndmask_b32_e32 v3, v3, v16, vcc
	v_cmp_eq_u32_e32 vcc, 0, v15
	v_mov_b32_e32 v15, 0x7f800001
	v_cndmask_b32_e32 v3, v15, v3, vcc
; %bb.6284:                             ;   in Loop: Header=BB6_6121 Depth=3
	s_or_b64 exec, exec, s[74:75]
.LBB6_6285:                             ;   in Loop: Header=BB6_6121 Depth=3
	s_or_b64 exec, exec, s[72:73]
.LBB6_6286:                             ;   in Loop: Header=BB6_6121 Depth=3
	s_or_b64 exec, exec, s[70:71]
	v_cmp_ne_u16_e32 vcc, 0, v48
	s_and_saveexec_b64 s[70:71], vcc
	s_cbranch_execz .LBB6_6294
; %bb.6287:                             ;   in Loop: Header=BB6_6121 Depth=3
	v_cmp_ne_u16_e32 vcc, s94, v48
	v_bfrev_b32_e32 v7, 1
	s_and_saveexec_b64 s[72:73], vcc
	s_cbranch_execz .LBB6_6293
; %bb.6288:                             ;   in Loop: Header=BB6_6121 Depth=3
	v_and_b32_e32 v7, 0x7c, v48
	v_and_b32_e32 v15, 3, v48
	v_cmp_ne_u32_e32 vcc, s95, v7
                                        ; implicit-def: $vgpr7
	s_and_saveexec_b64 s[74:75], vcc
	s_xor_b64 s[74:75], exec, s[74:75]
	s_cbranch_execz .LBB6_6290
; %bb.6289:                             ;   in Loop: Header=BB6_6121 Depth=3
	v_ffbh_u32_e32 v16, v15
	v_min_u32_e32 v20, 32, v16
	v_and_b32_e32 v7, 0xff, v48
	v_mov_b32_e32 v49, v51
	v_subrev_u32_e32 v16, 29, v20
	v_bfe_u32 v7, v7, 2, 5
	v_lshlrev_b64 v[16:17], v16, v[48:49]
	v_sub_u32_e32 v17, 30, v20
	v_and_b32_e32 v16, 3, v16
	v_cmp_eq_u32_e32 vcc, 0, v7
	v_cndmask_b32_e32 v7, v7, v17, vcc
	v_cndmask_b32_e32 v15, v15, v16, vcc
	v_bfrev_b32_e32 v16, 28
	v_bfe_i32 v19, v48, 0, 16
	v_lshl_add_u32 v7, v7, 23, v16
	v_and_or_b32 v7, v19, s96, v7
	v_lshl_or_b32 v7, v15, 21, v7
                                        ; implicit-def: $vgpr15
.LBB6_6290:                             ;   in Loop: Header=BB6_6121 Depth=3
	s_andn2_saveexec_b64 s[74:75], s[74:75]
; %bb.6291:                             ;   in Loop: Header=BB6_6121 Depth=3
	v_cmp_lt_i16_e32 vcc, -1, v48
	v_mov_b32_e32 v7, 0xc7600000
	v_mov_b32_e32 v16, 0x47600000
	v_cndmask_b32_e32 v7, v7, v16, vcc
	v_cmp_eq_u32_e32 vcc, 0, v15
	v_mov_b32_e32 v15, 0x7f800001
	v_cndmask_b32_e32 v7, v15, v7, vcc
; %bb.6292:                             ;   in Loop: Header=BB6_6121 Depth=3
	s_or_b64 exec, exec, s[74:75]
.LBB6_6293:                             ;   in Loop: Header=BB6_6121 Depth=3
	s_or_b64 exec, exec, s[72:73]
.LBB6_6294:                             ;   in Loop: Header=BB6_6121 Depth=3
	s_or_b64 exec, exec, s[70:71]
	v_max_f32_e32 v7, v7, v7
	v_max_f32_e32 v3, v3, v3
	;; [unrolled: 1-line block ×3, first 2 shown]
	s_branch .LBB6_6313
.LBB6_6295:                             ;   in Loop: Header=BB6_6121 Depth=3
                                        ; implicit-def: $vgpr3
	s_cbranch_execz .LBB6_6313
; %bb.6296:                             ;   in Loop: Header=BB6_6121 Depth=3
	v_mov_b32_e32 v7, 0
	v_mov_b32_e32 v3, 0
	s_and_saveexec_b64 s[70:71], s[30:31]
	s_cbranch_execz .LBB6_6304
; %bb.6297:                             ;   in Loop: Header=BB6_6121 Depth=3
	v_cmp_ne_u16_e32 vcc, s94, v52
	v_bfrev_b32_e32 v3, 1
	s_and_saveexec_b64 s[30:31], vcc
	s_cbranch_execz .LBB6_6303
; %bb.6298:                             ;   in Loop: Header=BB6_6121 Depth=3
	v_and_b32_e32 v3, 0x7c, v1
	v_and_b32_e32 v15, 3, v1
	v_cmp_ne_u32_e32 vcc, s95, v3
                                        ; implicit-def: $vgpr3
	s_and_saveexec_b64 s[72:73], vcc
	s_xor_b64 s[72:73], exec, s[72:73]
	s_cbranch_execz .LBB6_6300
; %bb.6299:                             ;   in Loop: Header=BB6_6121 Depth=3
	v_ffbh_u32_e32 v16, v15
	v_min_u32_e32 v19, 32, v16
	v_mov_b32_e32 v53, v51
	v_subrev_u32_e32 v16, 29, v19
	v_bfe_u32 v1, v1, 2, 5
	v_lshlrev_b64 v[16:17], v16, v[52:53]
	v_sub_u32_e32 v17, 30, v19
	v_and_b32_e32 v16, 3, v16
	v_cmp_eq_u32_e32 vcc, 0, v1
	v_cndmask_b32_e32 v1, v1, v17, vcc
	v_cndmask_b32_e32 v15, v15, v16, vcc
	v_bfrev_b32_e32 v16, 28
	v_bfe_i32 v3, v52, 0, 16
	v_lshl_add_u32 v1, v1, 23, v16
	v_and_or_b32 v1, v3, s96, v1
	v_lshl_or_b32 v3, v15, 21, v1
                                        ; implicit-def: $vgpr15
                                        ; implicit-def: $vgpr52
.LBB6_6300:                             ;   in Loop: Header=BB6_6121 Depth=3
	s_andn2_saveexec_b64 s[72:73], s[72:73]
; %bb.6301:                             ;   in Loop: Header=BB6_6121 Depth=3
	v_cmp_lt_i16_e32 vcc, -1, v52
	v_mov_b32_e32 v1, 0xc7600000
	v_mov_b32_e32 v3, 0x47600000
	v_cndmask_b32_e32 v1, v1, v3, vcc
	v_cmp_eq_u32_e32 vcc, 0, v15
	v_mov_b32_e32 v3, 0x7f800001
	v_cndmask_b32_e32 v3, v3, v1, vcc
; %bb.6302:                             ;   in Loop: Header=BB6_6121 Depth=3
	s_or_b64 exec, exec, s[72:73]
.LBB6_6303:                             ;   in Loop: Header=BB6_6121 Depth=3
	s_or_b64 exec, exec, s[30:31]
.LBB6_6304:                             ;   in Loop: Header=BB6_6121 Depth=3
	s_or_b64 exec, exec, s[70:71]
	v_cmp_ne_u16_e32 vcc, 0, v48
	s_and_saveexec_b64 s[30:31], vcc
	s_cbranch_execz .LBB6_6312
; %bb.6305:                             ;   in Loop: Header=BB6_6121 Depth=3
	v_cmp_ne_u16_e32 vcc, s94, v48
	v_bfrev_b32_e32 v7, 1
	s_and_saveexec_b64 s[70:71], vcc
	s_cbranch_execz .LBB6_6311
; %bb.6306:                             ;   in Loop: Header=BB6_6121 Depth=3
	v_and_b32_e32 v7, 0x7c, v48
	v_and_b32_e32 v1, 3, v48
	v_cmp_ne_u32_e32 vcc, s95, v7
                                        ; implicit-def: $vgpr7
	s_and_saveexec_b64 s[72:73], vcc
	s_xor_b64 s[72:73], exec, s[72:73]
	s_cbranch_execz .LBB6_6308
; %bb.6307:                             ;   in Loop: Header=BB6_6121 Depth=3
	v_ffbh_u32_e32 v16, v1
	v_min_u32_e32 v19, 32, v16
	v_and_b32_e32 v7, 0xff, v48
	v_mov_b32_e32 v49, v51
	v_subrev_u32_e32 v16, 29, v19
	v_bfe_u32 v7, v7, 2, 5
	v_lshlrev_b64 v[16:17], v16, v[48:49]
	v_sub_u32_e32 v17, 30, v19
	v_and_b32_e32 v16, 3, v16
	v_cmp_eq_u32_e32 vcc, 0, v7
	v_cndmask_b32_e32 v7, v7, v17, vcc
	v_cndmask_b32_e32 v1, v1, v16, vcc
	v_bfrev_b32_e32 v16, 28
	v_bfe_i32 v15, v48, 0, 16
	v_lshl_add_u32 v7, v7, 23, v16
	v_and_or_b32 v7, v15, s96, v7
	v_lshl_or_b32 v7, v1, 21, v7
                                        ; implicit-def: $vgpr1
                                        ; implicit-def: $vgpr48
.LBB6_6308:                             ;   in Loop: Header=BB6_6121 Depth=3
	s_andn2_saveexec_b64 s[72:73], s[72:73]
; %bb.6309:                             ;   in Loop: Header=BB6_6121 Depth=3
	v_cmp_lt_i16_e32 vcc, -1, v48
	v_mov_b32_e32 v7, 0xc7600000
	v_mov_b32_e32 v15, 0x47600000
	v_cndmask_b32_e32 v7, v7, v15, vcc
	v_cmp_eq_u32_e32 vcc, 0, v1
	v_mov_b32_e32 v1, 0x7f800001
	v_cndmask_b32_e32 v7, v1, v7, vcc
; %bb.6310:                             ;   in Loop: Header=BB6_6121 Depth=3
	s_or_b64 exec, exec, s[72:73]
.LBB6_6311:                             ;   in Loop: Header=BB6_6121 Depth=3
	s_or_b64 exec, exec, s[70:71]
.LBB6_6312:                             ;   in Loop: Header=BB6_6121 Depth=3
	s_or_b64 exec, exec, s[30:31]
	v_max_f32_e32 v1, v7, v7
	v_max_f32_e32 v3, v3, v3
	v_min_f32_e32 v3, v3, v1
.LBB6_6313:                             ;   in Loop: Header=BB6_6121 Depth=3
	v_and_b32_sdwa v1, v3, s97 dst_sel:DWORD dst_unused:UNUSED_PAD src0_sel:BYTE_3 src1_sel:DWORD
	v_and_b32_e32 v50, 0x7fffff, v3
	v_or_b32_e32 v19, 0x7b, v1
	v_and_b32_e32 v16, 0x7f800000, v3
	v_mov_b32_e32 v17, v51
	v_cmp_ne_u64_e32 vcc, s[52:53], v[16:17]
	s_mov_b64 s[30:31], exec
	s_and_b64 vcc, s[30:31], vcc
	s_xor_b64 s[70:71], vcc, s[30:31]
	v_accvgpr_read_b32 v48, a32
	v_accvgpr_read_b32 v52, a0
	s_mov_b64 exec, vcc
	s_cbranch_execz .LBB6_6327
; %bb.6314:                             ;   in Loop: Header=BB6_6121 Depth=3
	v_and_b32_e32 v16, 0x7fffffff, v3
	v_mov_b32_e32 v17, v51
	v_cmp_gt_u64_e32 vcc, s[54:55], v[16:17]
	s_and_saveexec_b64 s[30:31], vcc
	s_xor_b64 s[72:73], exec, s[30:31]
	s_cbranch_execz .LBB6_6326
; %bb.6315:                             ;   in Loop: Header=BB6_6121 Depth=3
	v_cmp_ne_u32_e32 vcc, 0, v3
	v_mov_b32_e32 v19, 0
	s_and_saveexec_b64 s[74:75], vcc
	s_cbranch_execz .LBB6_6325
; %bb.6316:                             ;   in Loop: Header=BB6_6121 Depth=3
	v_bfe_u32 v3, v3, 23, 8
	v_cmp_eq_u32_e32 vcc, 0, v3
	v_add_u32_e32 v7, 0xffffff81, v3
	v_cmp_gt_u32_e64 s[30:31], s38, v3
	v_sub_u32_e32 v3, 0x71, v3
	v_mov_b32_e32 v16, 0xffffff82
	v_cndmask_b32_e64 v3, 0, v3, s[30:31]
	v_cndmask_b32_e32 v7, v7, v16, vcc
	v_mov_b32_e32 v16, 0x70
	v_or_b32_e32 v15, 0x800000, v50
	v_cndmask_b32_e32 v3, v3, v16, vcc
	v_cndmask_b32_e32 v50, v15, v50, vcc
	v_add_u32_e32 v15, 21, v3
	v_lshlrev_b64 v[16:17], v15, -1
	v_not_b32_e32 v15, v17
	v_not_b32_e32 v16, v16
	v_and_b32_e32 v17, 0, v15
	v_add_u32_e32 v15, 20, v3
	v_and_b32_e32 v16, v50, v16
	v_lshlrev_b64 v[22:23], v15, 1
	v_cmp_eq_u64_e32 vcc, v[16:17], v[22:23]
	v_lshrrev_b64 v[16:17], v3, v[50:51]
	v_lshrrev_b32_e32 v15, 23, v16
	v_add3_u32 v15, v3, v7, v15
	v_bfe_u32 v3, v16, 21, 1
	v_add_u32_e32 v3, -1, v3
	v_cndmask_b32_e32 v3, 0, v3, vcc
	v_add_u32_e32 v3, v3, v16
	v_and_b32_e32 v3, 0x1fffff, v3
	v_add_co_u32_e32 v16, vcc, v3, v16
	v_add_u32_e32 v7, 14, v15
	v_addc_co_u32_e32 v17, vcc, 0, v17, vcc
	v_cmp_ne_u32_e32 vcc, 0, v7
                                        ; implicit-def: $vgpr3
	s_and_saveexec_b64 s[30:31], vcc
	s_xor_b64 s[30:31], exec, s[30:31]
; %bb.6317:                             ;   in Loop: Header=BB6_6121 Depth=3
	v_add_u32_e32 v3, 15, v15
	v_cmp_lt_u64_e32 vcc, s[56:57], v[16:17]
	v_cndmask_b32_e32 v3, v7, v3, vcc
	v_cndmask_b32_e64 v7, 0, 1, vcc
	v_lshrrev_b64 v[16:17], v7, v[16:17]
; %bb.6318:                             ;   in Loop: Header=BB6_6121 Depth=3
	s_andn2_saveexec_b64 vcc, s[30:31]
; %bb.6319:                             ;   in Loop: Header=BB6_6121 Depth=3
	v_bfe_u32 v3, v16, 23, 1
; %bb.6320:                             ;   in Loop: Header=BB6_6121 Depth=3
	s_or_b64 exec, exec, vcc
	v_lshrrev_b64 v[16:17], 21, v[16:17]
	v_cmp_gt_i32_e32 vcc, 32, v3
	v_cndmask_b32_e32 v17, 0, v17, vcc
	v_cndmask_b32_e32 v16, 3, v16, vcc
	v_cmp_ne_u32_e32 vcc, 0, v3
	v_cmp_ne_u64_e64 s[30:31], 0, v[16:17]
	s_or_b64 vcc, vcc, s[30:31]
                                        ; implicit-def: $vgpr19
	s_and_saveexec_b64 s[30:31], vcc
	s_xor_b64 vcc, exec, s[30:31]
; %bb.6321:                             ;   in Loop: Header=BB6_6121 Depth=3
	v_min_i32_e32 v3, 31, v3
	v_lshl_or_b32 v1, v3, 2, v1
	v_and_or_b32 v19, v16, 3, v1
                                        ; implicit-def: $vgpr1
; %bb.6322:                             ;   in Loop: Header=BB6_6121 Depth=3
	s_andn2_saveexec_b64 vcc, vcc
; %bb.6323:                             ;   in Loop: Header=BB6_6121 Depth=3
	v_mov_b32_e32 v19, v1
; %bb.6324:                             ;   in Loop: Header=BB6_6121 Depth=3
	s_or_b64 exec, exec, vcc
.LBB6_6325:                             ;   in Loop: Header=BB6_6121 Depth=3
	s_or_b64 exec, exec, s[74:75]
.LBB6_6326:                             ;   in Loop: Header=BB6_6121 Depth=3
	s_andn2_saveexec_b64 vcc, s[72:73]
	s_or_b64 exec, exec, vcc
                                        ; implicit-def: $vgpr3
.LBB6_6327:                             ;   in Loop: Header=BB6_6121 Depth=3
	s_andn2_saveexec_b64 s[30:31], s[70:71]
; %bb.6328:                             ;   in Loop: Header=BB6_6121 Depth=3
	v_or_b32_sdwa v1, v3, s39 dst_sel:DWORD dst_unused:UNUSED_PAD src0_sel:BYTE_3 src1_sel:DWORD
	v_cmp_eq_u64_e32 vcc, 0, v[50:51]
	v_cndmask_b32_e32 v19, v1, v19, vcc
; %bb.6329:                             ;   in Loop: Header=BB6_6121 Depth=3
	s_or_b64 exec, exec, s[30:31]
	v_and_b32_e32 v1, 0xff, v32
	s_and_b64 vcc, exec, s[28:29]
	v_cmp_ne_u16_e64 s[30:31], 0, v32
	s_cbranch_vccnz .LBB6_6347
; %bb.6330:                             ;   in Loop: Header=BB6_6121 Depth=3
	v_mov_b32_e32 v7, 0
	v_mov_b32_e32 v3, 0
	s_and_saveexec_b64 s[70:71], s[30:31]
	s_cbranch_execz .LBB6_6338
; %bb.6331:                             ;   in Loop: Header=BB6_6121 Depth=3
	v_cmp_ne_u16_e32 vcc, s94, v32
	v_bfrev_b32_e32 v3, 1
	s_and_saveexec_b64 s[72:73], vcc
	s_cbranch_execz .LBB6_6337
; %bb.6332:                             ;   in Loop: Header=BB6_6121 Depth=3
	v_and_b32_e32 v3, 0x7c, v1
	v_and_b32_e32 v15, 3, v1
	v_cmp_ne_u32_e32 vcc, s95, v3
                                        ; implicit-def: $vgpr3
	s_and_saveexec_b64 s[74:75], vcc
	s_xor_b64 s[74:75], exec, s[74:75]
	s_cbranch_execz .LBB6_6334
; %bb.6333:                             ;   in Loop: Header=BB6_6121 Depth=3
	v_ffbh_u32_e32 v16, v15
	v_min_u32_e32 v22, 32, v16
	v_mov_b32_e32 v33, v51
	v_subrev_u32_e32 v16, 29, v22
	v_bfe_u32 v3, v1, 2, 5
	v_lshlrev_b64 v[16:17], v16, v[32:33]
	v_sub_u32_e32 v17, 30, v22
	v_and_b32_e32 v16, 3, v16
	v_cmp_eq_u32_e32 vcc, 0, v3
	v_cndmask_b32_e32 v3, v3, v17, vcc
	v_cndmask_b32_e32 v15, v15, v16, vcc
	v_bfrev_b32_e32 v16, 28
	v_bfe_i32 v20, v32, 0, 16
	v_lshl_add_u32 v3, v3, 23, v16
	v_and_or_b32 v3, v20, s96, v3
	v_lshl_or_b32 v3, v15, 21, v3
                                        ; implicit-def: $vgpr15
.LBB6_6334:                             ;   in Loop: Header=BB6_6121 Depth=3
	s_andn2_saveexec_b64 s[74:75], s[74:75]
; %bb.6335:                             ;   in Loop: Header=BB6_6121 Depth=3
	v_cmp_lt_i16_e32 vcc, -1, v32
	v_mov_b32_e32 v3, 0xc7600000
	v_mov_b32_e32 v16, 0x47600000
	v_cndmask_b32_e32 v3, v3, v16, vcc
	v_cmp_eq_u32_e32 vcc, 0, v15
	v_mov_b32_e32 v15, 0x7f800001
	v_cndmask_b32_e32 v3, v15, v3, vcc
; %bb.6336:                             ;   in Loop: Header=BB6_6121 Depth=3
	s_or_b64 exec, exec, s[74:75]
.LBB6_6337:                             ;   in Loop: Header=BB6_6121 Depth=3
	s_or_b64 exec, exec, s[72:73]
.LBB6_6338:                             ;   in Loop: Header=BB6_6121 Depth=3
	s_or_b64 exec, exec, s[70:71]
	v_cmp_ne_u16_e32 vcc, 0, v34
	s_and_saveexec_b64 s[70:71], vcc
	s_cbranch_execz .LBB6_6346
; %bb.6339:                             ;   in Loop: Header=BB6_6121 Depth=3
	v_cmp_ne_u16_e32 vcc, s94, v34
	v_bfrev_b32_e32 v7, 1
	s_and_saveexec_b64 s[72:73], vcc
	s_cbranch_execz .LBB6_6345
; %bb.6340:                             ;   in Loop: Header=BB6_6121 Depth=3
	v_and_b32_e32 v7, 0x7c, v34
	v_and_b32_e32 v15, 3, v34
	v_cmp_ne_u32_e32 vcc, s95, v7
                                        ; implicit-def: $vgpr7
	s_and_saveexec_b64 s[74:75], vcc
	s_xor_b64 s[74:75], exec, s[74:75]
	s_cbranch_execz .LBB6_6342
; %bb.6341:                             ;   in Loop: Header=BB6_6121 Depth=3
	v_ffbh_u32_e32 v16, v15
	v_min_u32_e32 v22, 32, v16
	v_and_b32_e32 v7, 0xff, v34
	v_mov_b32_e32 v35, v51
	v_subrev_u32_e32 v16, 29, v22
	v_bfe_u32 v7, v7, 2, 5
	v_lshlrev_b64 v[16:17], v16, v[34:35]
	v_sub_u32_e32 v17, 30, v22
	v_and_b32_e32 v16, 3, v16
	v_cmp_eq_u32_e32 vcc, 0, v7
	v_cndmask_b32_e32 v7, v7, v17, vcc
	v_cndmask_b32_e32 v15, v15, v16, vcc
	v_bfrev_b32_e32 v16, 28
	v_bfe_i32 v20, v34, 0, 16
	v_lshl_add_u32 v7, v7, 23, v16
	v_and_or_b32 v7, v20, s96, v7
	v_lshl_or_b32 v7, v15, 21, v7
                                        ; implicit-def: $vgpr15
.LBB6_6342:                             ;   in Loop: Header=BB6_6121 Depth=3
	s_andn2_saveexec_b64 s[74:75], s[74:75]
; %bb.6343:                             ;   in Loop: Header=BB6_6121 Depth=3
	v_cmp_lt_i16_e32 vcc, -1, v34
	v_mov_b32_e32 v7, 0xc7600000
	v_mov_b32_e32 v16, 0x47600000
	v_cndmask_b32_e32 v7, v7, v16, vcc
	v_cmp_eq_u32_e32 vcc, 0, v15
	v_mov_b32_e32 v15, 0x7f800001
	v_cndmask_b32_e32 v7, v15, v7, vcc
; %bb.6344:                             ;   in Loop: Header=BB6_6121 Depth=3
	s_or_b64 exec, exec, s[74:75]
.LBB6_6345:                             ;   in Loop: Header=BB6_6121 Depth=3
	s_or_b64 exec, exec, s[72:73]
.LBB6_6346:                             ;   in Loop: Header=BB6_6121 Depth=3
	s_or_b64 exec, exec, s[70:71]
	v_max_f32_e32 v7, v7, v7
	v_max_f32_e32 v3, v3, v3
	;; [unrolled: 1-line block ×3, first 2 shown]
	s_branch .LBB6_6365
.LBB6_6347:                             ;   in Loop: Header=BB6_6121 Depth=3
                                        ; implicit-def: $vgpr3
	s_cbranch_execz .LBB6_6365
; %bb.6348:                             ;   in Loop: Header=BB6_6121 Depth=3
	v_mov_b32_e32 v7, 0
	v_mov_b32_e32 v3, 0
	s_and_saveexec_b64 s[70:71], s[30:31]
	s_cbranch_execz .LBB6_6356
; %bb.6349:                             ;   in Loop: Header=BB6_6121 Depth=3
	v_cmp_ne_u16_e32 vcc, s94, v32
	v_bfrev_b32_e32 v3, 1
	s_and_saveexec_b64 s[30:31], vcc
	s_cbranch_execz .LBB6_6355
; %bb.6350:                             ;   in Loop: Header=BB6_6121 Depth=3
	v_and_b32_e32 v3, 0x7c, v1
	v_and_b32_e32 v15, 3, v1
	v_cmp_ne_u32_e32 vcc, s95, v3
                                        ; implicit-def: $vgpr3
	s_and_saveexec_b64 s[72:73], vcc
	s_xor_b64 s[72:73], exec, s[72:73]
	s_cbranch_execz .LBB6_6352
; %bb.6351:                             ;   in Loop: Header=BB6_6121 Depth=3
	v_ffbh_u32_e32 v16, v15
	v_min_u32_e32 v20, 32, v16
	v_mov_b32_e32 v33, v51
	v_subrev_u32_e32 v16, 29, v20
	v_bfe_u32 v1, v1, 2, 5
	v_lshlrev_b64 v[16:17], v16, v[32:33]
	v_sub_u32_e32 v17, 30, v20
	v_and_b32_e32 v16, 3, v16
	v_cmp_eq_u32_e32 vcc, 0, v1
	v_cndmask_b32_e32 v1, v1, v17, vcc
	v_cndmask_b32_e32 v15, v15, v16, vcc
	v_bfrev_b32_e32 v16, 28
	v_bfe_i32 v3, v32, 0, 16
	v_lshl_add_u32 v1, v1, 23, v16
	v_and_or_b32 v1, v3, s96, v1
	v_lshl_or_b32 v3, v15, 21, v1
                                        ; implicit-def: $vgpr15
                                        ; implicit-def: $vgpr32
.LBB6_6352:                             ;   in Loop: Header=BB6_6121 Depth=3
	s_andn2_saveexec_b64 s[72:73], s[72:73]
; %bb.6353:                             ;   in Loop: Header=BB6_6121 Depth=3
	v_cmp_lt_i16_e32 vcc, -1, v32
	v_mov_b32_e32 v1, 0xc7600000
	v_mov_b32_e32 v3, 0x47600000
	v_cndmask_b32_e32 v1, v1, v3, vcc
	v_cmp_eq_u32_e32 vcc, 0, v15
	v_mov_b32_e32 v3, 0x7f800001
	v_cndmask_b32_e32 v3, v3, v1, vcc
; %bb.6354:                             ;   in Loop: Header=BB6_6121 Depth=3
	s_or_b64 exec, exec, s[72:73]
.LBB6_6355:                             ;   in Loop: Header=BB6_6121 Depth=3
	s_or_b64 exec, exec, s[30:31]
.LBB6_6356:                             ;   in Loop: Header=BB6_6121 Depth=3
	s_or_b64 exec, exec, s[70:71]
	v_cmp_ne_u16_e32 vcc, 0, v34
	s_and_saveexec_b64 s[30:31], vcc
	s_cbranch_execz .LBB6_6364
; %bb.6357:                             ;   in Loop: Header=BB6_6121 Depth=3
	v_cmp_ne_u16_e32 vcc, s94, v34
	v_bfrev_b32_e32 v7, 1
	s_and_saveexec_b64 s[70:71], vcc
	s_cbranch_execz .LBB6_6363
; %bb.6358:                             ;   in Loop: Header=BB6_6121 Depth=3
	v_and_b32_e32 v7, 0x7c, v34
	v_and_b32_e32 v1, 3, v34
	v_cmp_ne_u32_e32 vcc, s95, v7
                                        ; implicit-def: $vgpr7
	s_and_saveexec_b64 s[72:73], vcc
	s_xor_b64 s[72:73], exec, s[72:73]
	s_cbranch_execz .LBB6_6360
; %bb.6359:                             ;   in Loop: Header=BB6_6121 Depth=3
	v_ffbh_u32_e32 v16, v1
	v_min_u32_e32 v20, 32, v16
	v_and_b32_e32 v7, 0xff, v34
	v_mov_b32_e32 v35, v51
	v_subrev_u32_e32 v16, 29, v20
	v_bfe_u32 v7, v7, 2, 5
	v_lshlrev_b64 v[16:17], v16, v[34:35]
	v_sub_u32_e32 v17, 30, v20
	v_and_b32_e32 v16, 3, v16
	v_cmp_eq_u32_e32 vcc, 0, v7
	v_cndmask_b32_e32 v7, v7, v17, vcc
	v_cndmask_b32_e32 v1, v1, v16, vcc
	v_bfrev_b32_e32 v16, 28
	v_bfe_i32 v15, v34, 0, 16
	v_lshl_add_u32 v7, v7, 23, v16
	v_and_or_b32 v7, v15, s96, v7
	v_lshl_or_b32 v7, v1, 21, v7
                                        ; implicit-def: $vgpr1
                                        ; implicit-def: $vgpr34
.LBB6_6360:                             ;   in Loop: Header=BB6_6121 Depth=3
	s_andn2_saveexec_b64 s[72:73], s[72:73]
; %bb.6361:                             ;   in Loop: Header=BB6_6121 Depth=3
	v_cmp_lt_i16_e32 vcc, -1, v34
	v_mov_b32_e32 v7, 0xc7600000
	v_mov_b32_e32 v15, 0x47600000
	v_cndmask_b32_e32 v7, v7, v15, vcc
	v_cmp_eq_u32_e32 vcc, 0, v1
	v_mov_b32_e32 v1, 0x7f800001
	v_cndmask_b32_e32 v7, v1, v7, vcc
; %bb.6362:                             ;   in Loop: Header=BB6_6121 Depth=3
	s_or_b64 exec, exec, s[72:73]
.LBB6_6363:                             ;   in Loop: Header=BB6_6121 Depth=3
	s_or_b64 exec, exec, s[70:71]
.LBB6_6364:                             ;   in Loop: Header=BB6_6121 Depth=3
	s_or_b64 exec, exec, s[30:31]
	v_max_f32_e32 v1, v7, v7
	v_max_f32_e32 v3, v3, v3
	v_min_f32_e32 v3, v3, v1
.LBB6_6365:                             ;   in Loop: Header=BB6_6121 Depth=3
	v_and_b32_sdwa v1, v3, s97 dst_sel:DWORD dst_unused:UNUSED_PAD src0_sel:BYTE_3 src1_sel:DWORD
	v_and_b32_e32 v50, 0x7fffff, v3
	v_or_b32_e32 v17, 0x7b, v1
	v_and_b32_e32 v22, 0x7f800000, v3
	v_mov_b32_e32 v23, v51
	v_cmp_ne_u64_e32 vcc, s[52:53], v[22:23]
	s_mov_b64 s[30:31], exec
	s_and_b64 vcc, s[30:31], vcc
	s_xor_b64 s[70:71], vcc, s[30:31]
	v_accvgpr_read_b32 v32, a54
	s_mov_b64 exec, vcc
	s_cbranch_execz .LBB6_6379
; %bb.6366:                             ;   in Loop: Header=BB6_6121 Depth=3
	v_and_b32_e32 v22, 0x7fffffff, v3
	v_mov_b32_e32 v23, v51
	v_cmp_gt_u64_e32 vcc, s[54:55], v[22:23]
	s_and_saveexec_b64 s[30:31], vcc
	s_xor_b64 s[72:73], exec, s[30:31]
	s_cbranch_execz .LBB6_6378
; %bb.6367:                             ;   in Loop: Header=BB6_6121 Depth=3
	v_cmp_ne_u32_e32 vcc, 0, v3
	v_mov_b32_e32 v17, 0
	s_and_saveexec_b64 s[74:75], vcc
	s_cbranch_execz .LBB6_6377
; %bb.6368:                             ;   in Loop: Header=BB6_6121 Depth=3
	v_bfe_u32 v3, v3, 23, 8
	v_cmp_eq_u32_e32 vcc, 0, v3
	v_add_u32_e32 v7, 0xffffff81, v3
	v_cmp_gt_u32_e64 s[30:31], s38, v3
	v_sub_u32_e32 v3, 0x71, v3
	v_mov_b32_e32 v16, 0xffffff82
	v_cndmask_b32_e64 v3, 0, v3, s[30:31]
	v_cndmask_b32_e32 v7, v7, v16, vcc
	v_mov_b32_e32 v16, 0x70
	v_or_b32_e32 v15, 0x800000, v50
	v_cndmask_b32_e32 v3, v3, v16, vcc
	v_cndmask_b32_e32 v50, v15, v50, vcc
	v_add_u32_e32 v15, 21, v3
	v_lshlrev_b64 v[16:17], v15, -1
	v_not_b32_e32 v15, v17
	v_not_b32_e32 v16, v16
	v_and_b32_e32 v17, 0, v15
	v_add_u32_e32 v15, 20, v3
	v_and_b32_e32 v16, v50, v16
	v_lshlrev_b64 v[22:23], v15, 1
	v_cmp_eq_u64_e32 vcc, v[16:17], v[22:23]
	v_lshrrev_b64 v[16:17], v3, v[50:51]
	v_lshrrev_b32_e32 v15, 23, v16
	v_add3_u32 v15, v3, v7, v15
	v_bfe_u32 v3, v16, 21, 1
	v_add_u32_e32 v3, -1, v3
	v_cndmask_b32_e32 v3, 0, v3, vcc
	v_add_u32_e32 v3, v3, v16
	v_and_b32_e32 v3, 0x1fffff, v3
	v_add_co_u32_e32 v16, vcc, v3, v16
	v_add_u32_e32 v7, 14, v15
	v_addc_co_u32_e32 v17, vcc, 0, v17, vcc
	v_cmp_ne_u32_e32 vcc, 0, v7
                                        ; implicit-def: $vgpr3
	s_and_saveexec_b64 s[30:31], vcc
	s_xor_b64 s[30:31], exec, s[30:31]
; %bb.6369:                             ;   in Loop: Header=BB6_6121 Depth=3
	v_add_u32_e32 v3, 15, v15
	v_cmp_lt_u64_e32 vcc, s[56:57], v[16:17]
	v_cndmask_b32_e32 v3, v7, v3, vcc
	v_cndmask_b32_e64 v7, 0, 1, vcc
	v_lshrrev_b64 v[16:17], v7, v[16:17]
; %bb.6370:                             ;   in Loop: Header=BB6_6121 Depth=3
	s_andn2_saveexec_b64 vcc, s[30:31]
; %bb.6371:                             ;   in Loop: Header=BB6_6121 Depth=3
	v_bfe_u32 v3, v16, 23, 1
; %bb.6372:                             ;   in Loop: Header=BB6_6121 Depth=3
	s_or_b64 exec, exec, vcc
	v_lshrrev_b64 v[16:17], 21, v[16:17]
	v_cmp_gt_i32_e32 vcc, 32, v3
	v_cndmask_b32_e32 v17, 0, v17, vcc
	v_cndmask_b32_e32 v16, 3, v16, vcc
	v_cmp_ne_u32_e32 vcc, 0, v3
	v_cmp_ne_u64_e64 s[30:31], 0, v[16:17]
	s_or_b64 vcc, vcc, s[30:31]
                                        ; implicit-def: $vgpr17
	s_and_saveexec_b64 s[30:31], vcc
	s_xor_b64 vcc, exec, s[30:31]
; %bb.6373:                             ;   in Loop: Header=BB6_6121 Depth=3
	v_min_i32_e32 v3, 31, v3
	v_lshl_or_b32 v1, v3, 2, v1
	v_and_or_b32 v17, v16, 3, v1
                                        ; implicit-def: $vgpr1
; %bb.6374:                             ;   in Loop: Header=BB6_6121 Depth=3
	s_andn2_saveexec_b64 vcc, vcc
; %bb.6375:                             ;   in Loop: Header=BB6_6121 Depth=3
	v_mov_b32_e32 v17, v1
; %bb.6376:                             ;   in Loop: Header=BB6_6121 Depth=3
	s_or_b64 exec, exec, vcc
.LBB6_6377:                             ;   in Loop: Header=BB6_6121 Depth=3
	s_or_b64 exec, exec, s[74:75]
.LBB6_6378:                             ;   in Loop: Header=BB6_6121 Depth=3
	s_andn2_saveexec_b64 vcc, s[72:73]
	s_or_b64 exec, exec, vcc
                                        ; implicit-def: $vgpr3
.LBB6_6379:                             ;   in Loop: Header=BB6_6121 Depth=3
	s_andn2_saveexec_b64 s[30:31], s[70:71]
; %bb.6380:                             ;   in Loop: Header=BB6_6121 Depth=3
	v_or_b32_sdwa v1, v3, s39 dst_sel:DWORD dst_unused:UNUSED_PAD src0_sel:BYTE_3 src1_sel:DWORD
	v_cmp_eq_u64_e32 vcc, 0, v[50:51]
	v_cndmask_b32_e32 v17, v1, v17, vcc
; %bb.6381:                             ;   in Loop: Header=BB6_6121 Depth=3
	s_or_b64 exec, exec, s[30:31]
	v_and_b32_e32 v1, 0xff, v14
	s_and_b64 vcc, exec, s[28:29]
	v_cmp_ne_u16_e64 s[30:31], 0, v14
	s_cbranch_vccnz .LBB6_6399
; %bb.6382:                             ;   in Loop: Header=BB6_6121 Depth=3
	v_mov_b32_e32 v7, 0
	v_mov_b32_e32 v3, 0
	s_and_saveexec_b64 s[70:71], s[30:31]
	s_cbranch_execz .LBB6_6390
; %bb.6383:                             ;   in Loop: Header=BB6_6121 Depth=3
	v_cmp_ne_u16_e32 vcc, s94, v14
	v_bfrev_b32_e32 v3, 1
	s_and_saveexec_b64 s[72:73], vcc
	s_cbranch_execz .LBB6_6389
; %bb.6384:                             ;   in Loop: Header=BB6_6121 Depth=3
	v_and_b32_e32 v3, 0x7c, v1
	v_and_b32_e32 v16, 3, v1
	v_cmp_ne_u32_e32 vcc, s95, v3
                                        ; implicit-def: $vgpr3
	s_and_saveexec_b64 s[74:75], vcc
	s_xor_b64 s[74:75], exec, s[74:75]
	s_cbranch_execz .LBB6_6386
; %bb.6385:                             ;   in Loop: Header=BB6_6121 Depth=3
	v_ffbh_u32_e32 v22, v16
	v_min_u32_e32 v24, 32, v22
	v_mov_b32_e32 v15, v51
	v_subrev_u32_e32 v22, 29, v24
	v_bfe_u32 v3, v1, 2, 5
	v_lshlrev_b64 v[22:23], v22, v[14:15]
	v_sub_u32_e32 v15, 30, v24
	v_and_b32_e32 v22, 3, v22
	v_cmp_eq_u32_e32 vcc, 0, v3
	v_cndmask_b32_e32 v3, v3, v15, vcc
	v_cndmask_b32_e32 v15, v16, v22, vcc
	v_bfrev_b32_e32 v16, 28
	v_bfe_i32 v20, v14, 0, 16
	v_lshl_add_u32 v3, v3, 23, v16
	v_and_or_b32 v3, v20, s96, v3
	v_lshl_or_b32 v3, v15, 21, v3
                                        ; implicit-def: $vgpr16
.LBB6_6386:                             ;   in Loop: Header=BB6_6121 Depth=3
	s_andn2_saveexec_b64 s[74:75], s[74:75]
; %bb.6387:                             ;   in Loop: Header=BB6_6121 Depth=3
	v_cmp_lt_i16_e32 vcc, -1, v14
	v_mov_b32_e32 v3, 0xc7600000
	v_mov_b32_e32 v15, 0x47600000
	v_cndmask_b32_e32 v3, v3, v15, vcc
	v_cmp_eq_u32_e32 vcc, 0, v16
	v_mov_b32_e32 v15, 0x7f800001
	v_cndmask_b32_e32 v3, v15, v3, vcc
; %bb.6388:                             ;   in Loop: Header=BB6_6121 Depth=3
	s_or_b64 exec, exec, s[74:75]
.LBB6_6389:                             ;   in Loop: Header=BB6_6121 Depth=3
	s_or_b64 exec, exec, s[72:73]
.LBB6_6390:                             ;   in Loop: Header=BB6_6121 Depth=3
	s_or_b64 exec, exec, s[70:71]
	v_cmp_ne_u16_e32 vcc, 0, v54
	s_and_saveexec_b64 s[70:71], vcc
	s_cbranch_execz .LBB6_6398
; %bb.6391:                             ;   in Loop: Header=BB6_6121 Depth=3
	v_cmp_ne_u16_e32 vcc, s94, v54
	v_bfrev_b32_e32 v7, 1
	s_and_saveexec_b64 s[72:73], vcc
	s_cbranch_execz .LBB6_6397
; %bb.6392:                             ;   in Loop: Header=BB6_6121 Depth=3
	v_and_b32_e32 v7, 0x7c, v54
	v_and_b32_e32 v15, 3, v54
	v_cmp_ne_u32_e32 vcc, s95, v7
                                        ; implicit-def: $vgpr7
	s_and_saveexec_b64 s[74:75], vcc
	s_xor_b64 s[74:75], exec, s[74:75]
	s_cbranch_execz .LBB6_6394
; %bb.6393:                             ;   in Loop: Header=BB6_6121 Depth=3
	v_and_b32_e32 v7, 0xff, v54
	v_ffbh_u32_e32 v20, v15
	v_bfe_u32 v7, v7, 2, 5
	v_min_u32_e32 v20, 32, v20
	v_mov_b32_e32 v55, v51
	v_subrev_u32_e32 v22, 29, v20
	v_sub_u32_e32 v20, 30, v20
	v_cmp_eq_u32_e32 vcc, 0, v7
	v_lshlrev_b64 v[22:23], v22, v[54:55]
	v_cndmask_b32_e32 v7, v7, v20, vcc
	v_bfrev_b32_e32 v20, 28
	v_bfe_i32 v16, v54, 0, 16
	v_and_b32_e32 v22, 3, v22
	v_lshl_add_u32 v7, v7, 23, v20
	v_cndmask_b32_e32 v15, v15, v22, vcc
	v_and_or_b32 v7, v16, s96, v7
	v_lshl_or_b32 v7, v15, 21, v7
                                        ; implicit-def: $vgpr15
.LBB6_6394:                             ;   in Loop: Header=BB6_6121 Depth=3
	s_andn2_saveexec_b64 s[74:75], s[74:75]
; %bb.6395:                             ;   in Loop: Header=BB6_6121 Depth=3
	v_cmp_lt_i16_e32 vcc, -1, v54
	v_mov_b32_e32 v7, 0xc7600000
	v_mov_b32_e32 v16, 0x47600000
	v_cndmask_b32_e32 v7, v7, v16, vcc
	v_cmp_eq_u32_e32 vcc, 0, v15
	v_mov_b32_e32 v15, 0x7f800001
	v_cndmask_b32_e32 v7, v15, v7, vcc
; %bb.6396:                             ;   in Loop: Header=BB6_6121 Depth=3
	s_or_b64 exec, exec, s[74:75]
.LBB6_6397:                             ;   in Loop: Header=BB6_6121 Depth=3
	s_or_b64 exec, exec, s[72:73]
.LBB6_6398:                             ;   in Loop: Header=BB6_6121 Depth=3
	s_or_b64 exec, exec, s[70:71]
	v_max_f32_e32 v7, v7, v7
	v_max_f32_e32 v3, v3, v3
	v_max_f32_e32 v3, v3, v7
	s_branch .LBB6_6417
.LBB6_6399:                             ;   in Loop: Header=BB6_6121 Depth=3
                                        ; implicit-def: $vgpr3
	s_cbranch_execz .LBB6_6417
; %bb.6400:                             ;   in Loop: Header=BB6_6121 Depth=3
	v_mov_b32_e32 v7, 0
	v_mov_b32_e32 v3, 0
	s_and_saveexec_b64 s[70:71], s[30:31]
	s_cbranch_execz .LBB6_6408
; %bb.6401:                             ;   in Loop: Header=BB6_6121 Depth=3
	v_cmp_ne_u16_e32 vcc, s94, v14
	v_bfrev_b32_e32 v3, 1
	s_and_saveexec_b64 s[30:31], vcc
	s_cbranch_execz .LBB6_6407
; %bb.6402:                             ;   in Loop: Header=BB6_6121 Depth=3
	v_and_b32_e32 v3, 0x7c, v1
	v_and_b32_e32 v16, 3, v1
	v_cmp_ne_u32_e32 vcc, s95, v3
                                        ; implicit-def: $vgpr3
	s_and_saveexec_b64 s[72:73], vcc
	s_xor_b64 s[72:73], exec, s[72:73]
	s_cbranch_execz .LBB6_6404
; %bb.6403:                             ;   in Loop: Header=BB6_6121 Depth=3
	v_ffbh_u32_e32 v20, v16
	v_min_u32_e32 v20, 32, v20
	v_mov_b32_e32 v15, v51
	v_subrev_u32_e32 v22, 29, v20
	v_bfe_u32 v1, v1, 2, 5
	v_bfe_i32 v3, v14, 0, 16
	v_lshlrev_b64 v[14:15], v22, v[14:15]
	v_sub_u32_e32 v15, 30, v20
	v_cmp_eq_u32_e32 vcc, 0, v1
	v_cndmask_b32_e32 v1, v1, v15, vcc
	v_bfrev_b32_e32 v15, 28
	v_and_b32_e32 v14, 3, v14
	v_lshl_add_u32 v1, v1, 23, v15
	v_cndmask_b32_e32 v14, v16, v14, vcc
	v_and_or_b32 v1, v3, s96, v1
	v_lshl_or_b32 v3, v14, 21, v1
                                        ; implicit-def: $vgpr16
                                        ; implicit-def: $vgpr14
.LBB6_6404:                             ;   in Loop: Header=BB6_6121 Depth=3
	s_andn2_saveexec_b64 s[72:73], s[72:73]
; %bb.6405:                             ;   in Loop: Header=BB6_6121 Depth=3
	v_cmp_lt_i16_e32 vcc, -1, v14
	v_mov_b32_e32 v1, 0xc7600000
	v_mov_b32_e32 v3, 0x47600000
	v_cndmask_b32_e32 v1, v1, v3, vcc
	v_cmp_eq_u32_e32 vcc, 0, v16
	v_mov_b32_e32 v3, 0x7f800001
	v_cndmask_b32_e32 v3, v3, v1, vcc
; %bb.6406:                             ;   in Loop: Header=BB6_6121 Depth=3
	s_or_b64 exec, exec, s[72:73]
.LBB6_6407:                             ;   in Loop: Header=BB6_6121 Depth=3
	s_or_b64 exec, exec, s[30:31]
.LBB6_6408:                             ;   in Loop: Header=BB6_6121 Depth=3
	s_or_b64 exec, exec, s[70:71]
	v_cmp_ne_u16_e32 vcc, 0, v54
	s_and_saveexec_b64 s[30:31], vcc
	s_cbranch_execz .LBB6_6416
; %bb.6409:                             ;   in Loop: Header=BB6_6121 Depth=3
	v_cmp_ne_u16_e32 vcc, s94, v54
	v_bfrev_b32_e32 v7, 1
	s_and_saveexec_b64 s[70:71], vcc
	s_cbranch_execz .LBB6_6415
; %bb.6410:                             ;   in Loop: Header=BB6_6121 Depth=3
	v_and_b32_e32 v7, 0x7c, v54
	v_and_b32_e32 v1, 3, v54
	v_cmp_ne_u32_e32 vcc, s95, v7
                                        ; implicit-def: $vgpr7
	s_and_saveexec_b64 s[72:73], vcc
	s_xor_b64 s[72:73], exec, s[72:73]
	s_cbranch_execz .LBB6_6412
; %bb.6411:                             ;   in Loop: Header=BB6_6121 Depth=3
	v_ffbh_u32_e32 v14, v1
	v_min_u32_e32 v20, 32, v14
	v_and_b32_e32 v7, 0xff, v54
	v_mov_b32_e32 v55, v51
	v_subrev_u32_e32 v14, 29, v20
	v_bfe_u32 v7, v7, 2, 5
	v_lshlrev_b64 v[14:15], v14, v[54:55]
	v_sub_u32_e32 v15, 30, v20
	v_and_b32_e32 v14, 3, v14
	v_cmp_eq_u32_e32 vcc, 0, v7
	v_cndmask_b32_e32 v7, v7, v15, vcc
	v_cndmask_b32_e32 v1, v1, v14, vcc
	v_bfrev_b32_e32 v14, 28
	v_bfe_i32 v16, v54, 0, 16
	v_lshl_add_u32 v7, v7, 23, v14
	v_and_or_b32 v7, v16, s96, v7
	v_lshl_or_b32 v7, v1, 21, v7
                                        ; implicit-def: $vgpr1
                                        ; implicit-def: $vgpr54
.LBB6_6412:                             ;   in Loop: Header=BB6_6121 Depth=3
	s_andn2_saveexec_b64 s[72:73], s[72:73]
; %bb.6413:                             ;   in Loop: Header=BB6_6121 Depth=3
	v_cmp_lt_i16_e32 vcc, -1, v54
	v_mov_b32_e32 v7, 0xc7600000
	v_mov_b32_e32 v14, 0x47600000
	v_cndmask_b32_e32 v7, v7, v14, vcc
	v_cmp_eq_u32_e32 vcc, 0, v1
	v_mov_b32_e32 v1, 0x7f800001
	v_cndmask_b32_e32 v7, v1, v7, vcc
; %bb.6414:                             ;   in Loop: Header=BB6_6121 Depth=3
	s_or_b64 exec, exec, s[72:73]
.LBB6_6415:                             ;   in Loop: Header=BB6_6121 Depth=3
	s_or_b64 exec, exec, s[70:71]
.LBB6_6416:                             ;   in Loop: Header=BB6_6121 Depth=3
	s_or_b64 exec, exec, s[30:31]
	v_max_f32_e32 v1, v7, v7
	v_max_f32_e32 v3, v3, v3
	v_min_f32_e32 v3, v3, v1
.LBB6_6417:                             ;   in Loop: Header=BB6_6121 Depth=3
	v_and_b32_sdwa v1, v3, s97 dst_sel:DWORD dst_unused:UNUSED_PAD src0_sel:BYTE_3 src1_sel:DWORD
	v_and_b32_e32 v22, 0x7f800000, v3
	v_mov_b32_e32 v23, v51
	v_and_b32_e32 v50, 0x7fffff, v3
	v_or_b32_e32 v15, 0x7b, v1
	v_cmp_ne_u64_e32 vcc, s[52:53], v[22:23]
	s_and_saveexec_b64 s[30:31], vcc
	s_xor_b64 s[70:71], exec, s[30:31]
	s_cbranch_execz .LBB6_6431
; %bb.6418:                             ;   in Loop: Header=BB6_6121 Depth=3
	v_and_b32_e32 v22, 0x7fffffff, v3
	v_mov_b32_e32 v23, v51
	v_cmp_gt_u64_e32 vcc, s[54:55], v[22:23]
	s_and_saveexec_b64 s[30:31], vcc
	s_xor_b64 s[72:73], exec, s[30:31]
	s_cbranch_execz .LBB6_6430
; %bb.6419:                             ;   in Loop: Header=BB6_6121 Depth=3
	v_cmp_ne_u32_e32 vcc, 0, v3
	v_mov_b32_e32 v15, 0
	s_and_saveexec_b64 s[74:75], vcc
	s_cbranch_execz .LBB6_6429
; %bb.6420:                             ;   in Loop: Header=BB6_6121 Depth=3
	v_bfe_u32 v3, v3, 23, 8
	v_cmp_eq_u32_e32 vcc, 0, v3
	v_add_u32_e32 v7, 0xffffff81, v3
	v_cmp_gt_u32_e64 s[30:31], s38, v3
	v_sub_u32_e32 v3, 0x71, v3
	v_mov_b32_e32 v15, 0xffffff82
	v_cndmask_b32_e64 v3, 0, v3, s[30:31]
	v_cndmask_b32_e32 v7, v7, v15, vcc
	v_mov_b32_e32 v15, 0x70
	v_or_b32_e32 v14, 0x800000, v50
	v_cndmask_b32_e32 v3, v3, v15, vcc
	v_cndmask_b32_e32 v50, v14, v50, vcc
	v_add_u32_e32 v14, 21, v3
	v_lshlrev_b64 v[14:15], v14, -1
	v_not_b32_e32 v15, v15
	v_not_b32_e32 v14, v14
	v_add_u32_e32 v16, 20, v3
	v_and_b32_e32 v15, 0, v15
	v_and_b32_e32 v14, v50, v14
	v_lshlrev_b64 v[22:23], v16, 1
	v_cmp_eq_u64_e32 vcc, v[14:15], v[22:23]
	v_lshrrev_b64 v[14:15], v3, v[50:51]
	v_lshrrev_b32_e32 v16, 23, v14
	v_add3_u32 v16, v3, v7, v16
	v_bfe_u32 v3, v14, 21, 1
	v_add_u32_e32 v3, -1, v3
	v_cndmask_b32_e32 v3, 0, v3, vcc
	v_add_u32_e32 v3, v3, v14
	v_and_b32_e32 v3, 0x1fffff, v3
	v_add_co_u32_e32 v14, vcc, v3, v14
	v_add_u32_e32 v7, 14, v16
	v_addc_co_u32_e32 v15, vcc, 0, v15, vcc
	v_cmp_ne_u32_e32 vcc, 0, v7
                                        ; implicit-def: $vgpr3
	s_and_saveexec_b64 s[30:31], vcc
	s_xor_b64 s[30:31], exec, s[30:31]
; %bb.6421:                             ;   in Loop: Header=BB6_6121 Depth=3
	v_add_u32_e32 v3, 15, v16
	v_cmp_lt_u64_e32 vcc, s[56:57], v[14:15]
	v_cndmask_b32_e32 v3, v7, v3, vcc
	v_cndmask_b32_e64 v7, 0, 1, vcc
	v_lshrrev_b64 v[14:15], v7, v[14:15]
; %bb.6422:                             ;   in Loop: Header=BB6_6121 Depth=3
	s_andn2_saveexec_b64 vcc, s[30:31]
; %bb.6423:                             ;   in Loop: Header=BB6_6121 Depth=3
	v_bfe_u32 v3, v14, 23, 1
; %bb.6424:                             ;   in Loop: Header=BB6_6121 Depth=3
	s_or_b64 exec, exec, vcc
	v_lshrrev_b64 v[14:15], 21, v[14:15]
	v_cmp_gt_i32_e32 vcc, 32, v3
	v_cndmask_b32_e32 v15, 0, v15, vcc
	v_cndmask_b32_e32 v14, 3, v14, vcc
	v_cmp_ne_u32_e32 vcc, 0, v3
	v_cmp_ne_u64_e64 s[30:31], 0, v[14:15]
	s_or_b64 vcc, vcc, s[30:31]
                                        ; implicit-def: $vgpr15
	s_and_saveexec_b64 s[30:31], vcc
	s_xor_b64 vcc, exec, s[30:31]
; %bb.6425:                             ;   in Loop: Header=BB6_6121 Depth=3
	v_min_i32_e32 v3, 31, v3
	v_lshl_or_b32 v1, v3, 2, v1
	v_and_or_b32 v15, v14, 3, v1
                                        ; implicit-def: $vgpr1
; %bb.6426:                             ;   in Loop: Header=BB6_6121 Depth=3
	s_andn2_saveexec_b64 vcc, vcc
; %bb.6427:                             ;   in Loop: Header=BB6_6121 Depth=3
	v_mov_b32_e32 v15, v1
; %bb.6428:                             ;   in Loop: Header=BB6_6121 Depth=3
	s_or_b64 exec, exec, vcc
.LBB6_6429:                             ;   in Loop: Header=BB6_6121 Depth=3
	s_or_b64 exec, exec, s[74:75]
.LBB6_6430:                             ;   in Loop: Header=BB6_6121 Depth=3
	s_andn2_saveexec_b64 vcc, s[72:73]
	s_or_b64 exec, exec, vcc
                                        ; implicit-def: $vgpr3
.LBB6_6431:                             ;   in Loop: Header=BB6_6121 Depth=3
	s_andn2_saveexec_b64 s[30:31], s[70:71]
; %bb.6432:                             ;   in Loop: Header=BB6_6121 Depth=3
	v_or_b32_sdwa v1, v3, s39 dst_sel:DWORD dst_unused:UNUSED_PAD src0_sel:BYTE_3 src1_sel:DWORD
	v_cmp_eq_u64_e32 vcc, 0, v[50:51]
	v_cndmask_b32_e32 v15, v1, v15, vcc
; %bb.6433:                             ;   in Loop: Header=BB6_6121 Depth=3
	s_or_b64 exec, exec, s[30:31]
	v_and_b32_e32 v1, 0xff, v36
	s_and_b64 vcc, exec, s[28:29]
	v_cmp_ne_u16_e64 s[30:31], 0, v36
	s_cbranch_vccnz .LBB6_6451
; %bb.6434:                             ;   in Loop: Header=BB6_6121 Depth=3
	v_mov_b32_e32 v3, 0
	v_mov_b32_e32 v7, 0
	s_and_saveexec_b64 s[70:71], s[30:31]
	s_cbranch_execz .LBB6_6442
; %bb.6435:                             ;   in Loop: Header=BB6_6121 Depth=3
	v_cmp_ne_u16_e32 vcc, s94, v36
	v_bfrev_b32_e32 v7, 1
	s_and_saveexec_b64 s[72:73], vcc
	s_cbranch_execz .LBB6_6441
; %bb.6436:                             ;   in Loop: Header=BB6_6121 Depth=3
	v_and_b32_e32 v7, 0x7c, v1
	v_and_b32_e32 v14, 3, v1
	v_cmp_ne_u32_e32 vcc, s95, v7
                                        ; implicit-def: $vgpr7
	s_and_saveexec_b64 s[74:75], vcc
	s_xor_b64 s[74:75], exec, s[74:75]
	s_cbranch_execz .LBB6_6438
; %bb.6437:                             ;   in Loop: Header=BB6_6121 Depth=3
	v_ffbh_u32_e32 v20, v14
	v_bfe_u32 v7, v1, 2, 5
	v_min_u32_e32 v20, 32, v20
	v_mov_b32_e32 v37, v51
	v_subrev_u32_e32 v22, 29, v20
	v_sub_u32_e32 v20, 30, v20
	v_cmp_eq_u32_e32 vcc, 0, v7
	v_lshlrev_b64 v[22:23], v22, v[36:37]
	v_cndmask_b32_e32 v7, v7, v20, vcc
	v_bfrev_b32_e32 v20, 28
	v_bfe_i32 v16, v36, 0, 16
	v_and_b32_e32 v22, 3, v22
	v_lshl_add_u32 v7, v7, 23, v20
	v_cndmask_b32_e32 v14, v14, v22, vcc
	v_and_or_b32 v7, v16, s96, v7
	v_lshl_or_b32 v7, v14, 21, v7
                                        ; implicit-def: $vgpr14
.LBB6_6438:                             ;   in Loop: Header=BB6_6121 Depth=3
	s_andn2_saveexec_b64 s[74:75], s[74:75]
; %bb.6439:                             ;   in Loop: Header=BB6_6121 Depth=3
	v_cmp_lt_i16_e32 vcc, -1, v36
	v_mov_b32_e32 v7, 0xc7600000
	v_mov_b32_e32 v16, 0x47600000
	v_cndmask_b32_e32 v7, v7, v16, vcc
	v_cmp_eq_u32_e32 vcc, 0, v14
	v_mov_b32_e32 v14, 0x7f800001
	v_cndmask_b32_e32 v7, v14, v7, vcc
; %bb.6440:                             ;   in Loop: Header=BB6_6121 Depth=3
	s_or_b64 exec, exec, s[74:75]
.LBB6_6441:                             ;   in Loop: Header=BB6_6121 Depth=3
	s_or_b64 exec, exec, s[72:73]
.LBB6_6442:                             ;   in Loop: Header=BB6_6121 Depth=3
	s_or_b64 exec, exec, s[70:71]
	v_cmp_ne_u16_e32 vcc, 0, v2
	s_and_saveexec_b64 s[70:71], vcc
	s_cbranch_execz .LBB6_6450
; %bb.6443:                             ;   in Loop: Header=BB6_6121 Depth=3
	v_cmp_ne_u16_e32 vcc, s94, v2
	v_bfrev_b32_e32 v3, 1
	s_and_saveexec_b64 s[72:73], vcc
	s_cbranch_execz .LBB6_6449
; %bb.6444:                             ;   in Loop: Header=BB6_6121 Depth=3
	v_and_b32_e32 v3, 0x7c, v2
	v_and_b32_e32 v14, 3, v2
	v_cmp_ne_u32_e32 vcc, s95, v3
                                        ; implicit-def: $vgpr3
	s_and_saveexec_b64 s[74:75], vcc
	s_xor_b64 s[74:75], exec, s[74:75]
	s_cbranch_execz .LBB6_6446
; %bb.6445:                             ;   in Loop: Header=BB6_6121 Depth=3
	v_ffbh_u32_e32 v22, v14
	v_and_b32_e32 v16, 0xff, v2
	v_min_u32_e32 v24, 32, v22
	v_mov_b32_e32 v3, v51
	v_bfe_u32 v16, v16, 2, 5
	v_subrev_u32_e32 v22, 29, v24
	v_lshlrev_b64 v[22:23], v22, v[2:3]
	v_sub_u32_e32 v3, 30, v24
	v_cmp_eq_u32_e32 vcc, 0, v16
	v_cndmask_b32_e32 v3, v16, v3, vcc
	v_bfrev_b32_e32 v16, 28
	v_bfe_i32 v20, v2, 0, 16
	v_and_b32_e32 v22, 3, v22
	v_lshl_add_u32 v3, v3, 23, v16
	v_cndmask_b32_e32 v14, v14, v22, vcc
	v_and_or_b32 v3, v20, s96, v3
	v_lshl_or_b32 v3, v14, 21, v3
                                        ; implicit-def: $vgpr14
.LBB6_6446:                             ;   in Loop: Header=BB6_6121 Depth=3
	s_andn2_saveexec_b64 s[74:75], s[74:75]
; %bb.6447:                             ;   in Loop: Header=BB6_6121 Depth=3
	v_cmp_lt_i16_e32 vcc, -1, v2
	v_mov_b32_e32 v3, 0xc7600000
	v_mov_b32_e32 v16, 0x47600000
	v_cndmask_b32_e32 v3, v3, v16, vcc
	v_cmp_eq_u32_e32 vcc, 0, v14
	v_mov_b32_e32 v14, 0x7f800001
	v_cndmask_b32_e32 v3, v14, v3, vcc
; %bb.6448:                             ;   in Loop: Header=BB6_6121 Depth=3
	s_or_b64 exec, exec, s[74:75]
.LBB6_6449:                             ;   in Loop: Header=BB6_6121 Depth=3
	s_or_b64 exec, exec, s[72:73]
.LBB6_6450:                             ;   in Loop: Header=BB6_6121 Depth=3
	s_or_b64 exec, exec, s[70:71]
	v_max_f32_e32 v3, v3, v3
	v_max_f32_e32 v7, v7, v7
	;; [unrolled: 1-line block ×3, first 2 shown]
	s_branch .LBB6_6469
.LBB6_6451:                             ;   in Loop: Header=BB6_6121 Depth=3
                                        ; implicit-def: $vgpr3
	s_cbranch_execz .LBB6_6469
; %bb.6452:                             ;   in Loop: Header=BB6_6121 Depth=3
	v_mov_b32_e32 v3, 0
	v_mov_b32_e32 v7, 0
	s_and_saveexec_b64 s[70:71], s[30:31]
	s_cbranch_execz .LBB6_6460
; %bb.6453:                             ;   in Loop: Header=BB6_6121 Depth=3
	v_cmp_ne_u16_e32 vcc, s94, v36
	v_bfrev_b32_e32 v7, 1
	s_and_saveexec_b64 s[30:31], vcc
	s_cbranch_execz .LBB6_6459
; %bb.6454:                             ;   in Loop: Header=BB6_6121 Depth=3
	v_and_b32_e32 v7, 0x7c, v1
	v_and_b32_e32 v14, 3, v1
	v_cmp_ne_u32_e32 vcc, s95, v7
                                        ; implicit-def: $vgpr7
	s_and_saveexec_b64 s[72:73], vcc
	s_xor_b64 s[72:73], exec, s[72:73]
	s_cbranch_execz .LBB6_6456
; %bb.6455:                             ;   in Loop: Header=BB6_6121 Depth=3
	v_ffbh_u32_e32 v16, v14
	v_bfe_u32 v1, v1, 2, 5
	v_min_u32_e32 v16, 32, v16
	v_mov_b32_e32 v37, v51
	v_subrev_u32_e32 v20, 29, v16
	v_sub_u32_e32 v16, 30, v16
	v_cmp_eq_u32_e32 vcc, 0, v1
	v_lshlrev_b64 v[22:23], v20, v[36:37]
	v_cndmask_b32_e32 v1, v1, v16, vcc
	v_bfrev_b32_e32 v16, 28
	v_bfe_i32 v7, v36, 0, 16
	v_and_b32_e32 v20, 3, v22
	v_lshl_add_u32 v1, v1, 23, v16
	v_cndmask_b32_e32 v14, v14, v20, vcc
	v_and_or_b32 v1, v7, s96, v1
	v_lshl_or_b32 v7, v14, 21, v1
                                        ; implicit-def: $vgpr14
                                        ; implicit-def: $vgpr36
.LBB6_6456:                             ;   in Loop: Header=BB6_6121 Depth=3
	s_andn2_saveexec_b64 s[72:73], s[72:73]
; %bb.6457:                             ;   in Loop: Header=BB6_6121 Depth=3
	v_cmp_lt_i16_e32 vcc, -1, v36
	v_mov_b32_e32 v1, 0xc7600000
	v_mov_b32_e32 v7, 0x47600000
	v_cndmask_b32_e32 v1, v1, v7, vcc
	v_cmp_eq_u32_e32 vcc, 0, v14
	v_mov_b32_e32 v7, 0x7f800001
	v_cndmask_b32_e32 v7, v7, v1, vcc
; %bb.6458:                             ;   in Loop: Header=BB6_6121 Depth=3
	s_or_b64 exec, exec, s[72:73]
.LBB6_6459:                             ;   in Loop: Header=BB6_6121 Depth=3
	s_or_b64 exec, exec, s[30:31]
.LBB6_6460:                             ;   in Loop: Header=BB6_6121 Depth=3
	s_or_b64 exec, exec, s[70:71]
	v_cmp_ne_u16_e32 vcc, 0, v2
	s_and_saveexec_b64 s[30:31], vcc
	s_cbranch_execz .LBB6_6468
; %bb.6461:                             ;   in Loop: Header=BB6_6121 Depth=3
	v_cmp_ne_u16_e32 vcc, s94, v2
	v_bfrev_b32_e32 v3, 1
	s_and_saveexec_b64 s[70:71], vcc
	s_cbranch_execz .LBB6_6467
; %bb.6462:                             ;   in Loop: Header=BB6_6121 Depth=3
	v_and_b32_e32 v3, 0x7c, v2
	v_and_b32_e32 v1, 3, v2
	v_cmp_ne_u32_e32 vcc, s95, v3
                                        ; implicit-def: $vgpr3
	s_and_saveexec_b64 s[72:73], vcc
	s_xor_b64 s[72:73], exec, s[72:73]
	s_cbranch_execz .LBB6_6464
; %bb.6463:                             ;   in Loop: Header=BB6_6121 Depth=3
	v_ffbh_u32_e32 v20, v1
	v_min_u32_e32 v20, 32, v20
	v_and_b32_e32 v14, 0xff, v2
	v_mov_b32_e32 v3, v51
	v_subrev_u32_e32 v22, 29, v20
	v_bfe_u32 v14, v14, 2, 5
	v_bfe_i32 v16, v2, 0, 16
	v_lshlrev_b64 v[2:3], v22, v[2:3]
	v_sub_u32_e32 v3, 30, v20
	v_and_b32_e32 v2, 3, v2
	v_cmp_eq_u32_e32 vcc, 0, v14
	v_cndmask_b32_e32 v3, v14, v3, vcc
	v_cndmask_b32_e32 v1, v1, v2, vcc
	v_bfrev_b32_e32 v2, 28
	v_lshl_add_u32 v2, v3, 23, v2
	v_and_or_b32 v2, v16, s96, v2
	v_lshl_or_b32 v3, v1, 21, v2
                                        ; implicit-def: $vgpr1
                                        ; implicit-def: $vgpr2
.LBB6_6464:                             ;   in Loop: Header=BB6_6121 Depth=3
	s_andn2_saveexec_b64 s[72:73], s[72:73]
; %bb.6465:                             ;   in Loop: Header=BB6_6121 Depth=3
	v_cmp_lt_i16_e32 vcc, -1, v2
	v_mov_b32_e32 v2, 0xc7600000
	v_mov_b32_e32 v3, 0x47600000
	v_cndmask_b32_e32 v2, v2, v3, vcc
	v_cmp_eq_u32_e32 vcc, 0, v1
	v_mov_b32_e32 v1, 0x7f800001
	v_cndmask_b32_e32 v3, v1, v2, vcc
; %bb.6466:                             ;   in Loop: Header=BB6_6121 Depth=3
	s_or_b64 exec, exec, s[72:73]
.LBB6_6467:                             ;   in Loop: Header=BB6_6121 Depth=3
	s_or_b64 exec, exec, s[70:71]
.LBB6_6468:                             ;   in Loop: Header=BB6_6121 Depth=3
	s_or_b64 exec, exec, s[30:31]
	v_max_f32_e32 v1, v3, v3
	v_max_f32_e32 v2, v7, v7
	v_min_f32_e32 v3, v2, v1
.LBB6_6469:                             ;   in Loop: Header=BB6_6121 Depth=3
	v_and_b32_sdwa v1, v3, s97 dst_sel:DWORD dst_unused:UNUSED_PAD src0_sel:BYTE_3 src1_sel:DWORD
	v_and_b32_e32 v50, 0x7fffff, v3
	v_or_b32_e32 v14, 0x7b, v1
	v_and_b32_e32 v22, 0x7f800000, v3
	v_mov_b32_e32 v23, v51
	v_cmp_ne_u64_e32 vcc, s[52:53], v[22:23]
	s_mov_b64 s[30:31], exec
	s_and_b64 vcc, s[30:31], vcc
	s_xor_b64 s[70:71], vcc, s[30:31]
	v_accvgpr_read_b32 v34, a50
	v_accvgpr_read_b32 v36, a56
	s_mov_b64 exec, vcc
	s_cbranch_execz .LBB6_6483
; %bb.6470:                             ;   in Loop: Header=BB6_6121 Depth=3
	v_and_b32_e32 v22, 0x7fffffff, v3
	v_mov_b32_e32 v23, v51
	v_cmp_gt_u64_e32 vcc, s[54:55], v[22:23]
	s_and_saveexec_b64 s[30:31], vcc
	s_xor_b64 s[72:73], exec, s[30:31]
	s_cbranch_execz .LBB6_6482
; %bb.6471:                             ;   in Loop: Header=BB6_6121 Depth=3
	v_cmp_ne_u32_e32 vcc, 0, v3
	v_mov_b32_e32 v14, 0
	s_and_saveexec_b64 s[74:75], vcc
	s_cbranch_execz .LBB6_6481
; %bb.6472:                             ;   in Loop: Header=BB6_6121 Depth=3
	v_bfe_u32 v2, v3, 23, 8
	v_cmp_eq_u32_e32 vcc, 0, v2
	v_add_u32_e32 v3, 0xffffff81, v2
	v_cmp_gt_u32_e64 s[30:31], s38, v2
	v_sub_u32_e32 v2, 0x71, v2
	v_mov_b32_e32 v14, 0xffffff82
	v_cndmask_b32_e64 v2, 0, v2, s[30:31]
	v_cndmask_b32_e32 v14, v3, v14, vcc
	v_mov_b32_e32 v3, 0x70
	v_cndmask_b32_e32 v16, v2, v3, vcc
	v_add_u32_e32 v2, 21, v16
	v_or_b32_e32 v7, 0x800000, v50
	v_lshlrev_b64 v[2:3], v2, -1
	v_cndmask_b32_e32 v50, v7, v50, vcc
	v_not_b32_e32 v3, v3
	v_not_b32_e32 v2, v2
	v_add_u32_e32 v7, 20, v16
	v_and_b32_e32 v3, 0, v3
	v_and_b32_e32 v2, v50, v2
	v_lshlrev_b64 v[22:23], v7, 1
	v_cmp_eq_u64_e32 vcc, v[2:3], v[22:23]
	v_lshrrev_b64 v[2:3], v16, v[50:51]
	v_lshrrev_b32_e32 v7, 23, v2
	v_add3_u32 v16, v16, v14, v7
	v_bfe_u32 v7, v2, 21, 1
	v_add_u32_e32 v7, -1, v7
	v_cndmask_b32_e32 v7, 0, v7, vcc
	v_add_u32_e32 v7, v7, v2
	v_and_b32_e32 v7, 0x1fffff, v7
	v_add_co_u32_e32 v2, vcc, v7, v2
	v_add_u32_e32 v14, 14, v16
	v_addc_co_u32_e32 v3, vcc, 0, v3, vcc
	v_cmp_ne_u32_e32 vcc, 0, v14
                                        ; implicit-def: $vgpr7
	s_and_saveexec_b64 s[30:31], vcc
	s_xor_b64 s[30:31], exec, s[30:31]
; %bb.6473:                             ;   in Loop: Header=BB6_6121 Depth=3
	v_add_u32_e32 v7, 15, v16
	v_cmp_lt_u64_e32 vcc, s[56:57], v[2:3]
	v_cndmask_b32_e32 v7, v14, v7, vcc
	v_cndmask_b32_e64 v14, 0, 1, vcc
	v_lshrrev_b64 v[2:3], v14, v[2:3]
; %bb.6474:                             ;   in Loop: Header=BB6_6121 Depth=3
	s_andn2_saveexec_b64 vcc, s[30:31]
; %bb.6475:                             ;   in Loop: Header=BB6_6121 Depth=3
	v_bfe_u32 v7, v2, 23, 1
; %bb.6476:                             ;   in Loop: Header=BB6_6121 Depth=3
	s_or_b64 exec, exec, vcc
	v_lshrrev_b64 v[2:3], 21, v[2:3]
	v_cmp_gt_i32_e32 vcc, 32, v7
	v_cndmask_b32_e32 v3, 0, v3, vcc
	v_cndmask_b32_e32 v2, 3, v2, vcc
	v_cmp_ne_u32_e32 vcc, 0, v7
	v_cmp_ne_u64_e64 s[30:31], 0, v[2:3]
	s_or_b64 vcc, vcc, s[30:31]
                                        ; implicit-def: $vgpr14
	s_and_saveexec_b64 s[30:31], vcc
	s_xor_b64 vcc, exec, s[30:31]
; %bb.6477:                             ;   in Loop: Header=BB6_6121 Depth=3
	v_min_i32_e32 v3, 31, v7
	v_lshl_or_b32 v1, v3, 2, v1
	v_and_or_b32 v14, v2, 3, v1
                                        ; implicit-def: $vgpr1
; %bb.6478:                             ;   in Loop: Header=BB6_6121 Depth=3
	s_andn2_saveexec_b64 vcc, vcc
; %bb.6479:                             ;   in Loop: Header=BB6_6121 Depth=3
	v_mov_b32_e32 v14, v1
; %bb.6480:                             ;   in Loop: Header=BB6_6121 Depth=3
	s_or_b64 exec, exec, vcc
.LBB6_6481:                             ;   in Loop: Header=BB6_6121 Depth=3
	s_or_b64 exec, exec, s[74:75]
.LBB6_6482:                             ;   in Loop: Header=BB6_6121 Depth=3
	s_andn2_saveexec_b64 vcc, s[72:73]
	s_or_b64 exec, exec, vcc
                                        ; implicit-def: $vgpr3
.LBB6_6483:                             ;   in Loop: Header=BB6_6121 Depth=3
	s_andn2_saveexec_b64 s[30:31], s[70:71]
; %bb.6484:                             ;   in Loop: Header=BB6_6121 Depth=3
	v_or_b32_sdwa v1, v3, s39 dst_sel:DWORD dst_unused:UNUSED_PAD src0_sel:BYTE_3 src1_sel:DWORD
	v_cmp_eq_u64_e32 vcc, 0, v[50:51]
	v_cndmask_b32_e32 v14, v1, v14, vcc
; %bb.6485:                             ;   in Loop: Header=BB6_6121 Depth=3
	s_or_b64 exec, exec, s[30:31]
	v_and_b32_e32 v1, 0xff, v30
	s_and_b64 vcc, exec, s[28:29]
	v_cmp_ne_u16_e64 s[30:31], 0, v30
	s_cbranch_vccnz .LBB6_6503
; %bb.6486:                             ;   in Loop: Header=BB6_6121 Depth=3
	v_mov_b32_e32 v3, 0
	v_mov_b32_e32 v2, 0
	s_and_saveexec_b64 s[70:71], s[30:31]
	s_cbranch_execz .LBB6_6494
; %bb.6487:                             ;   in Loop: Header=BB6_6121 Depth=3
	v_cmp_ne_u16_e32 vcc, s94, v30
	v_bfrev_b32_e32 v2, 1
	s_and_saveexec_b64 s[72:73], vcc
	s_cbranch_execz .LBB6_6493
; %bb.6488:                             ;   in Loop: Header=BB6_6121 Depth=3
	v_and_b32_e32 v2, 0x7c, v1
	v_and_b32_e32 v7, 3, v1
	v_cmp_ne_u32_e32 vcc, s95, v2
                                        ; implicit-def: $vgpr2
	s_and_saveexec_b64 s[74:75], vcc
	s_xor_b64 s[74:75], exec, s[74:75]
	s_cbranch_execz .LBB6_6490
; %bb.6489:                             ;   in Loop: Header=BB6_6121 Depth=3
	v_ffbh_u32_e32 v20, v7
	v_bfe_u32 v2, v1, 2, 5
	v_min_u32_e32 v20, 32, v20
	v_mov_b32_e32 v31, v51
	v_subrev_u32_e32 v22, 29, v20
	v_sub_u32_e32 v20, 30, v20
	v_cmp_eq_u32_e32 vcc, 0, v2
	v_lshlrev_b64 v[22:23], v22, v[30:31]
	v_cndmask_b32_e32 v2, v2, v20, vcc
	v_bfrev_b32_e32 v20, 28
	v_bfe_i32 v16, v30, 0, 16
	v_and_b32_e32 v22, 3, v22
	v_lshl_add_u32 v2, v2, 23, v20
	v_cndmask_b32_e32 v7, v7, v22, vcc
	v_and_or_b32 v2, v16, s96, v2
	v_lshl_or_b32 v2, v7, 21, v2
                                        ; implicit-def: $vgpr7
.LBB6_6490:                             ;   in Loop: Header=BB6_6121 Depth=3
	s_andn2_saveexec_b64 s[74:75], s[74:75]
; %bb.6491:                             ;   in Loop: Header=BB6_6121 Depth=3
	v_cmp_lt_i16_e32 vcc, -1, v30
	v_mov_b32_e32 v2, 0xc7600000
	v_mov_b32_e32 v16, 0x47600000
	v_cndmask_b32_e32 v2, v2, v16, vcc
	v_cmp_eq_u32_e32 vcc, 0, v7
	v_mov_b32_e32 v7, 0x7f800001
	v_cndmask_b32_e32 v2, v7, v2, vcc
; %bb.6492:                             ;   in Loop: Header=BB6_6121 Depth=3
	s_or_b64 exec, exec, s[74:75]
.LBB6_6493:                             ;   in Loop: Header=BB6_6121 Depth=3
	s_or_b64 exec, exec, s[72:73]
.LBB6_6494:                             ;   in Loop: Header=BB6_6121 Depth=3
	s_or_b64 exec, exec, s[70:71]
	v_cmp_ne_u16_e32 vcc, 0, v6
	s_and_saveexec_b64 s[70:71], vcc
	s_cbranch_execz .LBB6_6502
; %bb.6495:                             ;   in Loop: Header=BB6_6121 Depth=3
	v_cmp_ne_u16_e32 vcc, s94, v6
	v_bfrev_b32_e32 v3, 1
	s_and_saveexec_b64 s[72:73], vcc
	s_cbranch_execz .LBB6_6501
; %bb.6496:                             ;   in Loop: Header=BB6_6121 Depth=3
	v_and_b32_e32 v3, 0x7c, v6
	v_and_b32_e32 v16, 3, v6
	v_cmp_ne_u32_e32 vcc, s95, v3
                                        ; implicit-def: $vgpr3
	s_and_saveexec_b64 s[74:75], vcc
	s_xor_b64 s[74:75], exec, s[74:75]
	s_cbranch_execz .LBB6_6498
; %bb.6497:                             ;   in Loop: Header=BB6_6121 Depth=3
	v_ffbh_u32_e32 v22, v16
	v_min_u32_e32 v24, 32, v22
	v_and_b32_e32 v3, 0xff, v6
	v_mov_b32_e32 v7, v51
	v_subrev_u32_e32 v22, 29, v24
	v_bfe_u32 v3, v3, 2, 5
	v_lshlrev_b64 v[22:23], v22, v[6:7]
	v_sub_u32_e32 v7, 30, v24
	v_and_b32_e32 v22, 3, v22
	v_cmp_eq_u32_e32 vcc, 0, v3
	v_cndmask_b32_e32 v3, v3, v7, vcc
	v_cndmask_b32_e32 v7, v16, v22, vcc
	v_bfrev_b32_e32 v16, 28
	v_bfe_i32 v20, v6, 0, 16
	v_lshl_add_u32 v3, v3, 23, v16
	v_and_or_b32 v3, v20, s96, v3
	v_lshl_or_b32 v3, v7, 21, v3
                                        ; implicit-def: $vgpr16
.LBB6_6498:                             ;   in Loop: Header=BB6_6121 Depth=3
	s_andn2_saveexec_b64 s[74:75], s[74:75]
; %bb.6499:                             ;   in Loop: Header=BB6_6121 Depth=3
	v_cmp_lt_i16_e32 vcc, -1, v6
	v_mov_b32_e32 v3, 0xc7600000
	v_mov_b32_e32 v7, 0x47600000
	v_cndmask_b32_e32 v3, v3, v7, vcc
	v_cmp_eq_u32_e32 vcc, 0, v16
	v_mov_b32_e32 v7, 0x7f800001
	v_cndmask_b32_e32 v3, v7, v3, vcc
; %bb.6500:                             ;   in Loop: Header=BB6_6121 Depth=3
	s_or_b64 exec, exec, s[74:75]
.LBB6_6501:                             ;   in Loop: Header=BB6_6121 Depth=3
	s_or_b64 exec, exec, s[72:73]
.LBB6_6502:                             ;   in Loop: Header=BB6_6121 Depth=3
	s_or_b64 exec, exec, s[70:71]
	v_max_f32_e32 v3, v3, v3
	v_max_f32_e32 v2, v2, v2
	;; [unrolled: 1-line block ×3, first 2 shown]
	s_branch .LBB6_6521
.LBB6_6503:                             ;   in Loop: Header=BB6_6121 Depth=3
                                        ; implicit-def: $vgpr2
	s_cbranch_execz .LBB6_6521
; %bb.6504:                             ;   in Loop: Header=BB6_6121 Depth=3
	v_mov_b32_e32 v3, 0
	v_mov_b32_e32 v2, 0
	s_and_saveexec_b64 s[70:71], s[30:31]
	s_cbranch_execz .LBB6_6512
; %bb.6505:                             ;   in Loop: Header=BB6_6121 Depth=3
	v_cmp_ne_u16_e32 vcc, s94, v30
	v_bfrev_b32_e32 v2, 1
	s_and_saveexec_b64 s[30:31], vcc
	s_cbranch_execz .LBB6_6511
; %bb.6506:                             ;   in Loop: Header=BB6_6121 Depth=3
	v_and_b32_e32 v2, 0x7c, v1
	v_and_b32_e32 v7, 3, v1
	v_cmp_ne_u32_e32 vcc, s95, v2
                                        ; implicit-def: $vgpr2
	s_and_saveexec_b64 s[72:73], vcc
	s_xor_b64 s[72:73], exec, s[72:73]
	s_cbranch_execz .LBB6_6508
; %bb.6507:                             ;   in Loop: Header=BB6_6121 Depth=3
	v_ffbh_u32_e32 v16, v7
	v_bfe_u32 v1, v1, 2, 5
	v_min_u32_e32 v16, 32, v16
	v_mov_b32_e32 v31, v51
	v_subrev_u32_e32 v20, 29, v16
	v_sub_u32_e32 v16, 30, v16
	v_cmp_eq_u32_e32 vcc, 0, v1
	v_lshlrev_b64 v[22:23], v20, v[30:31]
	v_cndmask_b32_e32 v1, v1, v16, vcc
	v_bfrev_b32_e32 v16, 28
	v_bfe_i32 v2, v30, 0, 16
	v_and_b32_e32 v20, 3, v22
	v_lshl_add_u32 v1, v1, 23, v16
	v_cndmask_b32_e32 v7, v7, v20, vcc
	v_and_or_b32 v1, v2, s96, v1
	v_lshl_or_b32 v2, v7, 21, v1
                                        ; implicit-def: $vgpr7
                                        ; implicit-def: $vgpr30
.LBB6_6508:                             ;   in Loop: Header=BB6_6121 Depth=3
	s_andn2_saveexec_b64 s[72:73], s[72:73]
; %bb.6509:                             ;   in Loop: Header=BB6_6121 Depth=3
	v_cmp_lt_i16_e32 vcc, -1, v30
	v_mov_b32_e32 v1, 0xc7600000
	v_mov_b32_e32 v2, 0x47600000
	v_cndmask_b32_e32 v1, v1, v2, vcc
	v_cmp_eq_u32_e32 vcc, 0, v7
	v_mov_b32_e32 v2, 0x7f800001
	v_cndmask_b32_e32 v2, v2, v1, vcc
; %bb.6510:                             ;   in Loop: Header=BB6_6121 Depth=3
	s_or_b64 exec, exec, s[72:73]
.LBB6_6511:                             ;   in Loop: Header=BB6_6121 Depth=3
	s_or_b64 exec, exec, s[30:31]
.LBB6_6512:                             ;   in Loop: Header=BB6_6121 Depth=3
	s_or_b64 exec, exec, s[70:71]
	v_cmp_ne_u16_e32 vcc, 0, v6
	s_and_saveexec_b64 s[30:31], vcc
	s_cbranch_execz .LBB6_6520
; %bb.6513:                             ;   in Loop: Header=BB6_6121 Depth=3
	v_cmp_ne_u16_e32 vcc, s94, v6
	v_bfrev_b32_e32 v3, 1
	s_and_saveexec_b64 s[70:71], vcc
	s_cbranch_execz .LBB6_6519
; %bb.6514:                             ;   in Loop: Header=BB6_6121 Depth=3
	v_and_b32_e32 v3, 0x7c, v6
	v_and_b32_e32 v1, 3, v6
	v_cmp_ne_u32_e32 vcc, s95, v3
                                        ; implicit-def: $vgpr3
	s_and_saveexec_b64 s[72:73], vcc
	s_xor_b64 s[72:73], exec, s[72:73]
	s_cbranch_execz .LBB6_6516
; %bb.6515:                             ;   in Loop: Header=BB6_6121 Depth=3
	v_ffbh_u32_e32 v20, v1
	v_min_u32_e32 v20, 32, v20
	v_and_b32_e32 v3, 0xff, v6
	v_mov_b32_e32 v7, v51
	v_subrev_u32_e32 v22, 29, v20
	v_bfe_u32 v3, v3, 2, 5
	v_bfe_i32 v16, v6, 0, 16
	v_lshlrev_b64 v[6:7], v22, v[6:7]
	v_sub_u32_e32 v7, 30, v20
	v_and_b32_e32 v6, 3, v6
	v_cmp_eq_u32_e32 vcc, 0, v3
	v_cndmask_b32_e32 v3, v3, v7, vcc
	v_cndmask_b32_e32 v1, v1, v6, vcc
	v_bfrev_b32_e32 v6, 28
	v_lshl_add_u32 v3, v3, 23, v6
	v_and_or_b32 v3, v16, s96, v3
	v_lshl_or_b32 v3, v1, 21, v3
                                        ; implicit-def: $vgpr1
                                        ; implicit-def: $vgpr6
.LBB6_6516:                             ;   in Loop: Header=BB6_6121 Depth=3
	s_andn2_saveexec_b64 s[72:73], s[72:73]
; %bb.6517:                             ;   in Loop: Header=BB6_6121 Depth=3
	v_cmp_lt_i16_e32 vcc, -1, v6
	v_mov_b32_e32 v3, 0xc7600000
	v_mov_b32_e32 v6, 0x47600000
	v_cndmask_b32_e32 v3, v3, v6, vcc
	v_cmp_eq_u32_e32 vcc, 0, v1
	v_mov_b32_e32 v1, 0x7f800001
	v_cndmask_b32_e32 v3, v1, v3, vcc
; %bb.6518:                             ;   in Loop: Header=BB6_6121 Depth=3
	s_or_b64 exec, exec, s[72:73]
.LBB6_6519:                             ;   in Loop: Header=BB6_6121 Depth=3
	s_or_b64 exec, exec, s[70:71]
.LBB6_6520:                             ;   in Loop: Header=BB6_6121 Depth=3
	s_or_b64 exec, exec, s[30:31]
	v_max_f32_e32 v1, v3, v3
	v_max_f32_e32 v2, v2, v2
	v_min_f32_e32 v2, v2, v1
.LBB6_6521:                             ;   in Loop: Header=BB6_6121 Depth=3
	v_and_b32_sdwa v1, v2, s97 dst_sel:DWORD dst_unused:UNUSED_PAD src0_sel:BYTE_3 src1_sel:DWORD
	v_and_b32_e32 v50, 0x7fffff, v2
	v_or_b32_e32 v3, 0x7b, v1
	v_and_b32_e32 v6, 0x7f800000, v2
	v_mov_b32_e32 v7, v51
	v_cmp_ne_u64_e32 vcc, s[52:53], v[6:7]
	s_mov_b64 s[30:31], exec
	s_and_b64 vcc, s[30:31], vcc
	s_xor_b64 s[70:71], vcc, s[30:31]
	v_accvgpr_read_b32 v30, a12
	s_mov_b64 exec, vcc
	s_cbranch_execz .LBB6_6535
; %bb.6522:                             ;   in Loop: Header=BB6_6121 Depth=3
	v_and_b32_e32 v6, 0x7fffffff, v2
	v_mov_b32_e32 v7, v51
	v_cmp_gt_u64_e32 vcc, s[54:55], v[6:7]
	s_and_saveexec_b64 s[30:31], vcc
	s_xor_b64 s[72:73], exec, s[30:31]
	s_cbranch_execz .LBB6_6534
; %bb.6523:                             ;   in Loop: Header=BB6_6121 Depth=3
	v_cmp_ne_u32_e32 vcc, 0, v2
	v_mov_b32_e32 v3, 0
	s_and_saveexec_b64 s[74:75], vcc
	s_cbranch_execz .LBB6_6533
; %bb.6524:                             ;   in Loop: Header=BB6_6121 Depth=3
	v_bfe_u32 v2, v2, 23, 8
	v_cmp_eq_u32_e32 vcc, 0, v2
	v_add_u32_e32 v3, 0xffffff81, v2
	v_cmp_gt_u32_e64 s[30:31], s38, v2
	v_sub_u32_e32 v2, 0x71, v2
	v_mov_b32_e32 v7, 0xffffff82
	v_cndmask_b32_e64 v2, 0, v2, s[30:31]
	v_cndmask_b32_e32 v16, v3, v7, vcc
	v_mov_b32_e32 v3, 0x70
	v_cndmask_b32_e32 v20, v2, v3, vcc
	v_add_u32_e32 v2, 21, v20
	v_or_b32_e32 v6, 0x800000, v50
	v_lshlrev_b64 v[2:3], v2, -1
	v_cndmask_b32_e32 v50, v6, v50, vcc
	v_not_b32_e32 v3, v3
	v_not_b32_e32 v2, v2
	v_add_u32_e32 v6, 20, v20
	v_and_b32_e32 v3, 0, v3
	v_and_b32_e32 v2, v50, v2
	v_lshlrev_b64 v[6:7], v6, 1
	v_cmp_eq_u64_e32 vcc, v[2:3], v[6:7]
	v_lshrrev_b64 v[2:3], v20, v[50:51]
	v_lshrrev_b32_e32 v6, 23, v2
	v_add3_u32 v16, v20, v16, v6
	v_bfe_u32 v6, v2, 21, 1
	v_add_u32_e32 v6, -1, v6
	v_cndmask_b32_e32 v6, 0, v6, vcc
	v_add_u32_e32 v6, v6, v2
	v_and_b32_e32 v6, 0x1fffff, v6
	v_add_co_u32_e32 v2, vcc, v6, v2
	v_add_u32_e32 v7, 14, v16
	v_addc_co_u32_e32 v3, vcc, 0, v3, vcc
	v_cmp_ne_u32_e32 vcc, 0, v7
                                        ; implicit-def: $vgpr6
	s_and_saveexec_b64 s[30:31], vcc
	s_xor_b64 s[30:31], exec, s[30:31]
; %bb.6525:                             ;   in Loop: Header=BB6_6121 Depth=3
	v_add_u32_e32 v6, 15, v16
	v_cmp_lt_u64_e32 vcc, s[56:57], v[2:3]
	v_cndmask_b32_e32 v6, v7, v6, vcc
	v_cndmask_b32_e64 v7, 0, 1, vcc
	v_lshrrev_b64 v[2:3], v7, v[2:3]
; %bb.6526:                             ;   in Loop: Header=BB6_6121 Depth=3
	s_andn2_saveexec_b64 vcc, s[30:31]
; %bb.6527:                             ;   in Loop: Header=BB6_6121 Depth=3
	v_bfe_u32 v6, v2, 23, 1
; %bb.6528:                             ;   in Loop: Header=BB6_6121 Depth=3
	s_or_b64 exec, exec, vcc
	v_lshrrev_b64 v[2:3], 21, v[2:3]
	v_cmp_gt_i32_e32 vcc, 32, v6
	v_cndmask_b32_e32 v3, 0, v3, vcc
	v_cndmask_b32_e32 v2, 3, v2, vcc
	v_cmp_ne_u32_e32 vcc, 0, v6
	v_cmp_ne_u64_e64 s[30:31], 0, v[2:3]
	s_or_b64 vcc, vcc, s[30:31]
                                        ; implicit-def: $vgpr3
	s_and_saveexec_b64 s[30:31], vcc
	s_xor_b64 vcc, exec, s[30:31]
; %bb.6529:                             ;   in Loop: Header=BB6_6121 Depth=3
	v_min_i32_e32 v3, 31, v6
	v_lshl_or_b32 v1, v3, 2, v1
	v_and_or_b32 v3, v2, 3, v1
                                        ; implicit-def: $vgpr1
; %bb.6530:                             ;   in Loop: Header=BB6_6121 Depth=3
	s_andn2_saveexec_b64 vcc, vcc
; %bb.6531:                             ;   in Loop: Header=BB6_6121 Depth=3
	v_mov_b32_e32 v3, v1
; %bb.6532:                             ;   in Loop: Header=BB6_6121 Depth=3
	s_or_b64 exec, exec, vcc
.LBB6_6533:                             ;   in Loop: Header=BB6_6121 Depth=3
	s_or_b64 exec, exec, s[74:75]
.LBB6_6534:                             ;   in Loop: Header=BB6_6121 Depth=3
	s_andn2_saveexec_b64 vcc, s[72:73]
	s_or_b64 exec, exec, vcc
                                        ; implicit-def: $vgpr2
.LBB6_6535:                             ;   in Loop: Header=BB6_6121 Depth=3
	s_andn2_saveexec_b64 s[30:31], s[70:71]
; %bb.6536:                             ;   in Loop: Header=BB6_6121 Depth=3
	v_or_b32_sdwa v1, v2, s39 dst_sel:DWORD dst_unused:UNUSED_PAD src0_sel:BYTE_3 src1_sel:DWORD
	v_cmp_eq_u64_e32 vcc, 0, v[50:51]
	v_cndmask_b32_e32 v3, v1, v3, vcc
; %bb.6537:                             ;   in Loop: Header=BB6_6121 Depth=3
	s_or_b64 exec, exec, s[30:31]
	v_and_b32_e32 v2, 0xff, v0
	s_and_b64 vcc, exec, s[28:29]
	v_cmp_ne_u16_e64 s[30:31], 0, v0
	s_cbranch_vccnz .LBB6_6555
; %bb.6538:                             ;   in Loop: Header=BB6_6121 Depth=3
	v_mov_b32_e32 v6, 0
	v_mov_b32_e32 v1, 0
	s_and_saveexec_b64 s[70:71], s[30:31]
	s_cbranch_execz .LBB6_6546
; %bb.6539:                             ;   in Loop: Header=BB6_6121 Depth=3
	v_cmp_ne_u16_e32 vcc, s94, v0
	v_bfrev_b32_e32 v1, 1
	s_and_saveexec_b64 s[72:73], vcc
	s_cbranch_execz .LBB6_6545
; %bb.6540:                             ;   in Loop: Header=BB6_6121 Depth=3
	v_and_b32_e32 v1, 0x7c, v2
	v_and_b32_e32 v7, 3, v2
	v_cmp_ne_u32_e32 vcc, s95, v1
                                        ; implicit-def: $vgpr1
	s_and_saveexec_b64 s[74:75], vcc
	s_xor_b64 s[74:75], exec, s[74:75]
	s_cbranch_execz .LBB6_6542
; %bb.6541:                             ;   in Loop: Header=BB6_6121 Depth=3
	v_ffbh_u32_e32 v22, v7
	v_min_u32_e32 v24, 32, v22
	v_mov_b32_e32 v1, v51
	v_bfe_u32 v16, v2, 2, 5
	v_subrev_u32_e32 v22, 29, v24
	v_lshlrev_b64 v[22:23], v22, v[0:1]
	v_sub_u32_e32 v1, 30, v24
	v_cmp_eq_u32_e32 vcc, 0, v16
	v_cndmask_b32_e32 v1, v16, v1, vcc
	v_bfrev_b32_e32 v16, 28
	v_bfe_i32 v20, v0, 0, 16
	v_and_b32_e32 v22, 3, v22
	v_lshl_add_u32 v1, v1, 23, v16
	v_cndmask_b32_e32 v7, v7, v22, vcc
	v_and_or_b32 v1, v20, s96, v1
	v_lshl_or_b32 v1, v7, 21, v1
                                        ; implicit-def: $vgpr7
.LBB6_6542:                             ;   in Loop: Header=BB6_6121 Depth=3
	s_andn2_saveexec_b64 s[74:75], s[74:75]
; %bb.6543:                             ;   in Loop: Header=BB6_6121 Depth=3
	v_cmp_lt_i16_e32 vcc, -1, v0
	v_mov_b32_e32 v1, 0xc7600000
	v_mov_b32_e32 v16, 0x47600000
	v_cndmask_b32_e32 v1, v1, v16, vcc
	v_cmp_eq_u32_e32 vcc, 0, v7
	v_mov_b32_e32 v7, 0x7f800001
	v_cndmask_b32_e32 v1, v7, v1, vcc
; %bb.6544:                             ;   in Loop: Header=BB6_6121 Depth=3
	s_or_b64 exec, exec, s[74:75]
.LBB6_6545:                             ;   in Loop: Header=BB6_6121 Depth=3
	s_or_b64 exec, exec, s[72:73]
.LBB6_6546:                             ;   in Loop: Header=BB6_6121 Depth=3
	s_or_b64 exec, exec, s[70:71]
	v_cmp_ne_u16_e32 vcc, 0, v38
	s_and_saveexec_b64 s[70:71], vcc
	s_cbranch_execz .LBB6_6554
; %bb.6547:                             ;   in Loop: Header=BB6_6121 Depth=3
	v_cmp_ne_u16_e32 vcc, s94, v38
	v_bfrev_b32_e32 v6, 1
	s_and_saveexec_b64 s[72:73], vcc
	s_cbranch_execz .LBB6_6553
; %bb.6548:                             ;   in Loop: Header=BB6_6121 Depth=3
	v_and_b32_e32 v6, 0x7c, v38
	v_and_b32_e32 v7, 3, v38
	v_cmp_ne_u32_e32 vcc, s95, v6
                                        ; implicit-def: $vgpr6
	s_and_saveexec_b64 s[74:75], vcc
	s_xor_b64 s[74:75], exec, s[74:75]
	s_cbranch_execz .LBB6_6550
; %bb.6549:                             ;   in Loop: Header=BB6_6121 Depth=3
	v_and_b32_e32 v6, 0xff, v38
	v_ffbh_u32_e32 v20, v7
	v_bfe_u32 v6, v6, 2, 5
	v_min_u32_e32 v20, 32, v20
	v_mov_b32_e32 v39, v51
	v_subrev_u32_e32 v22, 29, v20
	v_sub_u32_e32 v20, 30, v20
	v_cmp_eq_u32_e32 vcc, 0, v6
	v_lshlrev_b64 v[22:23], v22, v[38:39]
	v_cndmask_b32_e32 v6, v6, v20, vcc
	v_bfrev_b32_e32 v20, 28
	v_bfe_i32 v16, v38, 0, 16
	v_and_b32_e32 v22, 3, v22
	v_lshl_add_u32 v6, v6, 23, v20
	v_cndmask_b32_e32 v7, v7, v22, vcc
	v_and_or_b32 v6, v16, s96, v6
	v_lshl_or_b32 v6, v7, 21, v6
                                        ; implicit-def: $vgpr7
.LBB6_6550:                             ;   in Loop: Header=BB6_6121 Depth=3
	s_andn2_saveexec_b64 s[74:75], s[74:75]
; %bb.6551:                             ;   in Loop: Header=BB6_6121 Depth=3
	v_cmp_lt_i16_e32 vcc, -1, v38
	v_mov_b32_e32 v6, 0xc7600000
	v_mov_b32_e32 v16, 0x47600000
	v_cndmask_b32_e32 v6, v6, v16, vcc
	v_cmp_eq_u32_e32 vcc, 0, v7
	v_mov_b32_e32 v7, 0x7f800001
	v_cndmask_b32_e32 v6, v7, v6, vcc
; %bb.6552:                             ;   in Loop: Header=BB6_6121 Depth=3
	s_or_b64 exec, exec, s[74:75]
.LBB6_6553:                             ;   in Loop: Header=BB6_6121 Depth=3
	s_or_b64 exec, exec, s[72:73]
.LBB6_6554:                             ;   in Loop: Header=BB6_6121 Depth=3
	s_or_b64 exec, exec, s[70:71]
	v_max_f32_e32 v6, v6, v6
	v_max_f32_e32 v1, v1, v1
	;; [unrolled: 1-line block ×3, first 2 shown]
	s_branch .LBB6_6573
.LBB6_6555:                             ;   in Loop: Header=BB6_6121 Depth=3
                                        ; implicit-def: $vgpr1
	s_cbranch_execz .LBB6_6573
; %bb.6556:                             ;   in Loop: Header=BB6_6121 Depth=3
	v_mov_b32_e32 v6, 0
	v_mov_b32_e32 v1, 0
	s_and_saveexec_b64 s[70:71], s[30:31]
	s_cbranch_execz .LBB6_6564
; %bb.6557:                             ;   in Loop: Header=BB6_6121 Depth=3
	v_cmp_ne_u16_e32 vcc, s94, v0
	v_bfrev_b32_e32 v1, 1
	s_and_saveexec_b64 s[30:31], vcc
	s_cbranch_execz .LBB6_6563
; %bb.6558:                             ;   in Loop: Header=BB6_6121 Depth=3
	v_and_b32_e32 v1, 0x7c, v2
	v_and_b32_e32 v7, 3, v2
	v_cmp_ne_u32_e32 vcc, s95, v1
                                        ; implicit-def: $vgpr1
	s_and_saveexec_b64 s[72:73], vcc
	s_xor_b64 s[72:73], exec, s[72:73]
	s_cbranch_execz .LBB6_6560
; %bb.6559:                             ;   in Loop: Header=BB6_6121 Depth=3
	v_ffbh_u32_e32 v20, v7
	v_min_u32_e32 v20, 32, v20
	v_mov_b32_e32 v1, v51
	v_subrev_u32_e32 v22, 29, v20
	v_bfe_u32 v2, v2, 2, 5
	v_bfe_i32 v16, v0, 0, 16
	v_lshlrev_b64 v[0:1], v22, v[0:1]
	v_sub_u32_e32 v1, 30, v20
	v_cmp_eq_u32_e32 vcc, 0, v2
	v_cndmask_b32_e32 v1, v2, v1, vcc
	v_bfrev_b32_e32 v2, 28
	v_and_b32_e32 v0, 3, v0
	v_lshl_add_u32 v1, v1, 23, v2
	v_cndmask_b32_e32 v0, v7, v0, vcc
	v_and_or_b32 v1, v16, s96, v1
	v_lshl_or_b32 v1, v0, 21, v1
                                        ; implicit-def: $vgpr7
                                        ; implicit-def: $vgpr0
.LBB6_6560:                             ;   in Loop: Header=BB6_6121 Depth=3
	s_andn2_saveexec_b64 s[72:73], s[72:73]
; %bb.6561:                             ;   in Loop: Header=BB6_6121 Depth=3
	v_cmp_lt_i16_e32 vcc, -1, v0
	v_mov_b32_e32 v0, 0xc7600000
	v_mov_b32_e32 v1, 0x47600000
	v_cndmask_b32_e32 v0, v0, v1, vcc
	v_cmp_eq_u32_e32 vcc, 0, v7
	v_mov_b32_e32 v1, 0x7f800001
	v_cndmask_b32_e32 v1, v1, v0, vcc
; %bb.6562:                             ;   in Loop: Header=BB6_6121 Depth=3
	s_or_b64 exec, exec, s[72:73]
.LBB6_6563:                             ;   in Loop: Header=BB6_6121 Depth=3
	s_or_b64 exec, exec, s[30:31]
.LBB6_6564:                             ;   in Loop: Header=BB6_6121 Depth=3
	s_or_b64 exec, exec, s[70:71]
	v_cmp_ne_u16_e32 vcc, 0, v38
	s_and_saveexec_b64 s[30:31], vcc
	s_cbranch_execz .LBB6_6572
; %bb.6565:                             ;   in Loop: Header=BB6_6121 Depth=3
	v_cmp_ne_u16_e32 vcc, s94, v38
	v_bfrev_b32_e32 v6, 1
	s_and_saveexec_b64 s[70:71], vcc
	s_cbranch_execz .LBB6_6571
; %bb.6566:                             ;   in Loop: Header=BB6_6121 Depth=3
	v_and_b32_e32 v2, 0x7c, v38
	v_and_b32_e32 v0, 3, v38
	v_cmp_ne_u32_e32 vcc, s95, v2
                                        ; implicit-def: $vgpr6
	s_and_saveexec_b64 s[72:73], vcc
	s_xor_b64 s[72:73], exec, s[72:73]
	s_cbranch_execz .LBB6_6568
; %bb.6567:                             ;   in Loop: Header=BB6_6121 Depth=3
	v_ffbh_u32_e32 v6, v0
	v_min_u32_e32 v20, 32, v6
	v_and_b32_e32 v2, 0xff, v38
	v_mov_b32_e32 v39, v51
	v_subrev_u32_e32 v6, 29, v20
	v_bfe_u32 v2, v2, 2, 5
	v_lshlrev_b64 v[6:7], v6, v[38:39]
	v_sub_u32_e32 v7, 30, v20
	v_and_b32_e32 v6, 3, v6
	v_cmp_eq_u32_e32 vcc, 0, v2
	v_cndmask_b32_e32 v2, v2, v7, vcc
	v_cndmask_b32_e32 v0, v0, v6, vcc
	v_bfrev_b32_e32 v6, 28
	v_bfe_i32 v16, v38, 0, 16
	v_lshl_add_u32 v2, v2, 23, v6
	v_and_or_b32 v2, v16, s96, v2
	v_lshl_or_b32 v6, v0, 21, v2
                                        ; implicit-def: $vgpr0
                                        ; implicit-def: $vgpr38
.LBB6_6568:                             ;   in Loop: Header=BB6_6121 Depth=3
	s_andn2_saveexec_b64 s[72:73], s[72:73]
; %bb.6569:                             ;   in Loop: Header=BB6_6121 Depth=3
	v_cmp_lt_i16_e32 vcc, -1, v38
	v_mov_b32_e32 v2, 0xc7600000
	v_mov_b32_e32 v6, 0x47600000
	v_cndmask_b32_e32 v2, v2, v6, vcc
	v_cmp_eq_u32_e32 vcc, 0, v0
	v_mov_b32_e32 v0, 0x7f800001
	v_cndmask_b32_e32 v6, v0, v2, vcc
; %bb.6570:                             ;   in Loop: Header=BB6_6121 Depth=3
	s_or_b64 exec, exec, s[72:73]
.LBB6_6571:                             ;   in Loop: Header=BB6_6121 Depth=3
	s_or_b64 exec, exec, s[70:71]
.LBB6_6572:                             ;   in Loop: Header=BB6_6121 Depth=3
	s_or_b64 exec, exec, s[30:31]
	v_max_f32_e32 v0, v6, v6
	v_max_f32_e32 v1, v1, v1
	v_min_f32_e32 v1, v1, v0
.LBB6_6573:                             ;   in Loop: Header=BB6_6121 Depth=3
	v_and_b32_sdwa v6, v1, s97 dst_sel:DWORD dst_unused:UNUSED_PAD src0_sel:BYTE_3 src1_sel:DWORD
	v_and_b32_e32 v22, 0x7f800000, v1
	v_mov_b32_e32 v23, v51
	v_and_b32_e32 v50, 0x7fffff, v1
	v_or_b32_e32 v2, 0x7b, v6
	v_cmp_ne_u64_e32 vcc, s[52:53], v[22:23]
	s_and_saveexec_b64 s[30:31], vcc
	s_xor_b64 s[70:71], exec, s[30:31]
	s_cbranch_execz .LBB6_6587
; %bb.6574:                             ;   in Loop: Header=BB6_6121 Depth=3
	v_and_b32_e32 v22, 0x7fffffff, v1
	v_mov_b32_e32 v23, v51
	v_cmp_gt_u64_e32 vcc, s[54:55], v[22:23]
	s_and_saveexec_b64 s[30:31], vcc
	s_xor_b64 s[72:73], exec, s[30:31]
	s_cbranch_execz .LBB6_6586
; %bb.6575:                             ;   in Loop: Header=BB6_6121 Depth=3
	v_cmp_ne_u32_e32 vcc, 0, v1
	v_mov_b32_e32 v2, 0
	s_and_saveexec_b64 s[74:75], vcc
	s_cbranch_execz .LBB6_6585
; %bb.6576:                             ;   in Loop: Header=BB6_6121 Depth=3
	v_bfe_u32 v0, v1, 23, 8
	v_cmp_eq_u32_e32 vcc, 0, v0
	v_add_u32_e32 v1, 0xffffff81, v0
	v_cmp_gt_u32_e64 s[30:31], s38, v0
	v_sub_u32_e32 v0, 0x71, v0
	v_mov_b32_e32 v7, 0xffffff82
	v_cndmask_b32_e64 v0, 0, v0, s[30:31]
	v_cndmask_b32_e32 v7, v1, v7, vcc
	v_mov_b32_e32 v1, 0x70
	v_cndmask_b32_e32 v16, v0, v1, vcc
	v_add_u32_e32 v0, 21, v16
	v_or_b32_e32 v2, 0x800000, v50
	v_lshlrev_b64 v[0:1], v0, -1
	v_cndmask_b32_e32 v50, v2, v50, vcc
	v_not_b32_e32 v1, v1
	v_not_b32_e32 v0, v0
	v_add_u32_e32 v2, 20, v16
	v_and_b32_e32 v1, 0, v1
	v_and_b32_e32 v0, v50, v0
	v_lshlrev_b64 v[22:23], v2, 1
	v_cmp_eq_u64_e32 vcc, v[0:1], v[22:23]
	v_lshrrev_b64 v[0:1], v16, v[50:51]
	v_lshrrev_b32_e32 v2, 23, v0
	v_add3_u32 v16, v16, v7, v2
	v_bfe_u32 v7, v0, 21, 1
	v_add_u32_e32 v7, -1, v7
	v_cndmask_b32_e32 v7, 0, v7, vcc
	v_add_u32_e32 v7, v7, v0
	v_and_b32_e32 v7, 0x1fffff, v7
	v_add_co_u32_e32 v0, vcc, v7, v0
	v_add_u32_e32 v2, 14, v16
	v_addc_co_u32_e32 v1, vcc, 0, v1, vcc
	v_cmp_ne_u32_e32 vcc, 0, v2
                                        ; implicit-def: $vgpr7
	s_and_saveexec_b64 s[30:31], vcc
	s_xor_b64 s[30:31], exec, s[30:31]
; %bb.6577:                             ;   in Loop: Header=BB6_6121 Depth=3
	v_add_u32_e32 v7, 15, v16
	v_cmp_lt_u64_e32 vcc, s[56:57], v[0:1]
	v_cndmask_b32_e32 v7, v2, v7, vcc
	v_cndmask_b32_e64 v2, 0, 1, vcc
	v_lshrrev_b64 v[0:1], v2, v[0:1]
; %bb.6578:                             ;   in Loop: Header=BB6_6121 Depth=3
	s_andn2_saveexec_b64 vcc, s[30:31]
; %bb.6579:                             ;   in Loop: Header=BB6_6121 Depth=3
	v_bfe_u32 v7, v0, 23, 1
; %bb.6580:                             ;   in Loop: Header=BB6_6121 Depth=3
	s_or_b64 exec, exec, vcc
	v_lshrrev_b64 v[0:1], 21, v[0:1]
	v_cmp_gt_i32_e32 vcc, 32, v7
	v_cndmask_b32_e32 v1, 0, v1, vcc
	v_cndmask_b32_e32 v0, 3, v0, vcc
	v_cmp_ne_u32_e32 vcc, 0, v7
	v_cmp_ne_u64_e64 s[30:31], 0, v[0:1]
	s_or_b64 vcc, vcc, s[30:31]
                                        ; implicit-def: $vgpr2
	s_and_saveexec_b64 s[30:31], vcc
	s_xor_b64 vcc, exec, s[30:31]
; %bb.6581:                             ;   in Loop: Header=BB6_6121 Depth=3
	v_min_i32_e32 v1, 31, v7
	v_lshl_or_b32 v1, v1, 2, v6
	v_and_or_b32 v2, v0, 3, v1
                                        ; implicit-def: $vgpr6
; %bb.6582:                             ;   in Loop: Header=BB6_6121 Depth=3
	s_andn2_saveexec_b64 vcc, vcc
; %bb.6583:                             ;   in Loop: Header=BB6_6121 Depth=3
	v_mov_b32_e32 v2, v6
; %bb.6584:                             ;   in Loop: Header=BB6_6121 Depth=3
	s_or_b64 exec, exec, vcc
.LBB6_6585:                             ;   in Loop: Header=BB6_6121 Depth=3
	s_or_b64 exec, exec, s[74:75]
.LBB6_6586:                             ;   in Loop: Header=BB6_6121 Depth=3
	s_andn2_saveexec_b64 vcc, s[72:73]
	s_or_b64 exec, exec, vcc
                                        ; implicit-def: $vgpr1
.LBB6_6587:                             ;   in Loop: Header=BB6_6121 Depth=3
	s_andn2_saveexec_b64 s[30:31], s[70:71]
; %bb.6588:                             ;   in Loop: Header=BB6_6121 Depth=3
	v_or_b32_sdwa v0, v1, s39 dst_sel:DWORD dst_unused:UNUSED_PAD src0_sel:BYTE_3 src1_sel:DWORD
	v_cmp_eq_u64_e32 vcc, 0, v[50:51]
	v_cndmask_b32_e32 v2, v0, v2, vcc
; %bb.6589:                             ;   in Loop: Header=BB6_6121 Depth=3
	s_or_b64 exec, exec, s[30:31]
	v_and_b32_e32 v0, 0xff, v46
	s_and_b64 vcc, exec, s[28:29]
	v_cmp_ne_u16_e64 s[30:31], 0, v46
	s_cbranch_vccnz .LBB6_6607
; %bb.6590:                             ;   in Loop: Header=BB6_6121 Depth=3
	v_mov_b32_e32 v6, 0
	v_mov_b32_e32 v1, 0
	s_and_saveexec_b64 s[70:71], s[30:31]
	s_cbranch_execz .LBB6_6598
; %bb.6591:                             ;   in Loop: Header=BB6_6121 Depth=3
	v_cmp_ne_u16_e32 vcc, s94, v46
	v_bfrev_b32_e32 v1, 1
	s_and_saveexec_b64 s[72:73], vcc
	s_cbranch_execz .LBB6_6597
; %bb.6592:                             ;   in Loop: Header=BB6_6121 Depth=3
	v_and_b32_e32 v1, 0x7c, v0
	v_and_b32_e32 v7, 3, v0
	v_cmp_ne_u32_e32 vcc, s95, v1
                                        ; implicit-def: $vgpr1
	s_and_saveexec_b64 s[74:75], vcc
	s_xor_b64 s[74:75], exec, s[74:75]
	s_cbranch_execz .LBB6_6594
; %bb.6593:                             ;   in Loop: Header=BB6_6121 Depth=3
	v_ffbh_u32_e32 v20, v7
	v_bfe_u32 v1, v0, 2, 5
	v_min_u32_e32 v20, 32, v20
	v_mov_b32_e32 v47, v51
	v_subrev_u32_e32 v22, 29, v20
	v_sub_u32_e32 v20, 30, v20
	v_cmp_eq_u32_e32 vcc, 0, v1
	v_lshlrev_b64 v[22:23], v22, v[46:47]
	v_cndmask_b32_e32 v1, v1, v20, vcc
	v_bfrev_b32_e32 v20, 28
	v_bfe_i32 v16, v46, 0, 16
	v_and_b32_e32 v22, 3, v22
	v_lshl_add_u32 v1, v1, 23, v20
	v_cndmask_b32_e32 v7, v7, v22, vcc
	v_and_or_b32 v1, v16, s96, v1
	v_lshl_or_b32 v1, v7, 21, v1
                                        ; implicit-def: $vgpr7
.LBB6_6594:                             ;   in Loop: Header=BB6_6121 Depth=3
	s_andn2_saveexec_b64 s[74:75], s[74:75]
; %bb.6595:                             ;   in Loop: Header=BB6_6121 Depth=3
	v_cmp_lt_i16_e32 vcc, -1, v46
	v_mov_b32_e32 v1, 0xc7600000
	v_mov_b32_e32 v16, 0x47600000
	v_cndmask_b32_e32 v1, v1, v16, vcc
	v_cmp_eq_u32_e32 vcc, 0, v7
	v_mov_b32_e32 v7, 0x7f800001
	v_cndmask_b32_e32 v1, v7, v1, vcc
; %bb.6596:                             ;   in Loop: Header=BB6_6121 Depth=3
	s_or_b64 exec, exec, s[74:75]
.LBB6_6597:                             ;   in Loop: Header=BB6_6121 Depth=3
	s_or_b64 exec, exec, s[72:73]
.LBB6_6598:                             ;   in Loop: Header=BB6_6121 Depth=3
	s_or_b64 exec, exec, s[70:71]
	v_cmp_ne_u16_e32 vcc, 0, v42
	s_and_saveexec_b64 s[70:71], vcc
	s_cbranch_execz .LBB6_6606
; %bb.6599:                             ;   in Loop: Header=BB6_6121 Depth=3
	v_cmp_ne_u16_e32 vcc, s94, v42
	v_bfrev_b32_e32 v6, 1
	s_and_saveexec_b64 s[72:73], vcc
	s_cbranch_execz .LBB6_6605
; %bb.6600:                             ;   in Loop: Header=BB6_6121 Depth=3
	v_and_b32_e32 v6, 0x7c, v42
	v_and_b32_e32 v7, 3, v42
	v_cmp_ne_u32_e32 vcc, s95, v6
                                        ; implicit-def: $vgpr6
	s_and_saveexec_b64 s[74:75], vcc
	s_xor_b64 s[74:75], exec, s[74:75]
	s_cbranch_execz .LBB6_6602
; %bb.6601:                             ;   in Loop: Header=BB6_6121 Depth=3
	v_and_b32_e32 v6, 0xff, v42
	v_ffbh_u32_e32 v20, v7
	v_bfe_u32 v6, v6, 2, 5
	v_min_u32_e32 v20, 32, v20
	v_mov_b32_e32 v43, v51
	v_subrev_u32_e32 v22, 29, v20
	v_sub_u32_e32 v20, 30, v20
	v_cmp_eq_u32_e32 vcc, 0, v6
	v_lshlrev_b64 v[22:23], v22, v[42:43]
	v_cndmask_b32_e32 v6, v6, v20, vcc
	v_bfrev_b32_e32 v20, 28
	v_bfe_i32 v16, v42, 0, 16
	v_and_b32_e32 v22, 3, v22
	v_lshl_add_u32 v6, v6, 23, v20
	v_cndmask_b32_e32 v7, v7, v22, vcc
	v_and_or_b32 v6, v16, s96, v6
	v_lshl_or_b32 v6, v7, 21, v6
                                        ; implicit-def: $vgpr7
.LBB6_6602:                             ;   in Loop: Header=BB6_6121 Depth=3
	s_andn2_saveexec_b64 s[74:75], s[74:75]
; %bb.6603:                             ;   in Loop: Header=BB6_6121 Depth=3
	v_cmp_lt_i16_e32 vcc, -1, v42
	v_mov_b32_e32 v6, 0xc7600000
	v_mov_b32_e32 v16, 0x47600000
	v_cndmask_b32_e32 v6, v6, v16, vcc
	v_cmp_eq_u32_e32 vcc, 0, v7
	v_mov_b32_e32 v7, 0x7f800001
	v_cndmask_b32_e32 v6, v7, v6, vcc
; %bb.6604:                             ;   in Loop: Header=BB6_6121 Depth=3
	s_or_b64 exec, exec, s[74:75]
.LBB6_6605:                             ;   in Loop: Header=BB6_6121 Depth=3
	s_or_b64 exec, exec, s[72:73]
.LBB6_6606:                             ;   in Loop: Header=BB6_6121 Depth=3
	s_or_b64 exec, exec, s[70:71]
	v_max_f32_e32 v6, v6, v6
	v_max_f32_e32 v1, v1, v1
	;; [unrolled: 1-line block ×3, first 2 shown]
	s_branch .LBB6_6625
.LBB6_6607:                             ;   in Loop: Header=BB6_6121 Depth=3
                                        ; implicit-def: $vgpr1
	s_cbranch_execz .LBB6_6625
; %bb.6608:                             ;   in Loop: Header=BB6_6121 Depth=3
	v_mov_b32_e32 v6, 0
	v_mov_b32_e32 v1, 0
	s_and_saveexec_b64 s[70:71], s[30:31]
	s_cbranch_execz .LBB6_6616
; %bb.6609:                             ;   in Loop: Header=BB6_6121 Depth=3
	v_cmp_ne_u16_e32 vcc, s94, v46
	v_bfrev_b32_e32 v1, 1
	s_and_saveexec_b64 s[30:31], vcc
	s_cbranch_execz .LBB6_6615
; %bb.6610:                             ;   in Loop: Header=BB6_6121 Depth=3
	v_and_b32_e32 v1, 0x7c, v0
	v_and_b32_e32 v7, 3, v0
	v_cmp_ne_u32_e32 vcc, s95, v1
                                        ; implicit-def: $vgpr1
	s_and_saveexec_b64 s[72:73], vcc
	s_xor_b64 s[72:73], exec, s[72:73]
	s_cbranch_execz .LBB6_6612
; %bb.6611:                             ;   in Loop: Header=BB6_6121 Depth=3
	v_bfe_u32 v16, v0, 2, 5
	v_ffbh_u32_e32 v0, v7
	v_min_u32_e32 v22, 32, v0
	v_mov_b32_e32 v47, v51
	v_subrev_u32_e32 v0, 29, v22
	v_lshlrev_b64 v[0:1], v0, v[46:47]
	v_sub_u32_e32 v1, 30, v22
	v_and_b32_e32 v0, 3, v0
	v_cmp_eq_u32_e32 vcc, 0, v16
	v_cndmask_b32_e32 v1, v16, v1, vcc
	v_cndmask_b32_e32 v0, v7, v0, vcc
	v_bfrev_b32_e32 v7, 28
	v_bfe_i32 v20, v46, 0, 16
	v_lshl_add_u32 v1, v1, 23, v7
	v_and_or_b32 v1, v20, s96, v1
	v_lshl_or_b32 v1, v0, 21, v1
                                        ; implicit-def: $vgpr7
                                        ; implicit-def: $vgpr46
.LBB6_6612:                             ;   in Loop: Header=BB6_6121 Depth=3
	s_andn2_saveexec_b64 s[72:73], s[72:73]
; %bb.6613:                             ;   in Loop: Header=BB6_6121 Depth=3
	v_cmp_lt_i16_e32 vcc, -1, v46
	v_mov_b32_e32 v0, 0xc7600000
	v_mov_b32_e32 v1, 0x47600000
	v_cndmask_b32_e32 v0, v0, v1, vcc
	v_cmp_eq_u32_e32 vcc, 0, v7
	v_mov_b32_e32 v1, 0x7f800001
	v_cndmask_b32_e32 v1, v1, v0, vcc
; %bb.6614:                             ;   in Loop: Header=BB6_6121 Depth=3
	s_or_b64 exec, exec, s[72:73]
.LBB6_6615:                             ;   in Loop: Header=BB6_6121 Depth=3
	s_or_b64 exec, exec, s[30:31]
.LBB6_6616:                             ;   in Loop: Header=BB6_6121 Depth=3
	s_or_b64 exec, exec, s[70:71]
	v_cmp_ne_u16_e32 vcc, 0, v42
	s_and_saveexec_b64 s[30:31], vcc
	s_cbranch_execz .LBB6_6624
; %bb.6617:                             ;   in Loop: Header=BB6_6121 Depth=3
	v_cmp_ne_u16_e32 vcc, s94, v42
	v_bfrev_b32_e32 v6, 1
	s_and_saveexec_b64 s[70:71], vcc
	s_cbranch_execz .LBB6_6623
; %bb.6618:                             ;   in Loop: Header=BB6_6121 Depth=3
	v_and_b32_e32 v6, 0x7c, v42
	v_and_b32_e32 v0, 3, v42
	v_cmp_ne_u32_e32 vcc, s95, v6
                                        ; implicit-def: $vgpr6
	s_and_saveexec_b64 s[72:73], vcc
	s_xor_b64 s[72:73], exec, s[72:73]
	s_cbranch_execz .LBB6_6620
; %bb.6619:                             ;   in Loop: Header=BB6_6121 Depth=3
	v_and_b32_e32 v6, 0xff, v42
	v_bfe_u32 v16, v6, 2, 5
	v_ffbh_u32_e32 v6, v0
	v_min_u32_e32 v22, 32, v6
	v_mov_b32_e32 v43, v51
	v_subrev_u32_e32 v6, 29, v22
	v_lshlrev_b64 v[6:7], v6, v[42:43]
	v_sub_u32_e32 v7, 30, v22
	v_and_b32_e32 v6, 3, v6
	v_cmp_eq_u32_e32 vcc, 0, v16
	v_cndmask_b32_e32 v7, v16, v7, vcc
	v_cndmask_b32_e32 v0, v0, v6, vcc
	v_bfrev_b32_e32 v6, 28
	v_bfe_i32 v20, v42, 0, 16
	v_lshl_add_u32 v6, v7, 23, v6
	v_and_or_b32 v6, v20, s96, v6
	v_lshl_or_b32 v6, v0, 21, v6
                                        ; implicit-def: $vgpr0
                                        ; implicit-def: $vgpr42
.LBB6_6620:                             ;   in Loop: Header=BB6_6121 Depth=3
	s_andn2_saveexec_b64 s[72:73], s[72:73]
; %bb.6621:                             ;   in Loop: Header=BB6_6121 Depth=3
	v_cmp_lt_i16_e32 vcc, -1, v42
	v_mov_b32_e32 v6, 0xc7600000
	v_mov_b32_e32 v7, 0x47600000
	v_cndmask_b32_e32 v6, v6, v7, vcc
	v_cmp_eq_u32_e32 vcc, 0, v0
	v_mov_b32_e32 v0, 0x7f800001
	v_cndmask_b32_e32 v6, v0, v6, vcc
; %bb.6622:                             ;   in Loop: Header=BB6_6121 Depth=3
	s_or_b64 exec, exec, s[72:73]
.LBB6_6623:                             ;   in Loop: Header=BB6_6121 Depth=3
	s_or_b64 exec, exec, s[70:71]
.LBB6_6624:                             ;   in Loop: Header=BB6_6121 Depth=3
	s_or_b64 exec, exec, s[30:31]
	v_max_f32_e32 v0, v6, v6
	v_max_f32_e32 v1, v1, v1
	v_min_f32_e32 v1, v1, v0
.LBB6_6625:                             ;   in Loop: Header=BB6_6121 Depth=3
	v_and_b32_sdwa v7, v1, s97 dst_sel:DWORD dst_unused:UNUSED_PAD src0_sel:BYTE_3 src1_sel:DWORD
	v_and_b32_e32 v22, 0x7f800000, v1
	v_mov_b32_e32 v23, v51
	v_and_b32_e32 v50, 0x7fffff, v1
	v_or_b32_e32 v6, 0x7b, v7
	v_cmp_ne_u64_e32 vcc, s[52:53], v[22:23]
	s_and_saveexec_b64 s[30:31], vcc
	s_xor_b64 s[70:71], exec, s[30:31]
	s_cbranch_execz .LBB6_6639
; %bb.6626:                             ;   in Loop: Header=BB6_6121 Depth=3
	v_and_b32_e32 v22, 0x7fffffff, v1
	v_mov_b32_e32 v23, v51
	v_cmp_gt_u64_e32 vcc, s[54:55], v[22:23]
	s_and_saveexec_b64 s[30:31], vcc
	s_xor_b64 s[72:73], exec, s[30:31]
	s_cbranch_execz .LBB6_6638
; %bb.6627:                             ;   in Loop: Header=BB6_6121 Depth=3
	v_cmp_ne_u32_e32 vcc, 0, v1
	v_mov_b32_e32 v6, 0
	s_and_saveexec_b64 s[74:75], vcc
	s_cbranch_execz .LBB6_6637
; %bb.6628:                             ;   in Loop: Header=BB6_6121 Depth=3
	v_bfe_u32 v0, v1, 23, 8
	v_cmp_eq_u32_e32 vcc, 0, v0
	v_add_u32_e32 v1, 0xffffff81, v0
	v_cmp_gt_u32_e64 s[30:31], s38, v0
	v_sub_u32_e32 v0, 0x71, v0
	v_mov_b32_e32 v16, 0xffffff82
	v_cndmask_b32_e64 v0, 0, v0, s[30:31]
	v_cndmask_b32_e32 v16, v1, v16, vcc
	v_mov_b32_e32 v1, 0x70
	v_cndmask_b32_e32 v20, v0, v1, vcc
	v_add_u32_e32 v0, 21, v20
	v_or_b32_e32 v6, 0x800000, v50
	v_lshlrev_b64 v[0:1], v0, -1
	v_cndmask_b32_e32 v50, v6, v50, vcc
	v_not_b32_e32 v1, v1
	v_not_b32_e32 v0, v0
	v_add_u32_e32 v6, 20, v20
	v_and_b32_e32 v1, 0, v1
	v_and_b32_e32 v0, v50, v0
	v_lshlrev_b64 v[22:23], v6, 1
	v_cmp_eq_u64_e32 vcc, v[0:1], v[22:23]
	v_lshrrev_b64 v[0:1], v20, v[50:51]
	v_lshrrev_b32_e32 v6, 23, v0
	v_add3_u32 v20, v20, v16, v6
	v_bfe_u32 v16, v0, 21, 1
	v_add_u32_e32 v16, -1, v16
	v_cndmask_b32_e32 v16, 0, v16, vcc
	v_add_u32_e32 v16, v16, v0
	v_and_b32_e32 v16, 0x1fffff, v16
	v_add_co_u32_e32 v0, vcc, v16, v0
	v_add_u32_e32 v6, 14, v20
	v_addc_co_u32_e32 v1, vcc, 0, v1, vcc
	v_cmp_ne_u32_e32 vcc, 0, v6
                                        ; implicit-def: $vgpr16
	s_and_saveexec_b64 s[30:31], vcc
	s_xor_b64 s[30:31], exec, s[30:31]
; %bb.6629:                             ;   in Loop: Header=BB6_6121 Depth=3
	v_add_u32_e32 v16, 15, v20
	v_cmp_lt_u64_e32 vcc, s[56:57], v[0:1]
	v_cndmask_b32_e32 v16, v6, v16, vcc
	v_cndmask_b32_e64 v6, 0, 1, vcc
	v_lshrrev_b64 v[0:1], v6, v[0:1]
; %bb.6630:                             ;   in Loop: Header=BB6_6121 Depth=3
	s_andn2_saveexec_b64 vcc, s[30:31]
; %bb.6631:                             ;   in Loop: Header=BB6_6121 Depth=3
	v_bfe_u32 v16, v0, 23, 1
; %bb.6632:                             ;   in Loop: Header=BB6_6121 Depth=3
	s_or_b64 exec, exec, vcc
	v_lshrrev_b64 v[0:1], 21, v[0:1]
	v_cmp_gt_i32_e32 vcc, 32, v16
	v_cndmask_b32_e32 v1, 0, v1, vcc
	v_cndmask_b32_e32 v0, 3, v0, vcc
	v_cmp_ne_u32_e32 vcc, 0, v16
	v_cmp_ne_u64_e64 s[30:31], 0, v[0:1]
	s_or_b64 vcc, vcc, s[30:31]
                                        ; implicit-def: $vgpr6
	s_and_saveexec_b64 s[30:31], vcc
	s_xor_b64 vcc, exec, s[30:31]
; %bb.6633:                             ;   in Loop: Header=BB6_6121 Depth=3
	v_min_i32_e32 v1, 31, v16
	v_lshl_or_b32 v1, v1, 2, v7
	v_and_or_b32 v6, v0, 3, v1
                                        ; implicit-def: $vgpr7
; %bb.6634:                             ;   in Loop: Header=BB6_6121 Depth=3
	s_andn2_saveexec_b64 vcc, vcc
; %bb.6635:                             ;   in Loop: Header=BB6_6121 Depth=3
	v_mov_b32_e32 v6, v7
; %bb.6636:                             ;   in Loop: Header=BB6_6121 Depth=3
	s_or_b64 exec, exec, vcc
.LBB6_6637:                             ;   in Loop: Header=BB6_6121 Depth=3
	s_or_b64 exec, exec, s[74:75]
.LBB6_6638:                             ;   in Loop: Header=BB6_6121 Depth=3
	s_andn2_saveexec_b64 vcc, s[72:73]
	s_or_b64 exec, exec, vcc
                                        ; implicit-def: $vgpr1
.LBB6_6639:                             ;   in Loop: Header=BB6_6121 Depth=3
	s_andn2_saveexec_b64 s[30:31], s[70:71]
; %bb.6640:                             ;   in Loop: Header=BB6_6121 Depth=3
	v_or_b32_sdwa v0, v1, s39 dst_sel:DWORD dst_unused:UNUSED_PAD src0_sel:BYTE_3 src1_sel:DWORD
	v_cmp_eq_u64_e32 vcc, 0, v[50:51]
	v_cndmask_b32_e32 v6, v0, v6, vcc
; %bb.6641:                             ;   in Loop: Header=BB6_6121 Depth=3
	s_or_b64 exec, exec, s[30:31]
	v_and_b32_e32 v0, 0xff, v44
	s_and_b64 vcc, exec, s[28:29]
	v_cmp_ne_u16_e64 s[30:31], 0, v44
	s_cbranch_vccnz .LBB6_6659
; %bb.6642:                             ;   in Loop: Header=BB6_6121 Depth=3
	v_mov_b32_e32 v7, 0
	v_mov_b32_e32 v1, 0
	s_and_saveexec_b64 s[70:71], s[30:31]
	s_cbranch_execz .LBB6_6650
; %bb.6643:                             ;   in Loop: Header=BB6_6121 Depth=3
	v_cmp_ne_u16_e32 vcc, s94, v44
	v_bfrev_b32_e32 v1, 1
	s_and_saveexec_b64 s[72:73], vcc
	s_cbranch_execz .LBB6_6649
; %bb.6644:                             ;   in Loop: Header=BB6_6121 Depth=3
	v_and_b32_e32 v1, 0x7c, v0
	v_and_b32_e32 v16, 3, v0
	v_cmp_ne_u32_e32 vcc, s95, v1
                                        ; implicit-def: $vgpr1
	s_and_saveexec_b64 s[74:75], vcc
	s_xor_b64 s[74:75], exec, s[74:75]
	s_cbranch_execz .LBB6_6646
; %bb.6645:                             ;   in Loop: Header=BB6_6121 Depth=3
	v_ffbh_u32_e32 v22, v16
	v_min_u32_e32 v24, 32, v22
	v_mov_b32_e32 v45, v51
	v_subrev_u32_e32 v22, 29, v24
	v_bfe_u32 v1, v0, 2, 5
	v_lshlrev_b64 v[22:23], v22, v[44:45]
	v_sub_u32_e32 v23, 30, v24
	v_and_b32_e32 v22, 3, v22
	v_cmp_eq_u32_e32 vcc, 0, v1
	v_cndmask_b32_e32 v1, v1, v23, vcc
	v_cndmask_b32_e32 v16, v16, v22, vcc
	v_bfrev_b32_e32 v22, 28
	v_bfe_i32 v20, v44, 0, 16
	v_lshl_add_u32 v1, v1, 23, v22
	v_and_or_b32 v1, v20, s96, v1
	v_lshl_or_b32 v1, v16, 21, v1
                                        ; implicit-def: $vgpr16
.LBB6_6646:                             ;   in Loop: Header=BB6_6121 Depth=3
	s_andn2_saveexec_b64 s[74:75], s[74:75]
; %bb.6647:                             ;   in Loop: Header=BB6_6121 Depth=3
	v_cmp_lt_i16_e32 vcc, -1, v44
	v_mov_b32_e32 v1, 0xc7600000
	v_mov_b32_e32 v20, 0x47600000
	v_cndmask_b32_e32 v1, v1, v20, vcc
	v_cmp_eq_u32_e32 vcc, 0, v16
	v_mov_b32_e32 v16, 0x7f800001
	v_cndmask_b32_e32 v1, v16, v1, vcc
; %bb.6648:                             ;   in Loop: Header=BB6_6121 Depth=3
	s_or_b64 exec, exec, s[74:75]
.LBB6_6649:                             ;   in Loop: Header=BB6_6121 Depth=3
	s_or_b64 exec, exec, s[72:73]
.LBB6_6650:                             ;   in Loop: Header=BB6_6121 Depth=3
	s_or_b64 exec, exec, s[70:71]
	v_cmp_ne_u16_e32 vcc, 0, v26
	s_and_saveexec_b64 s[70:71], vcc
	s_cbranch_execz .LBB6_6658
; %bb.6651:                             ;   in Loop: Header=BB6_6121 Depth=3
	v_cmp_ne_u16_e32 vcc, s94, v26
	v_bfrev_b32_e32 v7, 1
	s_and_saveexec_b64 s[72:73], vcc
	s_cbranch_execz .LBB6_6657
; %bb.6652:                             ;   in Loop: Header=BB6_6121 Depth=3
	v_and_b32_e32 v7, 0x7c, v26
	v_and_b32_e32 v16, 3, v26
	v_cmp_ne_u32_e32 vcc, s95, v7
                                        ; implicit-def: $vgpr7
	s_and_saveexec_b64 s[74:75], vcc
	s_xor_b64 s[74:75], exec, s[74:75]
	s_cbranch_execz .LBB6_6654
; %bb.6653:                             ;   in Loop: Header=BB6_6121 Depth=3
	v_ffbh_u32_e32 v22, v16
	v_min_u32_e32 v24, 32, v22
	v_and_b32_e32 v7, 0xff, v26
	v_mov_b32_e32 v27, v51
	v_subrev_u32_e32 v22, 29, v24
	v_bfe_u32 v7, v7, 2, 5
	v_lshlrev_b64 v[22:23], v22, v[26:27]
	v_sub_u32_e32 v23, 30, v24
	v_and_b32_e32 v22, 3, v22
	v_cmp_eq_u32_e32 vcc, 0, v7
	v_cndmask_b32_e32 v7, v7, v23, vcc
	v_cndmask_b32_e32 v16, v16, v22, vcc
	v_bfrev_b32_e32 v22, 28
	v_bfe_i32 v20, v26, 0, 16
	v_lshl_add_u32 v7, v7, 23, v22
	v_and_or_b32 v7, v20, s96, v7
	v_lshl_or_b32 v7, v16, 21, v7
                                        ; implicit-def: $vgpr16
.LBB6_6654:                             ;   in Loop: Header=BB6_6121 Depth=3
	s_andn2_saveexec_b64 s[74:75], s[74:75]
; %bb.6655:                             ;   in Loop: Header=BB6_6121 Depth=3
	v_cmp_lt_i16_e32 vcc, -1, v26
	v_mov_b32_e32 v7, 0xc7600000
	v_mov_b32_e32 v20, 0x47600000
	v_cndmask_b32_e32 v7, v7, v20, vcc
	v_cmp_eq_u32_e32 vcc, 0, v16
	v_mov_b32_e32 v16, 0x7f800001
	v_cndmask_b32_e32 v7, v16, v7, vcc
; %bb.6656:                             ;   in Loop: Header=BB6_6121 Depth=3
	s_or_b64 exec, exec, s[74:75]
.LBB6_6657:                             ;   in Loop: Header=BB6_6121 Depth=3
	s_or_b64 exec, exec, s[72:73]
.LBB6_6658:                             ;   in Loop: Header=BB6_6121 Depth=3
	s_or_b64 exec, exec, s[70:71]
	v_max_f32_e32 v7, v7, v7
	v_max_f32_e32 v1, v1, v1
	;; [unrolled: 1-line block ×3, first 2 shown]
	s_branch .LBB6_6677
.LBB6_6659:                             ;   in Loop: Header=BB6_6121 Depth=3
                                        ; implicit-def: $vgpr1
	s_cbranch_execz .LBB6_6677
; %bb.6660:                             ;   in Loop: Header=BB6_6121 Depth=3
	v_mov_b32_e32 v7, 0
	v_mov_b32_e32 v1, 0
	s_and_saveexec_b64 s[70:71], s[30:31]
	s_cbranch_execz .LBB6_6668
; %bb.6661:                             ;   in Loop: Header=BB6_6121 Depth=3
	v_cmp_ne_u16_e32 vcc, s94, v44
	v_bfrev_b32_e32 v1, 1
	s_and_saveexec_b64 s[30:31], vcc
	s_cbranch_execz .LBB6_6667
; %bb.6662:                             ;   in Loop: Header=BB6_6121 Depth=3
	v_and_b32_e32 v1, 0x7c, v0
	v_and_b32_e32 v16, 3, v0
	v_cmp_ne_u32_e32 vcc, s95, v1
                                        ; implicit-def: $vgpr1
	s_and_saveexec_b64 s[72:73], vcc
	s_xor_b64 s[72:73], exec, s[72:73]
	s_cbranch_execz .LBB6_6664
; %bb.6663:                             ;   in Loop: Header=BB6_6121 Depth=3
	v_bfe_u32 v20, v0, 2, 5
	v_ffbh_u32_e32 v0, v16
	v_min_u32_e32 v23, 32, v0
	v_mov_b32_e32 v45, v51
	v_subrev_u32_e32 v0, 29, v23
	v_lshlrev_b64 v[0:1], v0, v[44:45]
	v_sub_u32_e32 v1, 30, v23
	v_and_b32_e32 v0, 3, v0
	v_cmp_eq_u32_e32 vcc, 0, v20
	v_cndmask_b32_e32 v1, v20, v1, vcc
	v_cndmask_b32_e32 v0, v16, v0, vcc
	v_bfrev_b32_e32 v16, 28
	v_bfe_i32 v22, v44, 0, 16
	v_lshl_add_u32 v1, v1, 23, v16
	v_and_or_b32 v1, v22, s96, v1
	v_lshl_or_b32 v1, v0, 21, v1
                                        ; implicit-def: $vgpr16
                                        ; implicit-def: $vgpr44
.LBB6_6664:                             ;   in Loop: Header=BB6_6121 Depth=3
	s_andn2_saveexec_b64 s[72:73], s[72:73]
; %bb.6665:                             ;   in Loop: Header=BB6_6121 Depth=3
	v_cmp_lt_i16_e32 vcc, -1, v44
	v_mov_b32_e32 v0, 0xc7600000
	v_mov_b32_e32 v1, 0x47600000
	v_cndmask_b32_e32 v0, v0, v1, vcc
	v_cmp_eq_u32_e32 vcc, 0, v16
	v_mov_b32_e32 v1, 0x7f800001
	v_cndmask_b32_e32 v1, v1, v0, vcc
; %bb.6666:                             ;   in Loop: Header=BB6_6121 Depth=3
	s_or_b64 exec, exec, s[72:73]
.LBB6_6667:                             ;   in Loop: Header=BB6_6121 Depth=3
	s_or_b64 exec, exec, s[30:31]
.LBB6_6668:                             ;   in Loop: Header=BB6_6121 Depth=3
	s_or_b64 exec, exec, s[70:71]
	v_cmp_ne_u16_e32 vcc, 0, v26
	s_and_saveexec_b64 s[30:31], vcc
	s_cbranch_execz .LBB6_6676
; %bb.6669:                             ;   in Loop: Header=BB6_6121 Depth=3
	v_cmp_ne_u16_e32 vcc, s94, v26
	v_bfrev_b32_e32 v7, 1
	s_and_saveexec_b64 s[70:71], vcc
	s_cbranch_execz .LBB6_6675
; %bb.6670:                             ;   in Loop: Header=BB6_6121 Depth=3
	v_and_b32_e32 v7, 0x7c, v26
	v_and_b32_e32 v0, 3, v26
	v_cmp_ne_u32_e32 vcc, s95, v7
                                        ; implicit-def: $vgpr7
	s_and_saveexec_b64 s[72:73], vcc
	s_xor_b64 s[72:73], exec, s[72:73]
	s_cbranch_execz .LBB6_6672
; %bb.6671:                             ;   in Loop: Header=BB6_6121 Depth=3
	v_and_b32_e32 v7, 0xff, v26
	v_ffbh_u32_e32 v20, v0
	v_bfe_u32 v7, v7, 2, 5
	v_min_u32_e32 v20, 32, v20
	v_mov_b32_e32 v27, v51
	v_subrev_u32_e32 v22, 29, v20
	v_sub_u32_e32 v20, 30, v20
	v_cmp_eq_u32_e32 vcc, 0, v7
	v_lshlrev_b64 v[22:23], v22, v[26:27]
	v_cndmask_b32_e32 v7, v7, v20, vcc
	v_bfrev_b32_e32 v20, 28
	v_bfe_i32 v16, v26, 0, 16
	v_and_b32_e32 v22, 3, v22
	v_lshl_add_u32 v7, v7, 23, v20
	v_cndmask_b32_e32 v0, v0, v22, vcc
	v_and_or_b32 v7, v16, s96, v7
	v_lshl_or_b32 v7, v0, 21, v7
                                        ; implicit-def: $vgpr0
                                        ; implicit-def: $vgpr26
.LBB6_6672:                             ;   in Loop: Header=BB6_6121 Depth=3
	s_andn2_saveexec_b64 s[72:73], s[72:73]
; %bb.6673:                             ;   in Loop: Header=BB6_6121 Depth=3
	v_cmp_lt_i16_e32 vcc, -1, v26
	v_mov_b32_e32 v7, 0xc7600000
	v_mov_b32_e32 v16, 0x47600000
	v_cndmask_b32_e32 v7, v7, v16, vcc
	v_cmp_eq_u32_e32 vcc, 0, v0
	v_mov_b32_e32 v0, 0x7f800001
	v_cndmask_b32_e32 v7, v0, v7, vcc
; %bb.6674:                             ;   in Loop: Header=BB6_6121 Depth=3
	s_or_b64 exec, exec, s[72:73]
.LBB6_6675:                             ;   in Loop: Header=BB6_6121 Depth=3
	s_or_b64 exec, exec, s[70:71]
.LBB6_6676:                             ;   in Loop: Header=BB6_6121 Depth=3
	s_or_b64 exec, exec, s[30:31]
	v_max_f32_e32 v0, v7, v7
	v_max_f32_e32 v1, v1, v1
	v_min_f32_e32 v1, v1, v0
.LBB6_6677:                             ;   in Loop: Header=BB6_6121 Depth=3
	v_and_b32_sdwa v16, v1, s97 dst_sel:DWORD dst_unused:UNUSED_PAD src0_sel:BYTE_3 src1_sel:DWORD
	v_and_b32_e32 v22, 0x7f800000, v1
	v_mov_b32_e32 v23, v51
	v_and_b32_e32 v50, 0x7fffff, v1
	v_or_b32_e32 v7, 0x7b, v16
	v_cmp_ne_u64_e32 vcc, s[52:53], v[22:23]
	s_and_saveexec_b64 s[30:31], vcc
	s_xor_b64 s[70:71], exec, s[30:31]
	s_cbranch_execz .LBB6_6691
; %bb.6678:                             ;   in Loop: Header=BB6_6121 Depth=3
	v_and_b32_e32 v22, 0x7fffffff, v1
	v_mov_b32_e32 v23, v51
	v_cmp_gt_u64_e32 vcc, s[54:55], v[22:23]
	s_and_saveexec_b64 s[30:31], vcc
	s_xor_b64 s[72:73], exec, s[30:31]
	s_cbranch_execz .LBB6_6690
; %bb.6679:                             ;   in Loop: Header=BB6_6121 Depth=3
	v_cmp_ne_u32_e32 vcc, 0, v1
	v_mov_b32_e32 v7, 0
	s_and_saveexec_b64 s[74:75], vcc
	s_cbranch_execz .LBB6_6689
; %bb.6680:                             ;   in Loop: Header=BB6_6121 Depth=3
	v_bfe_u32 v0, v1, 23, 8
	v_cmp_eq_u32_e32 vcc, 0, v0
	v_add_u32_e32 v1, 0xffffff81, v0
	v_cmp_gt_u32_e64 s[30:31], s38, v0
	v_sub_u32_e32 v0, 0x71, v0
	v_mov_b32_e32 v20, 0xffffff82
	v_cndmask_b32_e64 v0, 0, v0, s[30:31]
	v_cndmask_b32_e32 v20, v1, v20, vcc
	v_mov_b32_e32 v1, 0x70
	v_cndmask_b32_e32 v24, v0, v1, vcc
	v_add_u32_e32 v0, 21, v24
	v_or_b32_e32 v7, 0x800000, v50
	v_lshlrev_b64 v[0:1], v0, -1
	v_cndmask_b32_e32 v50, v7, v50, vcc
	v_not_b32_e32 v1, v1
	v_not_b32_e32 v0, v0
	v_add_u32_e32 v7, 20, v24
	v_and_b32_e32 v1, 0, v1
	v_and_b32_e32 v0, v50, v0
	v_lshlrev_b64 v[22:23], v7, 1
	v_cmp_eq_u64_e32 vcc, v[0:1], v[22:23]
	v_lshrrev_b64 v[0:1], v24, v[50:51]
	v_lshrrev_b32_e32 v7, 23, v0
	v_add3_u32 v22, v24, v20, v7
	v_bfe_u32 v20, v0, 21, 1
	v_add_u32_e32 v20, -1, v20
	v_cndmask_b32_e32 v20, 0, v20, vcc
	v_add_u32_e32 v20, v20, v0
	v_and_b32_e32 v20, 0x1fffff, v20
	v_add_co_u32_e32 v0, vcc, v20, v0
	v_add_u32_e32 v7, 14, v22
	v_addc_co_u32_e32 v1, vcc, 0, v1, vcc
	v_cmp_ne_u32_e32 vcc, 0, v7
                                        ; implicit-def: $vgpr20
	s_and_saveexec_b64 s[30:31], vcc
	s_xor_b64 s[30:31], exec, s[30:31]
; %bb.6681:                             ;   in Loop: Header=BB6_6121 Depth=3
	v_add_u32_e32 v20, 15, v22
	v_cmp_lt_u64_e32 vcc, s[56:57], v[0:1]
	v_cndmask_b32_e32 v20, v7, v20, vcc
	v_cndmask_b32_e64 v7, 0, 1, vcc
	v_lshrrev_b64 v[0:1], v7, v[0:1]
; %bb.6682:                             ;   in Loop: Header=BB6_6121 Depth=3
	s_andn2_saveexec_b64 vcc, s[30:31]
; %bb.6683:                             ;   in Loop: Header=BB6_6121 Depth=3
	v_bfe_u32 v20, v0, 23, 1
; %bb.6684:                             ;   in Loop: Header=BB6_6121 Depth=3
	s_or_b64 exec, exec, vcc
	v_lshrrev_b64 v[0:1], 21, v[0:1]
	v_cmp_gt_i32_e32 vcc, 32, v20
	v_cndmask_b32_e32 v1, 0, v1, vcc
	v_cndmask_b32_e32 v0, 3, v0, vcc
	v_cmp_ne_u32_e32 vcc, 0, v20
	v_cmp_ne_u64_e64 s[30:31], 0, v[0:1]
	s_or_b64 vcc, vcc, s[30:31]
                                        ; implicit-def: $vgpr7
	s_and_saveexec_b64 s[30:31], vcc
	s_xor_b64 vcc, exec, s[30:31]
; %bb.6685:                             ;   in Loop: Header=BB6_6121 Depth=3
	v_min_i32_e32 v1, 31, v20
	v_lshl_or_b32 v1, v1, 2, v16
	v_and_or_b32 v7, v0, 3, v1
                                        ; implicit-def: $vgpr16
; %bb.6686:                             ;   in Loop: Header=BB6_6121 Depth=3
	s_andn2_saveexec_b64 vcc, vcc
; %bb.6687:                             ;   in Loop: Header=BB6_6121 Depth=3
	v_mov_b32_e32 v7, v16
; %bb.6688:                             ;   in Loop: Header=BB6_6121 Depth=3
	s_or_b64 exec, exec, vcc
.LBB6_6689:                             ;   in Loop: Header=BB6_6121 Depth=3
	s_or_b64 exec, exec, s[74:75]
.LBB6_6690:                             ;   in Loop: Header=BB6_6121 Depth=3
	s_andn2_saveexec_b64 vcc, s[72:73]
	s_or_b64 exec, exec, vcc
                                        ; implicit-def: $vgpr1
.LBB6_6691:                             ;   in Loop: Header=BB6_6121 Depth=3
	s_andn2_saveexec_b64 s[30:31], s[70:71]
; %bb.6692:                             ;   in Loop: Header=BB6_6121 Depth=3
	v_or_b32_sdwa v0, v1, s39 dst_sel:DWORD dst_unused:UNUSED_PAD src0_sel:BYTE_3 src1_sel:DWORD
	v_cmp_eq_u64_e32 vcc, 0, v[50:51]
	v_cndmask_b32_e32 v7, v0, v7, vcc
; %bb.6693:                             ;   in Loop: Header=BB6_6121 Depth=3
	s_or_b64 exec, exec, s[30:31]
	v_and_b32_e32 v0, 0xff, v28
	s_and_b64 vcc, exec, s[28:29]
	v_cmp_ne_u16_e64 s[30:31], 0, v28
	s_cbranch_vccnz .LBB6_6711
; %bb.6694:                             ;   in Loop: Header=BB6_6121 Depth=3
	v_mov_b32_e32 v16, 0
	v_mov_b32_e32 v1, 0
	s_and_saveexec_b64 s[70:71], s[30:31]
	s_cbranch_execz .LBB6_6702
; %bb.6695:                             ;   in Loop: Header=BB6_6121 Depth=3
	v_cmp_ne_u16_e32 vcc, s94, v28
	v_bfrev_b32_e32 v1, 1
	s_and_saveexec_b64 s[72:73], vcc
	s_cbranch_execz .LBB6_6701
; %bb.6696:                             ;   in Loop: Header=BB6_6121 Depth=3
	v_and_b32_e32 v1, 0x7c, v0
	v_and_b32_e32 v20, 3, v0
	v_cmp_ne_u32_e32 vcc, s95, v1
                                        ; implicit-def: $vgpr1
	s_and_saveexec_b64 s[74:75], vcc
	s_xor_b64 s[74:75], exec, s[74:75]
	s_cbranch_execz .LBB6_6698
; %bb.6697:                             ;   in Loop: Header=BB6_6121 Depth=3
	v_ffbh_u32_e32 v22, v20
	v_min_u32_e32 v25, 32, v22
	v_mov_b32_e32 v29, v51
	v_subrev_u32_e32 v22, 29, v25
	v_bfe_u32 v1, v0, 2, 5
	v_lshlrev_b64 v[22:23], v22, v[28:29]
	v_sub_u32_e32 v23, 30, v25
	v_and_b32_e32 v22, 3, v22
	v_cmp_eq_u32_e32 vcc, 0, v1
	v_cndmask_b32_e32 v1, v1, v23, vcc
	v_cndmask_b32_e32 v20, v20, v22, vcc
	v_bfrev_b32_e32 v22, 28
	v_bfe_i32 v24, v28, 0, 16
	v_lshl_add_u32 v1, v1, 23, v22
	v_and_or_b32 v1, v24, s96, v1
	v_lshl_or_b32 v1, v20, 21, v1
                                        ; implicit-def: $vgpr20
.LBB6_6698:                             ;   in Loop: Header=BB6_6121 Depth=3
	s_andn2_saveexec_b64 s[74:75], s[74:75]
; %bb.6699:                             ;   in Loop: Header=BB6_6121 Depth=3
	v_cmp_lt_i16_e32 vcc, -1, v28
	v_mov_b32_e32 v1, 0xc7600000
	v_mov_b32_e32 v22, 0x47600000
	v_cndmask_b32_e32 v1, v1, v22, vcc
	v_cmp_eq_u32_e32 vcc, 0, v20
	v_mov_b32_e32 v20, 0x7f800001
	v_cndmask_b32_e32 v1, v20, v1, vcc
; %bb.6700:                             ;   in Loop: Header=BB6_6121 Depth=3
	s_or_b64 exec, exec, s[74:75]
.LBB6_6701:                             ;   in Loop: Header=BB6_6121 Depth=3
	s_or_b64 exec, exec, s[72:73]
.LBB6_6702:                             ;   in Loop: Header=BB6_6121 Depth=3
	s_or_b64 exec, exec, s[70:71]
	v_cmp_ne_u16_e32 vcc, 0, v56
	s_and_saveexec_b64 s[70:71], vcc
	s_cbranch_execz .LBB6_6710
; %bb.6703:                             ;   in Loop: Header=BB6_6121 Depth=3
	v_cmp_ne_u16_e32 vcc, s94, v56
	v_bfrev_b32_e32 v16, 1
	s_and_saveexec_b64 s[72:73], vcc
	s_cbranch_execz .LBB6_6709
; %bb.6704:                             ;   in Loop: Header=BB6_6121 Depth=3
	v_and_b32_e32 v16, 0x7c, v56
	v_and_b32_e32 v20, 3, v56
	v_cmp_ne_u32_e32 vcc, s95, v16
                                        ; implicit-def: $vgpr16
	s_and_saveexec_b64 s[74:75], vcc
	s_xor_b64 s[74:75], exec, s[74:75]
	s_cbranch_execz .LBB6_6706
; %bb.6705:                             ;   in Loop: Header=BB6_6121 Depth=3
	v_ffbh_u32_e32 v22, v20
	v_min_u32_e32 v25, 32, v22
	v_and_b32_e32 v16, 0xff, v56
	v_mov_b32_e32 v57, v51
	v_subrev_u32_e32 v22, 29, v25
	v_bfe_u32 v16, v16, 2, 5
	v_lshlrev_b64 v[22:23], v22, v[56:57]
	v_sub_u32_e32 v23, 30, v25
	v_and_b32_e32 v22, 3, v22
	v_cmp_eq_u32_e32 vcc, 0, v16
	v_cndmask_b32_e32 v16, v16, v23, vcc
	v_cndmask_b32_e32 v20, v20, v22, vcc
	v_bfrev_b32_e32 v22, 28
	v_bfe_i32 v24, v56, 0, 16
	v_lshl_add_u32 v16, v16, 23, v22
	v_and_or_b32 v16, v24, s96, v16
	v_lshl_or_b32 v16, v20, 21, v16
                                        ; implicit-def: $vgpr20
.LBB6_6706:                             ;   in Loop: Header=BB6_6121 Depth=3
	s_andn2_saveexec_b64 s[74:75], s[74:75]
; %bb.6707:                             ;   in Loop: Header=BB6_6121 Depth=3
	v_cmp_lt_i16_e32 vcc, -1, v56
	v_mov_b32_e32 v16, 0xc7600000
	v_mov_b32_e32 v22, 0x47600000
	v_cndmask_b32_e32 v16, v16, v22, vcc
	v_cmp_eq_u32_e32 vcc, 0, v20
	v_mov_b32_e32 v20, 0x7f800001
	v_cndmask_b32_e32 v16, v20, v16, vcc
; %bb.6708:                             ;   in Loop: Header=BB6_6121 Depth=3
	s_or_b64 exec, exec, s[74:75]
.LBB6_6709:                             ;   in Loop: Header=BB6_6121 Depth=3
	s_or_b64 exec, exec, s[72:73]
.LBB6_6710:                             ;   in Loop: Header=BB6_6121 Depth=3
	s_or_b64 exec, exec, s[70:71]
	v_max_f32_e32 v16, v16, v16
	v_max_f32_e32 v1, v1, v1
	;; [unrolled: 1-line block ×3, first 2 shown]
	s_branch .LBB6_6729
.LBB6_6711:                             ;   in Loop: Header=BB6_6121 Depth=3
                                        ; implicit-def: $vgpr1
	s_cbranch_execz .LBB6_6729
; %bb.6712:                             ;   in Loop: Header=BB6_6121 Depth=3
	v_mov_b32_e32 v16, 0
	v_mov_b32_e32 v1, 0
	s_and_saveexec_b64 s[70:71], s[30:31]
	s_cbranch_execz .LBB6_6720
; %bb.6713:                             ;   in Loop: Header=BB6_6121 Depth=3
	v_cmp_ne_u16_e32 vcc, s94, v28
	v_bfrev_b32_e32 v1, 1
	s_and_saveexec_b64 s[30:31], vcc
	s_cbranch_execz .LBB6_6719
; %bb.6714:                             ;   in Loop: Header=BB6_6121 Depth=3
	v_and_b32_e32 v1, 0x7c, v0
	v_and_b32_e32 v20, 3, v0
	v_cmp_ne_u32_e32 vcc, s95, v1
                                        ; implicit-def: $vgpr1
	s_and_saveexec_b64 s[72:73], vcc
	s_xor_b64 s[72:73], exec, s[72:73]
	s_cbranch_execz .LBB6_6716
; %bb.6715:                             ;   in Loop: Header=BB6_6121 Depth=3
	v_bfe_u32 v22, v0, 2, 5
	v_ffbh_u32_e32 v0, v20
	v_min_u32_e32 v24, 32, v0
	v_mov_b32_e32 v29, v51
	v_subrev_u32_e32 v0, 29, v24
	v_lshlrev_b64 v[0:1], v0, v[28:29]
	v_sub_u32_e32 v1, 30, v24
	v_and_b32_e32 v0, 3, v0
	v_cmp_eq_u32_e32 vcc, 0, v22
	v_cndmask_b32_e32 v1, v22, v1, vcc
	v_cndmask_b32_e32 v0, v20, v0, vcc
	v_bfrev_b32_e32 v20, 28
	v_bfe_i32 v23, v28, 0, 16
	v_lshl_add_u32 v1, v1, 23, v20
	v_and_or_b32 v1, v23, s96, v1
	v_lshl_or_b32 v1, v0, 21, v1
                                        ; implicit-def: $vgpr20
                                        ; implicit-def: $vgpr28
.LBB6_6716:                             ;   in Loop: Header=BB6_6121 Depth=3
	s_andn2_saveexec_b64 s[72:73], s[72:73]
; %bb.6717:                             ;   in Loop: Header=BB6_6121 Depth=3
	v_cmp_lt_i16_e32 vcc, -1, v28
	v_mov_b32_e32 v0, 0xc7600000
	v_mov_b32_e32 v1, 0x47600000
	v_cndmask_b32_e32 v0, v0, v1, vcc
	v_cmp_eq_u32_e32 vcc, 0, v20
	v_mov_b32_e32 v1, 0x7f800001
	v_cndmask_b32_e32 v1, v1, v0, vcc
; %bb.6718:                             ;   in Loop: Header=BB6_6121 Depth=3
	s_or_b64 exec, exec, s[72:73]
.LBB6_6719:                             ;   in Loop: Header=BB6_6121 Depth=3
	s_or_b64 exec, exec, s[30:31]
.LBB6_6720:                             ;   in Loop: Header=BB6_6121 Depth=3
	s_or_b64 exec, exec, s[70:71]
	v_cmp_ne_u16_e32 vcc, 0, v56
	s_and_saveexec_b64 s[30:31], vcc
	s_cbranch_execz .LBB6_6728
; %bb.6721:                             ;   in Loop: Header=BB6_6121 Depth=3
	v_cmp_ne_u16_e32 vcc, s94, v56
	v_bfrev_b32_e32 v16, 1
	s_and_saveexec_b64 s[70:71], vcc
	s_cbranch_execz .LBB6_6727
; %bb.6722:                             ;   in Loop: Header=BB6_6121 Depth=3
	v_and_b32_e32 v16, 0x7c, v56
	v_and_b32_e32 v0, 3, v56
	v_cmp_ne_u32_e32 vcc, s95, v16
                                        ; implicit-def: $vgpr16
	s_and_saveexec_b64 s[72:73], vcc
	s_xor_b64 s[72:73], exec, s[72:73]
	s_cbranch_execz .LBB6_6724
; %bb.6723:                             ;   in Loop: Header=BB6_6121 Depth=3
	v_ffbh_u32_e32 v22, v0
	v_min_u32_e32 v24, 32, v22
	v_and_b32_e32 v16, 0xff, v56
	v_mov_b32_e32 v57, v51
	v_subrev_u32_e32 v22, 29, v24
	v_bfe_u32 v16, v16, 2, 5
	v_lshlrev_b64 v[22:23], v22, v[56:57]
	v_sub_u32_e32 v23, 30, v24
	v_and_b32_e32 v22, 3, v22
	v_cmp_eq_u32_e32 vcc, 0, v16
	v_cndmask_b32_e32 v16, v16, v23, vcc
	v_cndmask_b32_e32 v0, v0, v22, vcc
	v_bfrev_b32_e32 v22, 28
	v_bfe_i32 v20, v56, 0, 16
	v_lshl_add_u32 v16, v16, 23, v22
	v_and_or_b32 v16, v20, s96, v16
	v_lshl_or_b32 v16, v0, 21, v16
                                        ; implicit-def: $vgpr0
                                        ; implicit-def: $vgpr56
.LBB6_6724:                             ;   in Loop: Header=BB6_6121 Depth=3
	s_andn2_saveexec_b64 s[72:73], s[72:73]
; %bb.6725:                             ;   in Loop: Header=BB6_6121 Depth=3
	v_cmp_lt_i16_e32 vcc, -1, v56
	v_mov_b32_e32 v16, 0xc7600000
	v_mov_b32_e32 v20, 0x47600000
	v_cndmask_b32_e32 v16, v16, v20, vcc
	v_cmp_eq_u32_e32 vcc, 0, v0
	v_mov_b32_e32 v0, 0x7f800001
	v_cndmask_b32_e32 v16, v0, v16, vcc
; %bb.6726:                             ;   in Loop: Header=BB6_6121 Depth=3
	s_or_b64 exec, exec, s[72:73]
.LBB6_6727:                             ;   in Loop: Header=BB6_6121 Depth=3
	s_or_b64 exec, exec, s[70:71]
.LBB6_6728:                             ;   in Loop: Header=BB6_6121 Depth=3
	s_or_b64 exec, exec, s[30:31]
	v_max_f32_e32 v0, v16, v16
	v_max_f32_e32 v1, v1, v1
	v_min_f32_e32 v1, v1, v0
.LBB6_6729:                             ;   in Loop: Header=BB6_6121 Depth=3
	v_and_b32_sdwa v20, v1, s97 dst_sel:DWORD dst_unused:UNUSED_PAD src0_sel:BYTE_3 src1_sel:DWORD
	v_and_b32_e32 v50, 0x7fffff, v1
	v_or_b32_e32 v16, 0x7b, v20
	v_and_b32_e32 v22, 0x7f800000, v1
	v_mov_b32_e32 v23, v51
	v_cmp_ne_u64_e32 vcc, s[52:53], v[22:23]
	s_mov_b64 s[30:31], exec
	s_and_b64 vcc, s[30:31], vcc
	s_xor_b64 s[70:71], vcc, s[30:31]
	v_accvgpr_read_b32 v28, a58
	s_mov_b64 exec, vcc
	s_cbranch_execz .LBB6_6743
; %bb.6730:                             ;   in Loop: Header=BB6_6121 Depth=3
	v_and_b32_e32 v22, 0x7fffffff, v1
	v_mov_b32_e32 v23, v51
	v_cmp_gt_u64_e32 vcc, s[54:55], v[22:23]
	s_and_saveexec_b64 s[30:31], vcc
	s_xor_b64 s[72:73], exec, s[30:31]
	s_cbranch_execz .LBB6_6742
; %bb.6731:                             ;   in Loop: Header=BB6_6121 Depth=3
	v_cmp_ne_u32_e32 vcc, 0, v1
	v_mov_b32_e32 v16, 0
	s_and_saveexec_b64 s[74:75], vcc
	s_cbranch_execz .LBB6_6741
; %bb.6732:                             ;   in Loop: Header=BB6_6121 Depth=3
	v_bfe_u32 v0, v1, 23, 8
	v_cmp_eq_u32_e32 vcc, 0, v0
	v_add_u32_e32 v1, 0xffffff81, v0
	v_cmp_gt_u32_e64 s[30:31], s38, v0
	v_sub_u32_e32 v0, 0x71, v0
	v_mov_b32_e32 v22, 0xffffff82
	v_cndmask_b32_e64 v0, 0, v0, s[30:31]
	v_cndmask_b32_e32 v24, v1, v22, vcc
	v_mov_b32_e32 v1, 0x70
	v_cndmask_b32_e32 v25, v0, v1, vcc
	v_add_u32_e32 v0, 21, v25
	v_or_b32_e32 v16, 0x800000, v50
	v_lshlrev_b64 v[0:1], v0, -1
	v_cndmask_b32_e32 v50, v16, v50, vcc
	v_not_b32_e32 v1, v1
	v_not_b32_e32 v0, v0
	v_add_u32_e32 v16, 20, v25
	v_and_b32_e32 v1, 0, v1
	v_and_b32_e32 v0, v50, v0
	v_lshlrev_b64 v[22:23], v16, 1
	v_cmp_eq_u64_e32 vcc, v[0:1], v[22:23]
	v_lshrrev_b64 v[0:1], v25, v[50:51]
	v_bfe_u32 v22, v0, 21, 1
	v_add_u32_e32 v22, -1, v22
	v_cndmask_b32_e32 v22, 0, v22, vcc
	v_add_u32_e32 v22, v22, v0
	v_lshrrev_b32_e32 v16, 23, v0
	v_and_b32_e32 v22, 0x1fffff, v22
	v_add3_u32 v23, v25, v24, v16
	v_add_co_u32_e32 v0, vcc, v22, v0
	v_add_u32_e32 v16, 14, v23
	v_addc_co_u32_e32 v1, vcc, 0, v1, vcc
	v_cmp_ne_u32_e32 vcc, 0, v16
                                        ; implicit-def: $vgpr22
	s_and_saveexec_b64 s[30:31], vcc
	s_xor_b64 s[30:31], exec, s[30:31]
; %bb.6733:                             ;   in Loop: Header=BB6_6121 Depth=3
	v_add_u32_e32 v22, 15, v23
	v_cmp_lt_u64_e32 vcc, s[56:57], v[0:1]
	v_cndmask_b32_e32 v22, v16, v22, vcc
	v_cndmask_b32_e64 v16, 0, 1, vcc
	v_lshrrev_b64 v[0:1], v16, v[0:1]
; %bb.6734:                             ;   in Loop: Header=BB6_6121 Depth=3
	s_andn2_saveexec_b64 vcc, s[30:31]
; %bb.6735:                             ;   in Loop: Header=BB6_6121 Depth=3
	v_bfe_u32 v22, v0, 23, 1
; %bb.6736:                             ;   in Loop: Header=BB6_6121 Depth=3
	s_or_b64 exec, exec, vcc
	v_lshrrev_b64 v[0:1], 21, v[0:1]
	v_cmp_gt_i32_e32 vcc, 32, v22
	v_cndmask_b32_e32 v1, 0, v1, vcc
	v_cndmask_b32_e32 v0, 3, v0, vcc
	v_cmp_ne_u32_e32 vcc, 0, v22
	v_cmp_ne_u64_e64 s[30:31], 0, v[0:1]
	s_or_b64 vcc, vcc, s[30:31]
                                        ; implicit-def: $vgpr16
	s_and_saveexec_b64 s[30:31], vcc
	s_xor_b64 vcc, exec, s[30:31]
; %bb.6737:                             ;   in Loop: Header=BB6_6121 Depth=3
	v_min_i32_e32 v1, 31, v22
	v_lshl_or_b32 v1, v1, 2, v20
	v_and_or_b32 v16, v0, 3, v1
                                        ; implicit-def: $vgpr20
; %bb.6738:                             ;   in Loop: Header=BB6_6121 Depth=3
	s_andn2_saveexec_b64 vcc, vcc
; %bb.6739:                             ;   in Loop: Header=BB6_6121 Depth=3
	v_mov_b32_e32 v16, v20
; %bb.6740:                             ;   in Loop: Header=BB6_6121 Depth=3
	s_or_b64 exec, exec, vcc
.LBB6_6741:                             ;   in Loop: Header=BB6_6121 Depth=3
	s_or_b64 exec, exec, s[74:75]
.LBB6_6742:                             ;   in Loop: Header=BB6_6121 Depth=3
	s_andn2_saveexec_b64 vcc, s[72:73]
	s_or_b64 exec, exec, vcc
                                        ; implicit-def: $vgpr1
.LBB6_6743:                             ;   in Loop: Header=BB6_6121 Depth=3
	s_andn2_saveexec_b64 s[30:31], s[70:71]
; %bb.6744:                             ;   in Loop: Header=BB6_6121 Depth=3
	v_or_b32_sdwa v0, v1, s39 dst_sel:DWORD dst_unused:UNUSED_PAD src0_sel:BYTE_3 src1_sel:DWORD
	v_cmp_eq_u64_e32 vcc, 0, v[50:51]
	v_cndmask_b32_e32 v16, v0, v16, vcc
; %bb.6745:                             ;   in Loop: Header=BB6_6121 Depth=3
	s_or_b64 exec, exec, s[30:31]
	v_and_b32_e32 v0, 0xff, v58
	s_and_b64 vcc, exec, s[28:29]
	v_cmp_ne_u16_e64 s[30:31], 0, v58
	s_cbranch_vccnz .LBB6_6763
; %bb.6746:                             ;   in Loop: Header=BB6_6121 Depth=3
	v_mov_b32_e32 v20, 0
	v_mov_b32_e32 v1, 0
	s_and_saveexec_b64 s[70:71], s[30:31]
	s_cbranch_execz .LBB6_6754
; %bb.6747:                             ;   in Loop: Header=BB6_6121 Depth=3
	v_cmp_ne_u16_e32 vcc, s94, v58
	v_bfrev_b32_e32 v1, 1
	s_and_saveexec_b64 s[72:73], vcc
	s_cbranch_execz .LBB6_6753
; %bb.6748:                             ;   in Loop: Header=BB6_6121 Depth=3
	v_and_b32_e32 v1, 0x7c, v0
	v_and_b32_e32 v22, 3, v0
	v_cmp_ne_u32_e32 vcc, s95, v1
                                        ; implicit-def: $vgpr1
	s_and_saveexec_b64 s[74:75], vcc
	s_xor_b64 s[74:75], exec, s[74:75]
	s_cbranch_execz .LBB6_6750
; %bb.6749:                             ;   in Loop: Header=BB6_6121 Depth=3
	v_ffbh_u32_e32 v24, v22
	v_min_u32_e32 v26, 32, v24
	v_mov_b32_e32 v59, v51
	v_subrev_u32_e32 v24, 29, v26
	v_bfe_u32 v1, v0, 2, 5
	v_lshlrev_b64 v[24:25], v24, v[58:59]
	v_sub_u32_e32 v25, 30, v26
	v_and_b32_e32 v24, 3, v24
	v_cmp_eq_u32_e32 vcc, 0, v1
	v_cndmask_b32_e32 v1, v1, v25, vcc
	v_cndmask_b32_e32 v22, v22, v24, vcc
	v_bfrev_b32_e32 v24, 28
	v_bfe_i32 v23, v58, 0, 16
	v_lshl_add_u32 v1, v1, 23, v24
	v_and_or_b32 v1, v23, s96, v1
	v_lshl_or_b32 v1, v22, 21, v1
                                        ; implicit-def: $vgpr22
.LBB6_6750:                             ;   in Loop: Header=BB6_6121 Depth=3
	s_andn2_saveexec_b64 s[74:75], s[74:75]
; %bb.6751:                             ;   in Loop: Header=BB6_6121 Depth=3
	v_cmp_lt_i16_e32 vcc, -1, v58
	v_mov_b32_e32 v1, 0xc7600000
	v_mov_b32_e32 v23, 0x47600000
	v_cndmask_b32_e32 v1, v1, v23, vcc
	v_cmp_eq_u32_e32 vcc, 0, v22
	v_mov_b32_e32 v22, 0x7f800001
	v_cndmask_b32_e32 v1, v22, v1, vcc
; %bb.6752:                             ;   in Loop: Header=BB6_6121 Depth=3
	s_or_b64 exec, exec, s[74:75]
.LBB6_6753:                             ;   in Loop: Header=BB6_6121 Depth=3
	s_or_b64 exec, exec, s[72:73]
.LBB6_6754:                             ;   in Loop: Header=BB6_6121 Depth=3
	s_or_b64 exec, exec, s[70:71]
	v_cmp_ne_u16_e32 vcc, 0, v52
	s_and_saveexec_b64 s[70:71], vcc
	s_cbranch_execz .LBB6_6762
; %bb.6755:                             ;   in Loop: Header=BB6_6121 Depth=3
	v_cmp_ne_u16_e32 vcc, s94, v52
	v_bfrev_b32_e32 v20, 1
	s_and_saveexec_b64 s[72:73], vcc
	s_cbranch_execz .LBB6_6761
; %bb.6756:                             ;   in Loop: Header=BB6_6121 Depth=3
	v_and_b32_e32 v20, 0x7c, v52
	v_and_b32_e32 v22, 3, v52
	v_cmp_ne_u32_e32 vcc, s95, v20
                                        ; implicit-def: $vgpr20
	s_and_saveexec_b64 s[74:75], vcc
	s_xor_b64 s[74:75], exec, s[74:75]
	s_cbranch_execz .LBB6_6758
; %bb.6757:                             ;   in Loop: Header=BB6_6121 Depth=3
	v_ffbh_u32_e32 v24, v22
	v_min_u32_e32 v26, 32, v24
	v_and_b32_e32 v20, 0xff, v52
	v_mov_b32_e32 v53, v51
	v_subrev_u32_e32 v24, 29, v26
	v_bfe_u32 v20, v20, 2, 5
	v_lshlrev_b64 v[24:25], v24, v[52:53]
	v_sub_u32_e32 v25, 30, v26
	v_and_b32_e32 v24, 3, v24
	v_cmp_eq_u32_e32 vcc, 0, v20
	v_cndmask_b32_e32 v20, v20, v25, vcc
	v_cndmask_b32_e32 v22, v22, v24, vcc
	v_bfrev_b32_e32 v24, 28
	v_bfe_i32 v23, v52, 0, 16
	v_lshl_add_u32 v20, v20, 23, v24
	v_and_or_b32 v20, v23, s96, v20
	v_lshl_or_b32 v20, v22, 21, v20
                                        ; implicit-def: $vgpr22
.LBB6_6758:                             ;   in Loop: Header=BB6_6121 Depth=3
	s_andn2_saveexec_b64 s[74:75], s[74:75]
; %bb.6759:                             ;   in Loop: Header=BB6_6121 Depth=3
	v_cmp_lt_i16_e32 vcc, -1, v52
	v_mov_b32_e32 v20, 0xc7600000
	v_mov_b32_e32 v23, 0x47600000
	v_cndmask_b32_e32 v20, v20, v23, vcc
	v_cmp_eq_u32_e32 vcc, 0, v22
	v_mov_b32_e32 v22, 0x7f800001
	v_cndmask_b32_e32 v20, v22, v20, vcc
; %bb.6760:                             ;   in Loop: Header=BB6_6121 Depth=3
	s_or_b64 exec, exec, s[74:75]
.LBB6_6761:                             ;   in Loop: Header=BB6_6121 Depth=3
	s_or_b64 exec, exec, s[72:73]
.LBB6_6762:                             ;   in Loop: Header=BB6_6121 Depth=3
	s_or_b64 exec, exec, s[70:71]
	v_max_f32_e32 v20, v20, v20
	v_max_f32_e32 v1, v1, v1
	;; [unrolled: 1-line block ×3, first 2 shown]
	s_branch .LBB6_6781
.LBB6_6763:                             ;   in Loop: Header=BB6_6121 Depth=3
                                        ; implicit-def: $vgpr1
	s_cbranch_execz .LBB6_6781
; %bb.6764:                             ;   in Loop: Header=BB6_6121 Depth=3
	v_mov_b32_e32 v20, 0
	v_mov_b32_e32 v1, 0
	s_and_saveexec_b64 s[70:71], s[30:31]
	s_cbranch_execz .LBB6_6772
; %bb.6765:                             ;   in Loop: Header=BB6_6121 Depth=3
	v_cmp_ne_u16_e32 vcc, s94, v58
	v_bfrev_b32_e32 v1, 1
	s_and_saveexec_b64 s[30:31], vcc
	s_cbranch_execz .LBB6_6771
; %bb.6766:                             ;   in Loop: Header=BB6_6121 Depth=3
	v_and_b32_e32 v1, 0x7c, v0
	v_and_b32_e32 v22, 3, v0
	v_cmp_ne_u32_e32 vcc, s95, v1
                                        ; implicit-def: $vgpr1
	s_and_saveexec_b64 s[72:73], vcc
	s_xor_b64 s[72:73], exec, s[72:73]
	s_cbranch_execz .LBB6_6768
; %bb.6767:                             ;   in Loop: Header=BB6_6121 Depth=3
	v_bfe_u32 v23, v0, 2, 5
	v_ffbh_u32_e32 v0, v22
	v_min_u32_e32 v25, 32, v0
	v_mov_b32_e32 v59, v51
	v_subrev_u32_e32 v0, 29, v25
	v_lshlrev_b64 v[0:1], v0, v[58:59]
	v_sub_u32_e32 v1, 30, v25
	v_and_b32_e32 v0, 3, v0
	v_cmp_eq_u32_e32 vcc, 0, v23
	v_cndmask_b32_e32 v1, v23, v1, vcc
	v_cndmask_b32_e32 v0, v22, v0, vcc
	v_bfrev_b32_e32 v22, 28
	v_bfe_i32 v24, v58, 0, 16
	v_lshl_add_u32 v1, v1, 23, v22
	v_and_or_b32 v1, v24, s96, v1
	v_lshl_or_b32 v1, v0, 21, v1
                                        ; implicit-def: $vgpr22
                                        ; implicit-def: $vgpr58
.LBB6_6768:                             ;   in Loop: Header=BB6_6121 Depth=3
	s_andn2_saveexec_b64 s[72:73], s[72:73]
; %bb.6769:                             ;   in Loop: Header=BB6_6121 Depth=3
	v_cmp_lt_i16_e32 vcc, -1, v58
	v_mov_b32_e32 v0, 0xc7600000
	v_mov_b32_e32 v1, 0x47600000
	v_cndmask_b32_e32 v0, v0, v1, vcc
	v_cmp_eq_u32_e32 vcc, 0, v22
	v_mov_b32_e32 v1, 0x7f800001
	v_cndmask_b32_e32 v1, v1, v0, vcc
; %bb.6770:                             ;   in Loop: Header=BB6_6121 Depth=3
	s_or_b64 exec, exec, s[72:73]
.LBB6_6771:                             ;   in Loop: Header=BB6_6121 Depth=3
	s_or_b64 exec, exec, s[30:31]
.LBB6_6772:                             ;   in Loop: Header=BB6_6121 Depth=3
	s_or_b64 exec, exec, s[70:71]
	v_cmp_ne_u16_e32 vcc, 0, v52
	s_and_saveexec_b64 s[30:31], vcc
	s_cbranch_execz .LBB6_6780
; %bb.6773:                             ;   in Loop: Header=BB6_6121 Depth=3
	v_cmp_ne_u16_e32 vcc, s94, v52
	v_bfrev_b32_e32 v20, 1
	s_and_saveexec_b64 s[70:71], vcc
	s_cbranch_execz .LBB6_6779
; %bb.6774:                             ;   in Loop: Header=BB6_6121 Depth=3
	v_and_b32_e32 v20, 0x7c, v52
	v_and_b32_e32 v0, 3, v52
	v_cmp_ne_u32_e32 vcc, s95, v20
                                        ; implicit-def: $vgpr20
	s_and_saveexec_b64 s[72:73], vcc
	s_xor_b64 s[72:73], exec, s[72:73]
	s_cbranch_execz .LBB6_6776
; %bb.6775:                             ;   in Loop: Header=BB6_6121 Depth=3
	v_ffbh_u32_e32 v22, v0
	v_min_u32_e32 v25, 32, v22
	v_and_b32_e32 v20, 0xff, v52
	v_mov_b32_e32 v53, v51
	v_subrev_u32_e32 v22, 29, v25
	v_bfe_u32 v20, v20, 2, 5
	v_lshlrev_b64 v[22:23], v22, v[52:53]
	v_sub_u32_e32 v23, 30, v25
	v_and_b32_e32 v22, 3, v22
	v_cmp_eq_u32_e32 vcc, 0, v20
	v_cndmask_b32_e32 v20, v20, v23, vcc
	v_cndmask_b32_e32 v0, v0, v22, vcc
	v_bfrev_b32_e32 v22, 28
	v_bfe_i32 v24, v52, 0, 16
	v_lshl_add_u32 v20, v20, 23, v22
	v_and_or_b32 v20, v24, s96, v20
	v_lshl_or_b32 v20, v0, 21, v20
                                        ; implicit-def: $vgpr0
                                        ; implicit-def: $vgpr52
.LBB6_6776:                             ;   in Loop: Header=BB6_6121 Depth=3
	s_andn2_saveexec_b64 s[72:73], s[72:73]
; %bb.6777:                             ;   in Loop: Header=BB6_6121 Depth=3
	v_cmp_lt_i16_e32 vcc, -1, v52
	v_mov_b32_e32 v20, 0xc7600000
	v_mov_b32_e32 v22, 0x47600000
	v_cndmask_b32_e32 v20, v20, v22, vcc
	v_cmp_eq_u32_e32 vcc, 0, v0
	v_mov_b32_e32 v0, 0x7f800001
	v_cndmask_b32_e32 v20, v0, v20, vcc
; %bb.6778:                             ;   in Loop: Header=BB6_6121 Depth=3
	s_or_b64 exec, exec, s[72:73]
.LBB6_6779:                             ;   in Loop: Header=BB6_6121 Depth=3
	s_or_b64 exec, exec, s[70:71]
.LBB6_6780:                             ;   in Loop: Header=BB6_6121 Depth=3
	s_or_b64 exec, exec, s[30:31]
	v_max_f32_e32 v0, v20, v20
	v_max_f32_e32 v1, v1, v1
	v_min_f32_e32 v1, v1, v0
.LBB6_6781:                             ;   in Loop: Header=BB6_6121 Depth=3
	v_and_b32_sdwa v22, v1, s97 dst_sel:DWORD dst_unused:UNUSED_PAD src0_sel:BYTE_3 src1_sel:DWORD
	v_and_b32_e32 v24, 0x7f800000, v1
	v_mov_b32_e32 v25, v51
	v_and_b32_e32 v50, 0x7fffff, v1
	v_or_b32_e32 v20, 0x7b, v22
	v_cmp_ne_u64_e32 vcc, s[52:53], v[24:25]
	s_and_saveexec_b64 s[30:31], vcc
	s_xor_b64 s[70:71], exec, s[30:31]
	s_cbranch_execz .LBB6_6795
; %bb.6782:                             ;   in Loop: Header=BB6_6121 Depth=3
	v_and_b32_e32 v24, 0x7fffffff, v1
	v_mov_b32_e32 v25, v51
	v_cmp_gt_u64_e32 vcc, s[54:55], v[24:25]
	s_and_saveexec_b64 s[30:31], vcc
	s_xor_b64 s[72:73], exec, s[30:31]
	s_cbranch_execz .LBB6_6794
; %bb.6783:                             ;   in Loop: Header=BB6_6121 Depth=3
	v_cmp_ne_u32_e32 vcc, 0, v1
	v_mov_b32_e32 v20, 0
	s_and_saveexec_b64 s[74:75], vcc
	s_cbranch_execz .LBB6_6793
; %bb.6784:                             ;   in Loop: Header=BB6_6121 Depth=3
	v_bfe_u32 v0, v1, 23, 8
	v_cmp_eq_u32_e32 vcc, 0, v0
	v_add_u32_e32 v1, 0xffffff81, v0
	v_cmp_gt_u32_e64 s[30:31], s38, v0
	v_sub_u32_e32 v0, 0x71, v0
	v_mov_b32_e32 v23, 0xffffff82
	v_cndmask_b32_e64 v0, 0, v0, s[30:31]
	v_cndmask_b32_e32 v23, v1, v23, vcc
	v_mov_b32_e32 v1, 0x70
	v_cndmask_b32_e32 v26, v0, v1, vcc
	v_add_u32_e32 v0, 21, v26
	v_or_b32_e32 v20, 0x800000, v50
	v_lshlrev_b64 v[0:1], v0, -1
	v_cndmask_b32_e32 v50, v20, v50, vcc
	v_not_b32_e32 v1, v1
	v_not_b32_e32 v0, v0
	v_add_u32_e32 v20, 20, v26
	v_and_b32_e32 v1, 0, v1
	v_and_b32_e32 v0, v50, v0
	v_lshlrev_b64 v[24:25], v20, 1
	v_cmp_eq_u64_e32 vcc, v[0:1], v[24:25]
	v_lshrrev_b64 v[0:1], v26, v[50:51]
	v_lshrrev_b32_e32 v20, 23, v0
	v_add3_u32 v25, v26, v23, v20
	v_bfe_u32 v23, v0, 21, 1
	v_add_u32_e32 v23, -1, v23
	v_cndmask_b32_e32 v23, 0, v23, vcc
	v_add_u32_e32 v23, v23, v0
	v_and_b32_e32 v23, 0x1fffff, v23
	v_add_co_u32_e32 v0, vcc, v23, v0
	v_add_u32_e32 v20, 14, v25
	v_addc_co_u32_e32 v1, vcc, 0, v1, vcc
	v_cmp_ne_u32_e32 vcc, 0, v20
                                        ; implicit-def: $vgpr23
	s_and_saveexec_b64 s[30:31], vcc
	s_xor_b64 s[30:31], exec, s[30:31]
; %bb.6785:                             ;   in Loop: Header=BB6_6121 Depth=3
	v_add_u32_e32 v23, 15, v25
	v_cmp_lt_u64_e32 vcc, s[56:57], v[0:1]
	v_cndmask_b32_e32 v23, v20, v23, vcc
	v_cndmask_b32_e64 v20, 0, 1, vcc
	v_lshrrev_b64 v[0:1], v20, v[0:1]
; %bb.6786:                             ;   in Loop: Header=BB6_6121 Depth=3
	s_andn2_saveexec_b64 vcc, s[30:31]
; %bb.6787:                             ;   in Loop: Header=BB6_6121 Depth=3
	v_bfe_u32 v23, v0, 23, 1
; %bb.6788:                             ;   in Loop: Header=BB6_6121 Depth=3
	s_or_b64 exec, exec, vcc
	v_lshrrev_b64 v[0:1], 21, v[0:1]
	v_cmp_gt_i32_e32 vcc, 32, v23
	v_cndmask_b32_e32 v1, 0, v1, vcc
	v_cndmask_b32_e32 v0, 3, v0, vcc
	v_cmp_ne_u32_e32 vcc, 0, v23
	v_cmp_ne_u64_e64 s[30:31], 0, v[0:1]
	s_or_b64 vcc, vcc, s[30:31]
                                        ; implicit-def: $vgpr20
	s_and_saveexec_b64 s[30:31], vcc
	s_xor_b64 vcc, exec, s[30:31]
; %bb.6789:                             ;   in Loop: Header=BB6_6121 Depth=3
	v_min_i32_e32 v1, 31, v23
	v_lshl_or_b32 v1, v1, 2, v22
	v_and_or_b32 v20, v0, 3, v1
                                        ; implicit-def: $vgpr22
; %bb.6790:                             ;   in Loop: Header=BB6_6121 Depth=3
	s_andn2_saveexec_b64 vcc, vcc
; %bb.6791:                             ;   in Loop: Header=BB6_6121 Depth=3
	v_mov_b32_e32 v20, v22
; %bb.6792:                             ;   in Loop: Header=BB6_6121 Depth=3
	s_or_b64 exec, exec, vcc
.LBB6_6793:                             ;   in Loop: Header=BB6_6121 Depth=3
	s_or_b64 exec, exec, s[74:75]
.LBB6_6794:                             ;   in Loop: Header=BB6_6121 Depth=3
	s_andn2_saveexec_b64 vcc, s[72:73]
	s_or_b64 exec, exec, vcc
                                        ; implicit-def: $vgpr1
.LBB6_6795:                             ;   in Loop: Header=BB6_6121 Depth=3
	s_andn2_saveexec_b64 s[30:31], s[70:71]
; %bb.6796:                             ;   in Loop: Header=BB6_6121 Depth=3
	v_or_b32_sdwa v0, v1, s39 dst_sel:DWORD dst_unused:UNUSED_PAD src0_sel:BYTE_3 src1_sel:DWORD
	v_cmp_eq_u64_e32 vcc, 0, v[50:51]
	v_cndmask_b32_e32 v20, v0, v20, vcc
; %bb.6797:                             ;   in Loop: Header=BB6_6121 Depth=3
	s_or_b64 exec, exec, s[30:31]
	v_and_b32_e32 v0, 0xff, v48
	s_and_b64 vcc, exec, s[28:29]
	v_cmp_ne_u16_e64 s[30:31], 0, v48
	s_cbranch_vccnz .LBB6_6815
; %bb.6798:                             ;   in Loop: Header=BB6_6121 Depth=3
	v_mov_b32_e32 v22, 0
	v_mov_b32_e32 v1, 0
	s_and_saveexec_b64 s[70:71], s[30:31]
	s_cbranch_execz .LBB6_6806
; %bb.6799:                             ;   in Loop: Header=BB6_6121 Depth=3
	v_cmp_ne_u16_e32 vcc, s94, v48
	v_bfrev_b32_e32 v1, 1
	s_and_saveexec_b64 s[72:73], vcc
	s_cbranch_execz .LBB6_6805
; %bb.6800:                             ;   in Loop: Header=BB6_6121 Depth=3
	v_and_b32_e32 v1, 0x7c, v0
	v_and_b32_e32 v23, 3, v0
	v_cmp_ne_u32_e32 vcc, s95, v1
                                        ; implicit-def: $vgpr1
	s_and_saveexec_b64 s[74:75], vcc
	s_xor_b64 s[74:75], exec, s[74:75]
	s_cbranch_execz .LBB6_6802
; %bb.6801:                             ;   in Loop: Header=BB6_6121 Depth=3
	v_ffbh_u32_e32 v24, v23
	v_min_u32_e32 v27, 32, v24
	v_mov_b32_e32 v49, v51
	v_subrev_u32_e32 v24, 29, v27
	v_bfe_u32 v1, v0, 2, 5
	v_lshlrev_b64 v[24:25], v24, v[48:49]
	v_sub_u32_e32 v25, 30, v27
	v_and_b32_e32 v24, 3, v24
	v_cmp_eq_u32_e32 vcc, 0, v1
	v_cndmask_b32_e32 v1, v1, v25, vcc
	v_cndmask_b32_e32 v23, v23, v24, vcc
	v_bfrev_b32_e32 v24, 28
	v_bfe_i32 v26, v48, 0, 16
	v_lshl_add_u32 v1, v1, 23, v24
	v_and_or_b32 v1, v26, s96, v1
	v_lshl_or_b32 v1, v23, 21, v1
                                        ; implicit-def: $vgpr23
.LBB6_6802:                             ;   in Loop: Header=BB6_6121 Depth=3
	s_andn2_saveexec_b64 s[74:75], s[74:75]
; %bb.6803:                             ;   in Loop: Header=BB6_6121 Depth=3
	v_cmp_lt_i16_e32 vcc, -1, v48
	v_mov_b32_e32 v1, 0xc7600000
	v_mov_b32_e32 v24, 0x47600000
	v_cndmask_b32_e32 v1, v1, v24, vcc
	v_cmp_eq_u32_e32 vcc, 0, v23
	v_mov_b32_e32 v23, 0x7f800001
	v_cndmask_b32_e32 v1, v23, v1, vcc
; %bb.6804:                             ;   in Loop: Header=BB6_6121 Depth=3
	s_or_b64 exec, exec, s[74:75]
.LBB6_6805:                             ;   in Loop: Header=BB6_6121 Depth=3
	s_or_b64 exec, exec, s[72:73]
.LBB6_6806:                             ;   in Loop: Header=BB6_6121 Depth=3
	s_or_b64 exec, exec, s[70:71]
	v_cmp_ne_u16_e32 vcc, 0, v28
	s_and_saveexec_b64 s[70:71], vcc
	s_cbranch_execz .LBB6_6814
; %bb.6807:                             ;   in Loop: Header=BB6_6121 Depth=3
	v_cmp_ne_u16_e32 vcc, s94, v28
	v_bfrev_b32_e32 v22, 1
	s_and_saveexec_b64 s[72:73], vcc
	s_cbranch_execz .LBB6_6813
; %bb.6808:                             ;   in Loop: Header=BB6_6121 Depth=3
	v_and_b32_e32 v22, 0x7c, v28
	v_and_b32_e32 v23, 3, v28
	v_cmp_ne_u32_e32 vcc, s95, v22
                                        ; implicit-def: $vgpr22
	s_and_saveexec_b64 s[74:75], vcc
	s_xor_b64 s[74:75], exec, s[74:75]
	s_cbranch_execz .LBB6_6810
; %bb.6809:                             ;   in Loop: Header=BB6_6121 Depth=3
	v_ffbh_u32_e32 v24, v23
	v_min_u32_e32 v27, 32, v24
	v_and_b32_e32 v22, 0xff, v28
	v_mov_b32_e32 v29, v51
	v_subrev_u32_e32 v24, 29, v27
	v_bfe_u32 v22, v22, 2, 5
	v_lshlrev_b64 v[24:25], v24, v[28:29]
	v_sub_u32_e32 v25, 30, v27
	v_and_b32_e32 v24, 3, v24
	v_cmp_eq_u32_e32 vcc, 0, v22
	v_cndmask_b32_e32 v22, v22, v25, vcc
	v_cndmask_b32_e32 v23, v23, v24, vcc
	v_bfrev_b32_e32 v24, 28
	v_bfe_i32 v26, v28, 0, 16
	v_lshl_add_u32 v22, v22, 23, v24
	v_and_or_b32 v22, v26, s96, v22
	v_lshl_or_b32 v22, v23, 21, v22
                                        ; implicit-def: $vgpr23
.LBB6_6810:                             ;   in Loop: Header=BB6_6121 Depth=3
	s_andn2_saveexec_b64 s[74:75], s[74:75]
; %bb.6811:                             ;   in Loop: Header=BB6_6121 Depth=3
	v_cmp_lt_i16_e32 vcc, -1, v28
	v_mov_b32_e32 v22, 0xc7600000
	v_mov_b32_e32 v24, 0x47600000
	v_cndmask_b32_e32 v22, v22, v24, vcc
	v_cmp_eq_u32_e32 vcc, 0, v23
	v_mov_b32_e32 v23, 0x7f800001
	v_cndmask_b32_e32 v22, v23, v22, vcc
; %bb.6812:                             ;   in Loop: Header=BB6_6121 Depth=3
	s_or_b64 exec, exec, s[74:75]
.LBB6_6813:                             ;   in Loop: Header=BB6_6121 Depth=3
	s_or_b64 exec, exec, s[72:73]
.LBB6_6814:                             ;   in Loop: Header=BB6_6121 Depth=3
	s_or_b64 exec, exec, s[70:71]
	v_max_f32_e32 v22, v22, v22
	v_max_f32_e32 v1, v1, v1
	;; [unrolled: 1-line block ×3, first 2 shown]
	s_branch .LBB6_6833
.LBB6_6815:                             ;   in Loop: Header=BB6_6121 Depth=3
                                        ; implicit-def: $vgpr1
	s_cbranch_execz .LBB6_6833
; %bb.6816:                             ;   in Loop: Header=BB6_6121 Depth=3
	v_mov_b32_e32 v22, 0
	v_mov_b32_e32 v1, 0
	s_and_saveexec_b64 s[70:71], s[30:31]
	s_cbranch_execz .LBB6_6824
; %bb.6817:                             ;   in Loop: Header=BB6_6121 Depth=3
	v_cmp_ne_u16_e32 vcc, s94, v48
	v_bfrev_b32_e32 v1, 1
	s_and_saveexec_b64 s[30:31], vcc
	s_cbranch_execz .LBB6_6823
; %bb.6818:                             ;   in Loop: Header=BB6_6121 Depth=3
	v_and_b32_e32 v1, 0x7c, v0
	v_and_b32_e32 v23, 3, v0
	v_cmp_ne_u32_e32 vcc, s95, v1
                                        ; implicit-def: $vgpr1
	s_and_saveexec_b64 s[72:73], vcc
	s_xor_b64 s[72:73], exec, s[72:73]
	s_cbranch_execz .LBB6_6820
; %bb.6819:                             ;   in Loop: Header=BB6_6121 Depth=3
	v_bfe_u32 v24, v0, 2, 5
	v_ffbh_u32_e32 v0, v23
	v_min_u32_e32 v26, 32, v0
	v_mov_b32_e32 v49, v51
	v_subrev_u32_e32 v0, 29, v26
	v_lshlrev_b64 v[0:1], v0, v[48:49]
	v_sub_u32_e32 v1, 30, v26
	v_and_b32_e32 v0, 3, v0
	v_cmp_eq_u32_e32 vcc, 0, v24
	v_cndmask_b32_e32 v1, v24, v1, vcc
	v_cndmask_b32_e32 v0, v23, v0, vcc
	v_bfrev_b32_e32 v23, 28
	v_bfe_i32 v25, v48, 0, 16
	v_lshl_add_u32 v1, v1, 23, v23
	v_and_or_b32 v1, v25, s96, v1
	v_lshl_or_b32 v1, v0, 21, v1
                                        ; implicit-def: $vgpr23
                                        ; implicit-def: $vgpr48
.LBB6_6820:                             ;   in Loop: Header=BB6_6121 Depth=3
	s_andn2_saveexec_b64 s[72:73], s[72:73]
; %bb.6821:                             ;   in Loop: Header=BB6_6121 Depth=3
	v_cmp_lt_i16_e32 vcc, -1, v48
	v_mov_b32_e32 v0, 0xc7600000
	v_mov_b32_e32 v1, 0x47600000
	v_cndmask_b32_e32 v0, v0, v1, vcc
	v_cmp_eq_u32_e32 vcc, 0, v23
	v_mov_b32_e32 v1, 0x7f800001
	v_cndmask_b32_e32 v1, v1, v0, vcc
; %bb.6822:                             ;   in Loop: Header=BB6_6121 Depth=3
	s_or_b64 exec, exec, s[72:73]
.LBB6_6823:                             ;   in Loop: Header=BB6_6121 Depth=3
	s_or_b64 exec, exec, s[30:31]
.LBB6_6824:                             ;   in Loop: Header=BB6_6121 Depth=3
	s_or_b64 exec, exec, s[70:71]
	v_cmp_ne_u16_e32 vcc, 0, v28
	s_and_saveexec_b64 s[30:31], vcc
	s_cbranch_execz .LBB6_6832
; %bb.6825:                             ;   in Loop: Header=BB6_6121 Depth=3
	v_cmp_ne_u16_e32 vcc, s94, v28
	v_bfrev_b32_e32 v22, 1
	s_and_saveexec_b64 s[70:71], vcc
	s_cbranch_execz .LBB6_6831
; %bb.6826:                             ;   in Loop: Header=BB6_6121 Depth=3
	v_and_b32_e32 v22, 0x7c, v28
	v_and_b32_e32 v0, 3, v28
	v_cmp_ne_u32_e32 vcc, s95, v22
                                        ; implicit-def: $vgpr22
	s_and_saveexec_b64 s[72:73], vcc
	s_xor_b64 s[72:73], exec, s[72:73]
	s_cbranch_execz .LBB6_6828
; %bb.6827:                             ;   in Loop: Header=BB6_6121 Depth=3
	v_and_b32_e32 v22, 0xff, v28
	v_bfe_u32 v24, v22, 2, 5
	v_ffbh_u32_e32 v22, v0
	v_min_u32_e32 v26, 32, v22
	v_mov_b32_e32 v29, v51
	v_subrev_u32_e32 v22, 29, v26
	v_lshlrev_b64 v[22:23], v22, v[28:29]
	v_sub_u32_e32 v23, 30, v26
	v_and_b32_e32 v22, 3, v22
	v_cmp_eq_u32_e32 vcc, 0, v24
	v_cndmask_b32_e32 v23, v24, v23, vcc
	v_cndmask_b32_e32 v0, v0, v22, vcc
	v_bfrev_b32_e32 v22, 28
	v_bfe_i32 v25, v28, 0, 16
	v_lshl_add_u32 v22, v23, 23, v22
	v_and_or_b32 v22, v25, s96, v22
	v_lshl_or_b32 v22, v0, 21, v22
                                        ; implicit-def: $vgpr0
                                        ; implicit-def: $vgpr28
.LBB6_6828:                             ;   in Loop: Header=BB6_6121 Depth=3
	s_andn2_saveexec_b64 s[72:73], s[72:73]
; %bb.6829:                             ;   in Loop: Header=BB6_6121 Depth=3
	v_cmp_lt_i16_e32 vcc, -1, v28
	v_mov_b32_e32 v22, 0xc7600000
	v_mov_b32_e32 v23, 0x47600000
	v_cndmask_b32_e32 v22, v22, v23, vcc
	v_cmp_eq_u32_e32 vcc, 0, v0
	v_mov_b32_e32 v0, 0x7f800001
	v_cndmask_b32_e32 v22, v0, v22, vcc
; %bb.6830:                             ;   in Loop: Header=BB6_6121 Depth=3
	s_or_b64 exec, exec, s[72:73]
.LBB6_6831:                             ;   in Loop: Header=BB6_6121 Depth=3
	s_or_b64 exec, exec, s[70:71]
.LBB6_6832:                             ;   in Loop: Header=BB6_6121 Depth=3
	s_or_b64 exec, exec, s[30:31]
	v_max_f32_e32 v0, v22, v22
	v_max_f32_e32 v1, v1, v1
	v_min_f32_e32 v1, v1, v0
.LBB6_6833:                             ;   in Loop: Header=BB6_6121 Depth=3
	v_and_b32_sdwa v23, v1, s97 dst_sel:DWORD dst_unused:UNUSED_PAD src0_sel:BYTE_3 src1_sel:DWORD
	v_and_b32_e32 v24, 0x7f800000, v1
	v_mov_b32_e32 v25, v51
	v_and_b32_e32 v50, 0x7fffff, v1
	v_or_b32_e32 v22, 0x7b, v23
	v_cmp_ne_u64_e32 vcc, s[52:53], v[24:25]
	s_and_saveexec_b64 s[30:31], vcc
	s_xor_b64 s[70:71], exec, s[30:31]
	s_cbranch_execz .LBB6_6847
; %bb.6834:                             ;   in Loop: Header=BB6_6121 Depth=3
	v_and_b32_e32 v24, 0x7fffffff, v1
	v_mov_b32_e32 v25, v51
	v_cmp_gt_u64_e32 vcc, s[54:55], v[24:25]
	s_and_saveexec_b64 s[30:31], vcc
	s_xor_b64 s[72:73], exec, s[30:31]
	s_cbranch_execz .LBB6_6846
; %bb.6835:                             ;   in Loop: Header=BB6_6121 Depth=3
	v_cmp_ne_u32_e32 vcc, 0, v1
	v_mov_b32_e32 v22, 0
	s_and_saveexec_b64 s[74:75], vcc
	s_cbranch_execz .LBB6_6845
; %bb.6836:                             ;   in Loop: Header=BB6_6121 Depth=3
	v_bfe_u32 v0, v1, 23, 8
	v_cmp_eq_u32_e32 vcc, 0, v0
	v_add_u32_e32 v1, 0xffffff81, v0
	v_cmp_gt_u32_e64 s[30:31], s38, v0
	v_sub_u32_e32 v0, 0x71, v0
	v_mov_b32_e32 v24, 0xffffff82
	v_cndmask_b32_e64 v0, 0, v0, s[30:31]
	v_cndmask_b32_e32 v26, v1, v24, vcc
	v_mov_b32_e32 v1, 0x70
	v_cndmask_b32_e32 v27, v0, v1, vcc
	v_add_u32_e32 v0, 21, v27
	v_or_b32_e32 v22, 0x800000, v50
	v_lshlrev_b64 v[0:1], v0, -1
	v_cndmask_b32_e32 v50, v22, v50, vcc
	v_not_b32_e32 v1, v1
	v_not_b32_e32 v0, v0
	v_add_u32_e32 v22, 20, v27
	v_and_b32_e32 v1, 0, v1
	v_and_b32_e32 v0, v50, v0
	v_lshlrev_b64 v[24:25], v22, 1
	v_cmp_eq_u64_e32 vcc, v[0:1], v[24:25]
	v_lshrrev_b64 v[0:1], v27, v[50:51]
	v_bfe_u32 v24, v0, 21, 1
	v_add_u32_e32 v24, -1, v24
	v_cndmask_b32_e32 v24, 0, v24, vcc
	v_add_u32_e32 v24, v24, v0
	v_lshrrev_b32_e32 v22, 23, v0
	v_and_b32_e32 v24, 0x1fffff, v24
	v_add3_u32 v25, v27, v26, v22
	v_add_co_u32_e32 v0, vcc, v24, v0
	v_add_u32_e32 v22, 14, v25
	v_addc_co_u32_e32 v1, vcc, 0, v1, vcc
	v_cmp_ne_u32_e32 vcc, 0, v22
                                        ; implicit-def: $vgpr24
	s_and_saveexec_b64 s[30:31], vcc
	s_xor_b64 s[30:31], exec, s[30:31]
; %bb.6837:                             ;   in Loop: Header=BB6_6121 Depth=3
	v_add_u32_e32 v24, 15, v25
	v_cmp_lt_u64_e32 vcc, s[56:57], v[0:1]
	v_cndmask_b32_e32 v24, v22, v24, vcc
	v_cndmask_b32_e64 v22, 0, 1, vcc
	v_lshrrev_b64 v[0:1], v22, v[0:1]
; %bb.6838:                             ;   in Loop: Header=BB6_6121 Depth=3
	s_andn2_saveexec_b64 vcc, s[30:31]
; %bb.6839:                             ;   in Loop: Header=BB6_6121 Depth=3
	v_bfe_u32 v24, v0, 23, 1
; %bb.6840:                             ;   in Loop: Header=BB6_6121 Depth=3
	s_or_b64 exec, exec, vcc
	v_lshrrev_b64 v[0:1], 21, v[0:1]
	v_cmp_gt_i32_e32 vcc, 32, v24
	v_cndmask_b32_e32 v1, 0, v1, vcc
	v_cndmask_b32_e32 v0, 3, v0, vcc
	v_cmp_ne_u32_e32 vcc, 0, v24
	v_cmp_ne_u64_e64 s[30:31], 0, v[0:1]
	s_or_b64 vcc, vcc, s[30:31]
                                        ; implicit-def: $vgpr22
	s_and_saveexec_b64 s[30:31], vcc
	s_xor_b64 vcc, exec, s[30:31]
; %bb.6841:                             ;   in Loop: Header=BB6_6121 Depth=3
	v_min_i32_e32 v1, 31, v24
	v_lshl_or_b32 v1, v1, 2, v23
	v_and_or_b32 v22, v0, 3, v1
                                        ; implicit-def: $vgpr23
; %bb.6842:                             ;   in Loop: Header=BB6_6121 Depth=3
	s_andn2_saveexec_b64 vcc, vcc
; %bb.6843:                             ;   in Loop: Header=BB6_6121 Depth=3
	v_mov_b32_e32 v22, v23
; %bb.6844:                             ;   in Loop: Header=BB6_6121 Depth=3
	s_or_b64 exec, exec, vcc
.LBB6_6845:                             ;   in Loop: Header=BB6_6121 Depth=3
	s_or_b64 exec, exec, s[74:75]
.LBB6_6846:                             ;   in Loop: Header=BB6_6121 Depth=3
	s_andn2_saveexec_b64 vcc, s[72:73]
	s_or_b64 exec, exec, vcc
                                        ; implicit-def: $vgpr1
.LBB6_6847:                             ;   in Loop: Header=BB6_6121 Depth=3
	s_andn2_saveexec_b64 s[30:31], s[70:71]
; %bb.6848:                             ;   in Loop: Header=BB6_6121 Depth=3
	v_or_b32_sdwa v0, v1, s39 dst_sel:DWORD dst_unused:UNUSED_PAD src0_sel:BYTE_3 src1_sel:DWORD
	v_cmp_eq_u64_e32 vcc, 0, v[50:51]
	v_cndmask_b32_e32 v22, v0, v22, vcc
; %bb.6849:                             ;   in Loop: Header=BB6_6121 Depth=3
	s_or_b64 exec, exec, s[30:31]
	v_and_b32_e32 v0, 0xff, v36
	s_and_b64 vcc, exec, s[28:29]
	v_cmp_ne_u16_e64 s[30:31], 0, v36
	s_cbranch_vccnz .LBB6_6867
; %bb.6850:                             ;   in Loop: Header=BB6_6121 Depth=3
	v_mov_b32_e32 v23, 0
	v_mov_b32_e32 v1, 0
	s_and_saveexec_b64 s[70:71], s[30:31]
	s_cbranch_execz .LBB6_6858
; %bb.6851:                             ;   in Loop: Header=BB6_6121 Depth=3
	v_cmp_ne_u16_e32 vcc, s94, v36
	v_bfrev_b32_e32 v1, 1
	s_and_saveexec_b64 s[72:73], vcc
	s_cbranch_execz .LBB6_6857
; %bb.6852:                             ;   in Loop: Header=BB6_6121 Depth=3
	v_and_b32_e32 v1, 0x7c, v0
	v_and_b32_e32 v24, 3, v0
	v_cmp_ne_u32_e32 vcc, s95, v1
                                        ; implicit-def: $vgpr1
	s_and_saveexec_b64 s[74:75], vcc
	s_xor_b64 s[74:75], exec, s[74:75]
	s_cbranch_execz .LBB6_6854
; %bb.6853:                             ;   in Loop: Header=BB6_6121 Depth=3
	v_ffbh_u32_e32 v26, v24
	v_min_u32_e32 v28, 32, v26
	v_mov_b32_e32 v37, v51
	v_subrev_u32_e32 v26, 29, v28
	v_bfe_u32 v1, v0, 2, 5
	v_lshlrev_b64 v[26:27], v26, v[36:37]
	v_sub_u32_e32 v27, 30, v28
	v_and_b32_e32 v26, 3, v26
	v_cmp_eq_u32_e32 vcc, 0, v1
	v_cndmask_b32_e32 v1, v1, v27, vcc
	v_cndmask_b32_e32 v24, v24, v26, vcc
	v_bfrev_b32_e32 v26, 28
	v_bfe_i32 v25, v36, 0, 16
	v_lshl_add_u32 v1, v1, 23, v26
	v_and_or_b32 v1, v25, s96, v1
	v_lshl_or_b32 v1, v24, 21, v1
                                        ; implicit-def: $vgpr24
.LBB6_6854:                             ;   in Loop: Header=BB6_6121 Depth=3
	s_andn2_saveexec_b64 s[74:75], s[74:75]
; %bb.6855:                             ;   in Loop: Header=BB6_6121 Depth=3
	v_cmp_lt_i16_e32 vcc, -1, v36
	v_mov_b32_e32 v1, 0xc7600000
	v_mov_b32_e32 v25, 0x47600000
	v_cndmask_b32_e32 v1, v1, v25, vcc
	v_cmp_eq_u32_e32 vcc, 0, v24
	v_mov_b32_e32 v24, 0x7f800001
	v_cndmask_b32_e32 v1, v24, v1, vcc
; %bb.6856:                             ;   in Loop: Header=BB6_6121 Depth=3
	s_or_b64 exec, exec, s[74:75]
.LBB6_6857:                             ;   in Loop: Header=BB6_6121 Depth=3
	s_or_b64 exec, exec, s[72:73]
.LBB6_6858:                             ;   in Loop: Header=BB6_6121 Depth=3
	s_or_b64 exec, exec, s[70:71]
	v_cmp_ne_u16_e32 vcc, 0, v34
	s_and_saveexec_b64 s[70:71], vcc
	s_cbranch_execz .LBB6_6866
; %bb.6859:                             ;   in Loop: Header=BB6_6121 Depth=3
	v_cmp_ne_u16_e32 vcc, s94, v34
	v_bfrev_b32_e32 v23, 1
	s_and_saveexec_b64 s[72:73], vcc
	s_cbranch_execz .LBB6_6865
; %bb.6860:                             ;   in Loop: Header=BB6_6121 Depth=3
	v_and_b32_e32 v23, 0x7c, v34
	v_and_b32_e32 v24, 3, v34
	v_cmp_ne_u32_e32 vcc, s95, v23
                                        ; implicit-def: $vgpr23
	s_and_saveexec_b64 s[74:75], vcc
	s_xor_b64 s[74:75], exec, s[74:75]
	s_cbranch_execz .LBB6_6862
; %bb.6861:                             ;   in Loop: Header=BB6_6121 Depth=3
	v_ffbh_u32_e32 v26, v24
	v_min_u32_e32 v28, 32, v26
	v_and_b32_e32 v23, 0xff, v34
	v_mov_b32_e32 v35, v51
	v_subrev_u32_e32 v26, 29, v28
	v_bfe_u32 v23, v23, 2, 5
	v_lshlrev_b64 v[26:27], v26, v[34:35]
	v_sub_u32_e32 v27, 30, v28
	v_and_b32_e32 v26, 3, v26
	v_cmp_eq_u32_e32 vcc, 0, v23
	v_cndmask_b32_e32 v23, v23, v27, vcc
	v_cndmask_b32_e32 v24, v24, v26, vcc
	v_bfrev_b32_e32 v26, 28
	v_bfe_i32 v25, v34, 0, 16
	v_lshl_add_u32 v23, v23, 23, v26
	v_and_or_b32 v23, v25, s96, v23
	v_lshl_or_b32 v23, v24, 21, v23
                                        ; implicit-def: $vgpr24
.LBB6_6862:                             ;   in Loop: Header=BB6_6121 Depth=3
	s_andn2_saveexec_b64 s[74:75], s[74:75]
; %bb.6863:                             ;   in Loop: Header=BB6_6121 Depth=3
	v_cmp_lt_i16_e32 vcc, -1, v34
	v_mov_b32_e32 v23, 0xc7600000
	v_mov_b32_e32 v25, 0x47600000
	v_cndmask_b32_e32 v23, v23, v25, vcc
	v_cmp_eq_u32_e32 vcc, 0, v24
	v_mov_b32_e32 v24, 0x7f800001
	v_cndmask_b32_e32 v23, v24, v23, vcc
; %bb.6864:                             ;   in Loop: Header=BB6_6121 Depth=3
	s_or_b64 exec, exec, s[74:75]
.LBB6_6865:                             ;   in Loop: Header=BB6_6121 Depth=3
	s_or_b64 exec, exec, s[72:73]
.LBB6_6866:                             ;   in Loop: Header=BB6_6121 Depth=3
	s_or_b64 exec, exec, s[70:71]
	v_max_f32_e32 v23, v23, v23
	v_max_f32_e32 v1, v1, v1
	;; [unrolled: 1-line block ×3, first 2 shown]
	s_branch .LBB6_6885
.LBB6_6867:                             ;   in Loop: Header=BB6_6121 Depth=3
                                        ; implicit-def: $vgpr1
	s_cbranch_execz .LBB6_6885
; %bb.6868:                             ;   in Loop: Header=BB6_6121 Depth=3
	v_mov_b32_e32 v23, 0
	v_mov_b32_e32 v1, 0
	s_and_saveexec_b64 s[70:71], s[30:31]
	s_cbranch_execz .LBB6_6876
; %bb.6869:                             ;   in Loop: Header=BB6_6121 Depth=3
	v_cmp_ne_u16_e32 vcc, s94, v36
	v_bfrev_b32_e32 v1, 1
	s_and_saveexec_b64 s[30:31], vcc
	s_cbranch_execz .LBB6_6875
; %bb.6870:                             ;   in Loop: Header=BB6_6121 Depth=3
	v_and_b32_e32 v1, 0x7c, v0
	v_and_b32_e32 v24, 3, v0
	v_cmp_ne_u32_e32 vcc, s95, v1
                                        ; implicit-def: $vgpr1
	s_and_saveexec_b64 s[72:73], vcc
	s_xor_b64 s[72:73], exec, s[72:73]
	s_cbranch_execz .LBB6_6872
; %bb.6871:                             ;   in Loop: Header=BB6_6121 Depth=3
	v_bfe_u32 v25, v0, 2, 5
	v_ffbh_u32_e32 v0, v24
	v_min_u32_e32 v27, 32, v0
	v_mov_b32_e32 v37, v51
	v_subrev_u32_e32 v0, 29, v27
	v_lshlrev_b64 v[0:1], v0, v[36:37]
	v_sub_u32_e32 v1, 30, v27
	v_and_b32_e32 v0, 3, v0
	v_cmp_eq_u32_e32 vcc, 0, v25
	v_cndmask_b32_e32 v1, v25, v1, vcc
	v_cndmask_b32_e32 v0, v24, v0, vcc
	v_bfrev_b32_e32 v24, 28
	v_bfe_i32 v26, v36, 0, 16
	v_lshl_add_u32 v1, v1, 23, v24
	v_and_or_b32 v1, v26, s96, v1
	v_lshl_or_b32 v1, v0, 21, v1
                                        ; implicit-def: $vgpr24
                                        ; implicit-def: $vgpr36
.LBB6_6872:                             ;   in Loop: Header=BB6_6121 Depth=3
	s_andn2_saveexec_b64 s[72:73], s[72:73]
; %bb.6873:                             ;   in Loop: Header=BB6_6121 Depth=3
	v_cmp_lt_i16_e32 vcc, -1, v36
	v_mov_b32_e32 v0, 0xc7600000
	v_mov_b32_e32 v1, 0x47600000
	v_cndmask_b32_e32 v0, v0, v1, vcc
	v_cmp_eq_u32_e32 vcc, 0, v24
	v_mov_b32_e32 v1, 0x7f800001
	v_cndmask_b32_e32 v1, v1, v0, vcc
; %bb.6874:                             ;   in Loop: Header=BB6_6121 Depth=3
	s_or_b64 exec, exec, s[72:73]
.LBB6_6875:                             ;   in Loop: Header=BB6_6121 Depth=3
	s_or_b64 exec, exec, s[30:31]
.LBB6_6876:                             ;   in Loop: Header=BB6_6121 Depth=3
	s_or_b64 exec, exec, s[70:71]
	v_cmp_ne_u16_e32 vcc, 0, v34
	s_and_saveexec_b64 s[30:31], vcc
	s_cbranch_execz .LBB6_6884
; %bb.6877:                             ;   in Loop: Header=BB6_6121 Depth=3
	v_cmp_ne_u16_e32 vcc, s94, v34
	v_bfrev_b32_e32 v23, 1
	s_and_saveexec_b64 s[70:71], vcc
	s_cbranch_execz .LBB6_6883
; %bb.6878:                             ;   in Loop: Header=BB6_6121 Depth=3
	v_and_b32_e32 v23, 0x7c, v34
	v_and_b32_e32 v0, 3, v34
	v_cmp_ne_u32_e32 vcc, s95, v23
                                        ; implicit-def: $vgpr23
	s_and_saveexec_b64 s[72:73], vcc
	s_xor_b64 s[72:73], exec, s[72:73]
	s_cbranch_execz .LBB6_6880
; %bb.6879:                             ;   in Loop: Header=BB6_6121 Depth=3
	v_ffbh_u32_e32 v24, v0
	v_min_u32_e32 v27, 32, v24
	v_and_b32_e32 v23, 0xff, v34
	v_mov_b32_e32 v35, v51
	v_subrev_u32_e32 v24, 29, v27
	v_bfe_u32 v23, v23, 2, 5
	v_lshlrev_b64 v[24:25], v24, v[34:35]
	v_sub_u32_e32 v25, 30, v27
	v_and_b32_e32 v24, 3, v24
	v_cmp_eq_u32_e32 vcc, 0, v23
	v_cndmask_b32_e32 v23, v23, v25, vcc
	v_cndmask_b32_e32 v0, v0, v24, vcc
	v_bfrev_b32_e32 v24, 28
	v_bfe_i32 v26, v34, 0, 16
	v_lshl_add_u32 v23, v23, 23, v24
	v_and_or_b32 v23, v26, s96, v23
	v_lshl_or_b32 v23, v0, 21, v23
                                        ; implicit-def: $vgpr0
                                        ; implicit-def: $vgpr34
.LBB6_6880:                             ;   in Loop: Header=BB6_6121 Depth=3
	s_andn2_saveexec_b64 s[72:73], s[72:73]
; %bb.6881:                             ;   in Loop: Header=BB6_6121 Depth=3
	v_cmp_lt_i16_e32 vcc, -1, v34
	v_mov_b32_e32 v23, 0xc7600000
	v_mov_b32_e32 v24, 0x47600000
	v_cndmask_b32_e32 v23, v23, v24, vcc
	v_cmp_eq_u32_e32 vcc, 0, v0
	v_mov_b32_e32 v0, 0x7f800001
	v_cndmask_b32_e32 v23, v0, v23, vcc
; %bb.6882:                             ;   in Loop: Header=BB6_6121 Depth=3
	s_or_b64 exec, exec, s[72:73]
.LBB6_6883:                             ;   in Loop: Header=BB6_6121 Depth=3
	s_or_b64 exec, exec, s[70:71]
.LBB6_6884:                             ;   in Loop: Header=BB6_6121 Depth=3
	s_or_b64 exec, exec, s[30:31]
	v_max_f32_e32 v0, v23, v23
	v_max_f32_e32 v1, v1, v1
	v_min_f32_e32 v1, v1, v0
.LBB6_6885:                             ;   in Loop: Header=BB6_6121 Depth=3
	v_and_b32_sdwa v24, v1, s97 dst_sel:DWORD dst_unused:UNUSED_PAD src0_sel:BYTE_3 src1_sel:DWORD
	v_and_b32_e32 v26, 0x7f800000, v1
	v_mov_b32_e32 v27, v51
	v_and_b32_e32 v50, 0x7fffff, v1
	v_or_b32_e32 v23, 0x7b, v24
	v_cmp_ne_u64_e32 vcc, s[52:53], v[26:27]
	s_and_saveexec_b64 s[30:31], vcc
	s_xor_b64 s[70:71], exec, s[30:31]
	s_cbranch_execz .LBB6_6899
; %bb.6886:                             ;   in Loop: Header=BB6_6121 Depth=3
	v_and_b32_e32 v26, 0x7fffffff, v1
	v_mov_b32_e32 v27, v51
	v_cmp_gt_u64_e32 vcc, s[54:55], v[26:27]
	s_and_saveexec_b64 s[30:31], vcc
	s_xor_b64 s[72:73], exec, s[30:31]
	s_cbranch_execz .LBB6_6898
; %bb.6887:                             ;   in Loop: Header=BB6_6121 Depth=3
	v_cmp_ne_u32_e32 vcc, 0, v1
	v_mov_b32_e32 v23, 0
	s_and_saveexec_b64 s[74:75], vcc
	s_cbranch_execz .LBB6_6897
; %bb.6888:                             ;   in Loop: Header=BB6_6121 Depth=3
	v_bfe_u32 v0, v1, 23, 8
	v_cmp_eq_u32_e32 vcc, 0, v0
	v_add_u32_e32 v1, 0xffffff81, v0
	v_cmp_gt_u32_e64 s[30:31], s38, v0
	v_sub_u32_e32 v0, 0x71, v0
	v_mov_b32_e32 v25, 0xffffff82
	v_cndmask_b32_e64 v0, 0, v0, s[30:31]
	v_cndmask_b32_e32 v25, v1, v25, vcc
	v_mov_b32_e32 v1, 0x70
	v_cndmask_b32_e32 v28, v0, v1, vcc
	v_add_u32_e32 v0, 21, v28
	v_or_b32_e32 v23, 0x800000, v50
	v_lshlrev_b64 v[0:1], v0, -1
	v_cndmask_b32_e32 v50, v23, v50, vcc
	v_not_b32_e32 v1, v1
	v_not_b32_e32 v0, v0
	v_add_u32_e32 v23, 20, v28
	v_and_b32_e32 v1, 0, v1
	v_and_b32_e32 v0, v50, v0
	v_lshlrev_b64 v[26:27], v23, 1
	v_cmp_eq_u64_e32 vcc, v[0:1], v[26:27]
	v_lshrrev_b64 v[0:1], v28, v[50:51]
	v_lshrrev_b32_e32 v23, 23, v0
	v_add3_u32 v26, v28, v25, v23
	v_bfe_u32 v25, v0, 21, 1
	v_add_u32_e32 v25, -1, v25
	v_cndmask_b32_e32 v25, 0, v25, vcc
	v_add_u32_e32 v25, v25, v0
	v_and_b32_e32 v25, 0x1fffff, v25
	v_add_co_u32_e32 v0, vcc, v25, v0
	v_add_u32_e32 v23, 14, v26
	v_addc_co_u32_e32 v1, vcc, 0, v1, vcc
	v_cmp_ne_u32_e32 vcc, 0, v23
                                        ; implicit-def: $vgpr25
	s_and_saveexec_b64 s[30:31], vcc
	s_xor_b64 s[30:31], exec, s[30:31]
; %bb.6889:                             ;   in Loop: Header=BB6_6121 Depth=3
	v_add_u32_e32 v25, 15, v26
	v_cmp_lt_u64_e32 vcc, s[56:57], v[0:1]
	v_cndmask_b32_e32 v25, v23, v25, vcc
	v_cndmask_b32_e64 v23, 0, 1, vcc
	v_lshrrev_b64 v[0:1], v23, v[0:1]
; %bb.6890:                             ;   in Loop: Header=BB6_6121 Depth=3
	s_andn2_saveexec_b64 vcc, s[30:31]
; %bb.6891:                             ;   in Loop: Header=BB6_6121 Depth=3
	v_bfe_u32 v25, v0, 23, 1
; %bb.6892:                             ;   in Loop: Header=BB6_6121 Depth=3
	s_or_b64 exec, exec, vcc
	v_lshrrev_b64 v[0:1], 21, v[0:1]
	v_cmp_gt_i32_e32 vcc, 32, v25
	v_cndmask_b32_e32 v1, 0, v1, vcc
	v_cndmask_b32_e32 v0, 3, v0, vcc
	v_cmp_ne_u32_e32 vcc, 0, v25
	v_cmp_ne_u64_e64 s[30:31], 0, v[0:1]
	s_or_b64 vcc, vcc, s[30:31]
                                        ; implicit-def: $vgpr23
	s_and_saveexec_b64 s[30:31], vcc
	s_xor_b64 vcc, exec, s[30:31]
; %bb.6893:                             ;   in Loop: Header=BB6_6121 Depth=3
	v_min_i32_e32 v1, 31, v25
	v_lshl_or_b32 v1, v1, 2, v24
	v_and_or_b32 v23, v0, 3, v1
                                        ; implicit-def: $vgpr24
; %bb.6894:                             ;   in Loop: Header=BB6_6121 Depth=3
	s_andn2_saveexec_b64 vcc, vcc
; %bb.6895:                             ;   in Loop: Header=BB6_6121 Depth=3
	v_mov_b32_e32 v23, v24
; %bb.6896:                             ;   in Loop: Header=BB6_6121 Depth=3
	s_or_b64 exec, exec, vcc
.LBB6_6897:                             ;   in Loop: Header=BB6_6121 Depth=3
	s_or_b64 exec, exec, s[74:75]
.LBB6_6898:                             ;   in Loop: Header=BB6_6121 Depth=3
	s_andn2_saveexec_b64 vcc, s[72:73]
	s_or_b64 exec, exec, vcc
                                        ; implicit-def: $vgpr1
.LBB6_6899:                             ;   in Loop: Header=BB6_6121 Depth=3
	s_andn2_saveexec_b64 s[30:31], s[70:71]
; %bb.6900:                             ;   in Loop: Header=BB6_6121 Depth=3
	v_or_b32_sdwa v0, v1, s39 dst_sel:DWORD dst_unused:UNUSED_PAD src0_sel:BYTE_3 src1_sel:DWORD
	v_cmp_eq_u64_e32 vcc, 0, v[50:51]
	v_cndmask_b32_e32 v23, v0, v23, vcc
; %bb.6901:                             ;   in Loop: Header=BB6_6121 Depth=3
	s_or_b64 exec, exec, s[30:31]
	v_and_b32_e32 v0, 0xff, v32
	s_and_b64 vcc, exec, s[28:29]
	v_cmp_ne_u16_e64 s[28:29], 0, v32
	s_cbranch_vccnz .LBB6_6919
; %bb.6902:                             ;   in Loop: Header=BB6_6121 Depth=3
	v_mov_b32_e32 v24, 0
	v_mov_b32_e32 v1, 0
	s_and_saveexec_b64 s[30:31], s[28:29]
	s_cbranch_execz .LBB6_6910
; %bb.6903:                             ;   in Loop: Header=BB6_6121 Depth=3
	v_cmp_ne_u16_e32 vcc, s94, v32
	v_bfrev_b32_e32 v1, 1
	s_and_saveexec_b64 s[70:71], vcc
	s_cbranch_execz .LBB6_6909
; %bb.6904:                             ;   in Loop: Header=BB6_6121 Depth=3
	v_and_b32_e32 v1, 0x7c, v0
	v_and_b32_e32 v25, 3, v0
	v_cmp_ne_u32_e32 vcc, s95, v1
                                        ; implicit-def: $vgpr1
	s_and_saveexec_b64 s[72:73], vcc
	s_xor_b64 s[72:73], exec, s[72:73]
	s_cbranch_execz .LBB6_6906
; %bb.6905:                             ;   in Loop: Header=BB6_6121 Depth=3
	v_ffbh_u32_e32 v26, v25
	v_min_u32_e32 v29, 32, v26
	v_mov_b32_e32 v33, v51
	v_subrev_u32_e32 v26, 29, v29
	v_bfe_u32 v1, v0, 2, 5
	v_lshlrev_b64 v[26:27], v26, v[32:33]
	v_sub_u32_e32 v27, 30, v29
	v_and_b32_e32 v26, 3, v26
	v_cmp_eq_u32_e32 vcc, 0, v1
	v_cndmask_b32_e32 v1, v1, v27, vcc
	v_cndmask_b32_e32 v25, v25, v26, vcc
	v_bfrev_b32_e32 v26, 28
	v_bfe_i32 v28, v32, 0, 16
	v_lshl_add_u32 v1, v1, 23, v26
	v_and_or_b32 v1, v28, s96, v1
	v_lshl_or_b32 v1, v25, 21, v1
                                        ; implicit-def: $vgpr25
.LBB6_6906:                             ;   in Loop: Header=BB6_6121 Depth=3
	s_andn2_saveexec_b64 s[72:73], s[72:73]
; %bb.6907:                             ;   in Loop: Header=BB6_6121 Depth=3
	v_cmp_lt_i16_e32 vcc, -1, v32
	v_mov_b32_e32 v1, 0xc7600000
	v_mov_b32_e32 v26, 0x47600000
	v_cndmask_b32_e32 v1, v1, v26, vcc
	v_cmp_eq_u32_e32 vcc, 0, v25
	v_mov_b32_e32 v25, 0x7f800001
	v_cndmask_b32_e32 v1, v25, v1, vcc
; %bb.6908:                             ;   in Loop: Header=BB6_6121 Depth=3
	s_or_b64 exec, exec, s[72:73]
.LBB6_6909:                             ;   in Loop: Header=BB6_6121 Depth=3
	s_or_b64 exec, exec, s[70:71]
.LBB6_6910:                             ;   in Loop: Header=BB6_6121 Depth=3
	s_or_b64 exec, exec, s[30:31]
	v_cmp_ne_u16_e32 vcc, 0, v30
	s_and_saveexec_b64 s[30:31], vcc
	s_cbranch_execz .LBB6_6918
; %bb.6911:                             ;   in Loop: Header=BB6_6121 Depth=3
	v_cmp_ne_u16_e32 vcc, s94, v30
	v_bfrev_b32_e32 v24, 1
	s_and_saveexec_b64 s[70:71], vcc
	s_cbranch_execz .LBB6_6917
; %bb.6912:                             ;   in Loop: Header=BB6_6121 Depth=3
	v_and_b32_e32 v24, 0x7c, v30
	v_and_b32_e32 v25, 3, v30
	v_cmp_ne_u32_e32 vcc, s95, v24
                                        ; implicit-def: $vgpr24
	s_and_saveexec_b64 s[72:73], vcc
	s_xor_b64 s[72:73], exec, s[72:73]
	s_cbranch_execz .LBB6_6914
; %bb.6913:                             ;   in Loop: Header=BB6_6121 Depth=3
	v_ffbh_u32_e32 v26, v25
	v_min_u32_e32 v29, 32, v26
	v_and_b32_e32 v24, 0xff, v30
	v_mov_b32_e32 v31, v51
	v_subrev_u32_e32 v26, 29, v29
	v_bfe_u32 v24, v24, 2, 5
	v_lshlrev_b64 v[26:27], v26, v[30:31]
	v_sub_u32_e32 v27, 30, v29
	v_and_b32_e32 v26, 3, v26
	v_cmp_eq_u32_e32 vcc, 0, v24
	v_cndmask_b32_e32 v24, v24, v27, vcc
	v_cndmask_b32_e32 v25, v25, v26, vcc
	v_bfrev_b32_e32 v26, 28
	v_bfe_i32 v28, v30, 0, 16
	v_lshl_add_u32 v24, v24, 23, v26
	v_and_or_b32 v24, v28, s96, v24
	v_lshl_or_b32 v24, v25, 21, v24
                                        ; implicit-def: $vgpr25
.LBB6_6914:                             ;   in Loop: Header=BB6_6121 Depth=3
	s_andn2_saveexec_b64 s[72:73], s[72:73]
; %bb.6915:                             ;   in Loop: Header=BB6_6121 Depth=3
	v_cmp_lt_i16_e32 vcc, -1, v30
	v_mov_b32_e32 v24, 0xc7600000
	v_mov_b32_e32 v26, 0x47600000
	v_cndmask_b32_e32 v24, v24, v26, vcc
	v_cmp_eq_u32_e32 vcc, 0, v25
	v_mov_b32_e32 v25, 0x7f800001
	v_cndmask_b32_e32 v24, v25, v24, vcc
; %bb.6916:                             ;   in Loop: Header=BB6_6121 Depth=3
	s_or_b64 exec, exec, s[72:73]
.LBB6_6917:                             ;   in Loop: Header=BB6_6121 Depth=3
	s_or_b64 exec, exec, s[70:71]
.LBB6_6918:                             ;   in Loop: Header=BB6_6121 Depth=3
	s_or_b64 exec, exec, s[30:31]
	v_max_f32_e32 v24, v24, v24
	v_max_f32_e32 v1, v1, v1
	;; [unrolled: 1-line block ×3, first 2 shown]
	s_branch .LBB6_6937
.LBB6_6919:                             ;   in Loop: Header=BB6_6121 Depth=3
                                        ; implicit-def: $vgpr25
	s_cbranch_execz .LBB6_6937
; %bb.6920:                             ;   in Loop: Header=BB6_6121 Depth=3
	v_mov_b32_e32 v24, 0
	v_mov_b32_e32 v1, 0
	s_and_saveexec_b64 s[30:31], s[28:29]
	s_cbranch_execz .LBB6_6928
; %bb.6921:                             ;   in Loop: Header=BB6_6121 Depth=3
	v_cmp_ne_u16_e32 vcc, s94, v32
	v_bfrev_b32_e32 v1, 1
	s_and_saveexec_b64 s[28:29], vcc
	s_cbranch_execz .LBB6_6927
; %bb.6922:                             ;   in Loop: Header=BB6_6121 Depth=3
	v_and_b32_e32 v1, 0x7c, v0
	v_and_b32_e32 v25, 3, v0
	v_cmp_ne_u32_e32 vcc, s95, v1
                                        ; implicit-def: $vgpr1
	s_and_saveexec_b64 s[70:71], vcc
	s_xor_b64 s[70:71], exec, s[70:71]
	s_cbranch_execz .LBB6_6924
; %bb.6923:                             ;   in Loop: Header=BB6_6121 Depth=3
	v_bfe_u32 v26, v0, 2, 5
	v_ffbh_u32_e32 v0, v25
	v_min_u32_e32 v28, 32, v0
	v_mov_b32_e32 v33, v51
	v_subrev_u32_e32 v0, 29, v28
	v_lshlrev_b64 v[0:1], v0, v[32:33]
	v_sub_u32_e32 v1, 30, v28
	v_and_b32_e32 v0, 3, v0
	v_cmp_eq_u32_e32 vcc, 0, v26
	v_cndmask_b32_e32 v1, v26, v1, vcc
	v_cndmask_b32_e32 v0, v25, v0, vcc
	v_bfrev_b32_e32 v25, 28
	v_bfe_i32 v27, v32, 0, 16
	v_lshl_add_u32 v1, v1, 23, v25
	v_and_or_b32 v1, v27, s96, v1
	v_lshl_or_b32 v1, v0, 21, v1
                                        ; implicit-def: $vgpr25
                                        ; implicit-def: $vgpr32
.LBB6_6924:                             ;   in Loop: Header=BB6_6121 Depth=3
	s_andn2_saveexec_b64 s[70:71], s[70:71]
; %bb.6925:                             ;   in Loop: Header=BB6_6121 Depth=3
	v_cmp_lt_i16_e32 vcc, -1, v32
	v_mov_b32_e32 v0, 0xc7600000
	v_mov_b32_e32 v1, 0x47600000
	v_cndmask_b32_e32 v0, v0, v1, vcc
	v_cmp_eq_u32_e32 vcc, 0, v25
	v_mov_b32_e32 v1, 0x7f800001
	v_cndmask_b32_e32 v1, v1, v0, vcc
; %bb.6926:                             ;   in Loop: Header=BB6_6121 Depth=3
	s_or_b64 exec, exec, s[70:71]
.LBB6_6927:                             ;   in Loop: Header=BB6_6121 Depth=3
	s_or_b64 exec, exec, s[28:29]
.LBB6_6928:                             ;   in Loop: Header=BB6_6121 Depth=3
	s_or_b64 exec, exec, s[30:31]
	v_cmp_ne_u16_e32 vcc, 0, v30
	s_and_saveexec_b64 s[28:29], vcc
	s_cbranch_execz .LBB6_6936
; %bb.6929:                             ;   in Loop: Header=BB6_6121 Depth=3
	v_cmp_ne_u16_e32 vcc, s94, v30
	v_bfrev_b32_e32 v24, 1
	s_and_saveexec_b64 s[30:31], vcc
	s_cbranch_execz .LBB6_6935
; %bb.6930:                             ;   in Loop: Header=BB6_6121 Depth=3
	v_and_b32_e32 v24, 0x7c, v30
	v_and_b32_e32 v0, 3, v30
	v_cmp_ne_u32_e32 vcc, s95, v24
                                        ; implicit-def: $vgpr24
	s_and_saveexec_b64 s[70:71], vcc
	s_xor_b64 s[70:71], exec, s[70:71]
	s_cbranch_execz .LBB6_6932
; %bb.6931:                             ;   in Loop: Header=BB6_6121 Depth=3
	v_and_b32_e32 v24, 0xff, v30
	v_bfe_u32 v26, v24, 2, 5
	v_ffbh_u32_e32 v24, v0
	v_min_u32_e32 v28, 32, v24
	v_mov_b32_e32 v31, v51
	v_subrev_u32_e32 v24, 29, v28
	v_lshlrev_b64 v[24:25], v24, v[30:31]
	v_sub_u32_e32 v25, 30, v28
	v_and_b32_e32 v24, 3, v24
	v_cmp_eq_u32_e32 vcc, 0, v26
	v_cndmask_b32_e32 v25, v26, v25, vcc
	v_cndmask_b32_e32 v0, v0, v24, vcc
	v_bfrev_b32_e32 v24, 28
	v_bfe_i32 v27, v30, 0, 16
	v_lshl_add_u32 v24, v25, 23, v24
	v_and_or_b32 v24, v27, s96, v24
	v_lshl_or_b32 v24, v0, 21, v24
                                        ; implicit-def: $vgpr0
                                        ; implicit-def: $vgpr30
.LBB6_6932:                             ;   in Loop: Header=BB6_6121 Depth=3
	s_andn2_saveexec_b64 s[70:71], s[70:71]
; %bb.6933:                             ;   in Loop: Header=BB6_6121 Depth=3
	v_cmp_lt_i16_e32 vcc, -1, v30
	v_mov_b32_e32 v24, 0xc7600000
	v_mov_b32_e32 v25, 0x47600000
	v_cndmask_b32_e32 v24, v24, v25, vcc
	v_cmp_eq_u32_e32 vcc, 0, v0
	v_mov_b32_e32 v0, 0x7f800001
	v_cndmask_b32_e32 v24, v0, v24, vcc
; %bb.6934:                             ;   in Loop: Header=BB6_6121 Depth=3
	s_or_b64 exec, exec, s[70:71]
.LBB6_6935:                             ;   in Loop: Header=BB6_6121 Depth=3
	s_or_b64 exec, exec, s[30:31]
.LBB6_6936:                             ;   in Loop: Header=BB6_6121 Depth=3
	s_or_b64 exec, exec, s[28:29]
	v_max_f32_e32 v0, v24, v24
	v_max_f32_e32 v1, v1, v1
	v_min_f32_e32 v25, v1, v0
.LBB6_6937:                             ;   in Loop: Header=BB6_6121 Depth=3
	v_and_b32_sdwa v24, v25, s97 dst_sel:DWORD dst_unused:UNUSED_PAD src0_sel:BYTE_3 src1_sel:DWORD
	v_and_b32_e32 v26, 0x7f800000, v25
	v_mov_b32_e32 v27, v51
	v_and_b32_e32 v50, 0x7fffff, v25
	v_or_b32_e32 v1, 0x7b, v24
	v_cmp_ne_u64_e32 vcc, s[52:53], v[26:27]
	s_and_saveexec_b64 s[28:29], vcc
	s_xor_b64 s[30:31], exec, s[28:29]
	s_cbranch_execz .LBB6_6951
; %bb.6938:                             ;   in Loop: Header=BB6_6121 Depth=3
	v_and_b32_e32 v26, 0x7fffffff, v25
	v_mov_b32_e32 v27, v51
	v_cmp_gt_u64_e32 vcc, s[54:55], v[26:27]
	s_and_saveexec_b64 s[28:29], vcc
	s_xor_b64 s[70:71], exec, s[28:29]
	s_cbranch_execz .LBB6_6950
; %bb.6939:                             ;   in Loop: Header=BB6_6121 Depth=3
	v_cmp_ne_u32_e32 vcc, 0, v25
	v_mov_b32_e32 v1, 0
	s_and_saveexec_b64 s[72:73], vcc
	s_cbranch_execz .LBB6_6949
; %bb.6940:                             ;   in Loop: Header=BB6_6121 Depth=3
	v_bfe_u32 v0, v25, 23, 8
	v_cmp_eq_u32_e32 vcc, 0, v0
	v_add_u32_e32 v1, 0xffffff81, v0
	v_cmp_gt_u32_e64 s[28:29], s38, v0
	v_sub_u32_e32 v0, 0x71, v0
	v_mov_b32_e32 v26, 0xffffff82
	v_cndmask_b32_e64 v0, 0, v0, s[28:29]
	v_cndmask_b32_e32 v28, v1, v26, vcc
	v_mov_b32_e32 v1, 0x70
	v_cndmask_b32_e32 v29, v0, v1, vcc
	v_add_u32_e32 v0, 21, v29
	v_or_b32_e32 v25, 0x800000, v50
	v_lshlrev_b64 v[0:1], v0, -1
	v_cndmask_b32_e32 v50, v25, v50, vcc
	v_not_b32_e32 v1, v1
	v_not_b32_e32 v0, v0
	v_add_u32_e32 v25, 20, v29
	v_and_b32_e32 v1, 0, v1
	v_and_b32_e32 v0, v50, v0
	v_lshlrev_b64 v[26:27], v25, 1
	v_cmp_eq_u64_e32 vcc, v[0:1], v[26:27]
	v_lshrrev_b64 v[0:1], v29, v[50:51]
	v_lshrrev_b32_e32 v25, 23, v0
	v_add3_u32 v27, v29, v28, v25
	v_bfe_u32 v25, v0, 21, 1
	v_add_u32_e32 v25, -1, v25
	v_cndmask_b32_e32 v25, 0, v25, vcc
	v_add_u32_e32 v25, v25, v0
	v_and_b32_e32 v25, 0x1fffff, v25
	v_add_co_u32_e32 v0, vcc, v25, v0
	v_add_u32_e32 v26, 14, v27
	v_addc_co_u32_e32 v1, vcc, 0, v1, vcc
	v_cmp_ne_u32_e32 vcc, 0, v26
                                        ; implicit-def: $vgpr25
	s_and_saveexec_b64 s[28:29], vcc
	s_xor_b64 s[28:29], exec, s[28:29]
; %bb.6941:                             ;   in Loop: Header=BB6_6121 Depth=3
	v_add_u32_e32 v25, 15, v27
	v_cmp_lt_u64_e32 vcc, s[56:57], v[0:1]
	v_cndmask_b32_e32 v25, v26, v25, vcc
	v_cndmask_b32_e64 v26, 0, 1, vcc
	v_lshrrev_b64 v[0:1], v26, v[0:1]
; %bb.6942:                             ;   in Loop: Header=BB6_6121 Depth=3
	s_andn2_saveexec_b64 s[28:29], s[28:29]
; %bb.6943:                             ;   in Loop: Header=BB6_6121 Depth=3
	v_bfe_u32 v25, v0, 23, 1
; %bb.6944:                             ;   in Loop: Header=BB6_6121 Depth=3
	s_or_b64 exec, exec, s[28:29]
	v_lshrrev_b64 v[0:1], 21, v[0:1]
	v_cmp_gt_i32_e32 vcc, 32, v25
	v_cndmask_b32_e32 v1, 0, v1, vcc
	v_cndmask_b32_e32 v0, 3, v0, vcc
	v_cmp_ne_u32_e32 vcc, 0, v25
	v_cmp_ne_u64_e64 s[28:29], 0, v[0:1]
	s_or_b64 s[28:29], vcc, s[28:29]
                                        ; implicit-def: $vgpr1
	s_and_saveexec_b64 vcc, s[28:29]
	s_xor_b64 s[28:29], exec, vcc
; %bb.6945:                             ;   in Loop: Header=BB6_6121 Depth=3
	v_min_i32_e32 v1, 31, v25
	v_lshl_or_b32 v1, v1, 2, v24
	v_and_or_b32 v1, v0, 3, v1
                                        ; implicit-def: $vgpr24
; %bb.6946:                             ;   in Loop: Header=BB6_6121 Depth=3
	s_andn2_saveexec_b64 s[28:29], s[28:29]
; %bb.6947:                             ;   in Loop: Header=BB6_6121 Depth=3
	v_mov_b32_e32 v1, v24
; %bb.6948:                             ;   in Loop: Header=BB6_6121 Depth=3
	s_or_b64 exec, exec, s[28:29]
.LBB6_6949:                             ;   in Loop: Header=BB6_6121 Depth=3
	s_or_b64 exec, exec, s[72:73]
.LBB6_6950:                             ;   in Loop: Header=BB6_6121 Depth=3
	s_andn2_saveexec_b64 s[28:29], s[70:71]
	s_or_b64 exec, exec, s[28:29]
                                        ; implicit-def: $vgpr25
.LBB6_6951:                             ;   in Loop: Header=BB6_6121 Depth=3
	s_andn2_saveexec_b64 s[28:29], s[30:31]
	s_cbranch_execz .LBB6_6120
; %bb.6952:                             ;   in Loop: Header=BB6_6121 Depth=3
	v_or_b32_sdwa v0, v25, s39 dst_sel:DWORD dst_unused:UNUSED_PAD src0_sel:BYTE_3 src1_sel:DWORD
	v_cmp_eq_u64_e32 vcc, 0, v[50:51]
	v_cndmask_b32_e32 v1, v0, v1, vcc
	s_branch .LBB6_6120
.LBB6_6953:                             ;   in Loop: Header=BB6_3679 Depth=2
	s_or_b64 exec, exec, s[66:67]
	v_accvgpr_mov_b32 a13, a3
	v_accvgpr_read_b32 v59, a15
	v_accvgpr_read_b32 v25, a17
	;; [unrolled: 1-line block ×4, first 2 shown]
	v_accvgpr_mov_b32 a12, a2
	v_accvgpr_read_b32 v58, a14
	v_accvgpr_read_b32 v24, a16
	;; [unrolled: 1-line block ×11, first 2 shown]
.LBB6_6954:                             ;   in Loop: Header=BB6_3679 Depth=2
	s_or_b64 exec, exec, s[34:35]
	v_lshlrev_b32_e32 v0, 10, v4
	v_cmp_ne_u32_e32 vcc, v3, v0
	s_and_saveexec_b64 s[66:67], vcc
	s_cbranch_execz .LBB6_7012
; %bb.6955:                             ;   in Loop: Header=BB6_3679 Depth=2
	v_add_u32_e32 v1, v2, v1
	v_and_b32_e32 v1, 0xffffffc0, v1
	v_sub_u32_e32 v1, v2, v1
	v_lshlrev_b32_e32 v2, 6, v60
	v_sub_u32_e32 v1, v1, v2
	v_add_u32_e32 v0, v0, v1
	v_sub_u32_e32 v10, v3, v0
	v_cmp_lt_i32_e32 vcc, 0, v10
	s_and_b64 exec, exec, vcc
	s_cbranch_execz .LBB6_7012
; %bb.6956:                             ;   in Loop: Header=BB6_3679 Depth=2
	s_trap 2
	ds_read_b128 v[2:5], v0
	v_add_u32_e32 v6, v0, v8
	v_ashrrev_i32_e32 v7, 31, v6
	s_bitcmp1_b32 s27, 0
	s_mov_b64 s[68:69], 0
	s_waitcnt lgkmcnt(0)
	v_add_co_u32_e32 v0, vcc, v2, v6
	v_addc_co_u32_e32 v1, vcc, v3, v7, vcc
	v_add_co_u32_e32 v2, vcc, v4, v6
	v_addc_co_u32_e32 v3, vcc, v5, v7, vcc
	s_cselect_b64 s[70:71], -1, 0
	v_pk_mov_b32 v[4:5], v[0:1], v[0:1] op_sel:[0,1]
	v_pk_mov_b32 v[6:7], v[2:3], v[2:3] op_sel:[0,1]
.LBB6_6957:                             ;   Parent Loop BB6_47 Depth=1
                                        ;     Parent Loop BB6_3679 Depth=2
                                        ; =>    This Loop Header: Depth=3
                                        ;         Child Loop BB6_7010 Depth 4
	flat_load_ubyte v9, v[4:5] glc slc
	flat_load_ubyte v11, v[6:7] glc slc
	v_mov_b32_e32 v12, -1
	v_mov_b32_e32 v14, 0x47600000
	s_and_b64 vcc, exec, s[70:71]
	s_waitcnt vmcnt(0) lgkmcnt(0)
	v_bfe_i32 v8, v9, 0, 8
	v_lshlrev_b32_e32 v13, 24, v11
	v_cmp_gt_i16_sdwa s[34:35], sext(v11), v12 src0_sel:BYTE_0 src1_sel:DWORD
	v_mov_b32_e32 v12, 0xc7600000
	v_cmp_ne_u16_e64 s[30:31], 0, v11
	v_and_b32_e32 v50, 0xffff, v11
	v_cmp_ne_u16_e64 s[28:29], s97, v11
	v_cndmask_b32_e64 v12, v12, v14, s[34:35]
	v_and_b32_e32 v14, 0xffff, v9
	v_cmp_ne_u16_e64 s[34:35], 0, v9
	v_and_b32_e32 v13, 0x80000000, v13
	s_cbranch_vccz .LBB6_6975
; %bb.6958:                             ;   in Loop: Header=BB6_6957 Depth=3
	v_mov_b32_e32 v15, 0
	v_mov_b32_e32 v9, 0
	s_and_saveexec_b64 s[72:73], s[34:35]
	s_cbranch_execz .LBB6_6966
; %bb.6959:                             ;   in Loop: Header=BB6_6957 Depth=3
	v_cmp_ne_u16_e32 vcc, s94, v8
	v_bfrev_b32_e32 v9, 1
	s_and_saveexec_b64 s[74:75], vcc
	s_cbranch_execz .LBB6_6965
; %bb.6960:                             ;   in Loop: Header=BB6_6957 Depth=3
	v_and_b32_e32 v9, 0x7c, v14
	v_and_b32_e32 v16, 3, v14
	v_cmp_ne_u32_e32 vcc, s95, v9
                                        ; implicit-def: $vgpr9
	s_and_saveexec_b64 s[76:77], vcc
	s_xor_b64 s[76:77], exec, s[76:77]
	s_cbranch_execz .LBB6_6962
; %bb.6961:                             ;   in Loop: Header=BB6_6957 Depth=3
	v_ffbh_u32_e32 v18, v16
	v_min_u32_e32 v21, 32, v18
	v_mov_b32_e32 v9, v51
	v_bfe_u32 v17, v14, 2, 5
	v_subrev_u32_e32 v18, 29, v21
	v_lshlrev_b64 v[18:19], v18, v[8:9]
	v_sub_u32_e32 v9, 30, v21
	v_cmp_eq_u32_e32 vcc, 0, v17
	v_cndmask_b32_e32 v9, v17, v9, vcc
	v_bfrev_b32_e32 v17, 28
	v_bfe_i32 v20, v8, 0, 16
	v_and_b32_e32 v18, 3, v18
	v_lshl_add_u32 v9, v9, 23, v17
	v_cndmask_b32_e32 v16, v16, v18, vcc
	v_and_or_b32 v9, v20, s96, v9
	v_lshl_or_b32 v9, v16, 21, v9
                                        ; implicit-def: $vgpr16
.LBB6_6962:                             ;   in Loop: Header=BB6_6957 Depth=3
	s_andn2_saveexec_b64 s[76:77], s[76:77]
; %bb.6963:                             ;   in Loop: Header=BB6_6957 Depth=3
	v_cmp_lt_i16_e32 vcc, -1, v8
	v_mov_b32_e32 v9, 0xc7600000
	v_mov_b32_e32 v17, 0x47600000
	v_cndmask_b32_e32 v9, v9, v17, vcc
	v_cmp_eq_u32_e32 vcc, 0, v16
	v_mov_b32_e32 v16, 0x7f800001
	v_cndmask_b32_e32 v9, v16, v9, vcc
; %bb.6964:                             ;   in Loop: Header=BB6_6957 Depth=3
	s_or_b64 exec, exec, s[76:77]
.LBB6_6965:                             ;   in Loop: Header=BB6_6957 Depth=3
	s_or_b64 exec, exec, s[74:75]
.LBB6_6966:                             ;   in Loop: Header=BB6_6957 Depth=3
	s_or_b64 exec, exec, s[72:73]
	s_and_saveexec_b64 s[72:73], s[30:31]
	s_cbranch_execz .LBB6_6974
; %bb.6967:                             ;   in Loop: Header=BB6_6957 Depth=3
	v_bfrev_b32_e32 v15, 1
	s_and_saveexec_b64 s[74:75], s[28:29]
	s_cbranch_execz .LBB6_6973
; %bb.6968:                             ;   in Loop: Header=BB6_6957 Depth=3
	v_mov_b32_e32 v15, 3
	v_and_b32_sdwa v16, sext(v11), v15 dst_sel:DWORD dst_unused:UNUSED_PAD src0_sel:BYTE_0 src1_sel:DWORD
	v_and_b32_sdwa v15, sext(v11), s95 dst_sel:DWORD dst_unused:UNUSED_PAD src0_sel:BYTE_0 src1_sel:DWORD
	v_cmp_ne_u32_e32 vcc, s95, v15
                                        ; implicit-def: $vgpr15
	s_and_saveexec_b64 s[76:77], vcc
	s_xor_b64 s[76:77], exec, s[76:77]
	s_cbranch_execz .LBB6_6970
; %bb.6969:                             ;   in Loop: Header=BB6_6957 Depth=3
	v_ffbh_u32_e32 v17, v16
	v_min_u32_e32 v17, 32, v17
	v_and_b32_sdwa v15, sext(v11), s93 dst_sel:DWORD dst_unused:UNUSED_PAD src0_sel:BYTE_0 src1_sel:DWORD
	v_subrev_u32_e32 v18, 29, v17
	v_bfe_u32 v15, v15, 2, 5
	v_lshlrev_b64 v[18:19], v18, v[50:51]
	v_and_b32_e32 v18, 3, v18
	v_cmp_eq_u32_e32 vcc, 0, v15
	v_sub_u32_e32 v17, 30, v17
	v_cndmask_b32_e32 v16, v16, v18, vcc
	v_cndmask_b32_e32 v15, v15, v17, vcc
	v_lshlrev_b32_e32 v16, 21, v16
	v_lshl_or_b32 v15, v15, 23, v16
	v_add_u32_e32 v15, 0x38000000, v15
	v_or_b32_e32 v15, v15, v13
                                        ; implicit-def: $vgpr16
.LBB6_6970:                             ;   in Loop: Header=BB6_6957 Depth=3
	s_andn2_saveexec_b64 s[76:77], s[76:77]
; %bb.6971:                             ;   in Loop: Header=BB6_6957 Depth=3
	v_cmp_eq_u32_e32 vcc, 0, v16
	v_mov_b32_e32 v15, 0x7f800001
	v_cndmask_b32_e32 v15, v15, v12, vcc
; %bb.6972:                             ;   in Loop: Header=BB6_6957 Depth=3
	s_or_b64 exec, exec, s[76:77]
.LBB6_6973:                             ;   in Loop: Header=BB6_6957 Depth=3
	s_or_b64 exec, exec, s[74:75]
.LBB6_6974:                             ;   in Loop: Header=BB6_6957 Depth=3
	s_or_b64 exec, exec, s[72:73]
	v_max_f32_e32 v15, v15, v15
	v_max_f32_e32 v9, v9, v9
	;; [unrolled: 1-line block ×3, first 2 shown]
	s_branch .LBB6_6993
.LBB6_6975:                             ;   in Loop: Header=BB6_6957 Depth=3
                                        ; implicit-def: $vgpr15
	s_cbranch_execz .LBB6_6993
; %bb.6976:                             ;   in Loop: Header=BB6_6957 Depth=3
	v_mov_b32_e32 v15, 0
	v_mov_b32_e32 v9, 0
	s_and_saveexec_b64 s[72:73], s[34:35]
	s_cbranch_execz .LBB6_6984
; %bb.6977:                             ;   in Loop: Header=BB6_6957 Depth=3
	v_cmp_ne_u16_e32 vcc, s94, v8
	v_bfrev_b32_e32 v9, 1
	s_and_saveexec_b64 s[34:35], vcc
	s_cbranch_execz .LBB6_6983
; %bb.6978:                             ;   in Loop: Header=BB6_6957 Depth=3
	v_and_b32_e32 v9, 0x7c, v14
	v_and_b32_e32 v16, 3, v14
	v_cmp_ne_u32_e32 vcc, s95, v9
                                        ; implicit-def: $vgpr9
	s_and_saveexec_b64 s[74:75], vcc
	s_xor_b64 s[74:75], exec, s[74:75]
	s_cbranch_execz .LBB6_6980
; %bb.6979:                             ;   in Loop: Header=BB6_6957 Depth=3
	v_ffbh_u32_e32 v18, v16
	v_min_u32_e32 v18, 32, v18
	v_mov_b32_e32 v9, v51
	v_subrev_u32_e32 v19, 29, v18
	v_bfe_u32 v14, v14, 2, 5
	v_bfe_i32 v17, v8, 0, 16
	v_lshlrev_b64 v[8:9], v19, v[8:9]
	v_sub_u32_e32 v9, 30, v18
	v_cmp_eq_u32_e32 vcc, 0, v14
	v_cndmask_b32_e32 v9, v14, v9, vcc
	v_bfrev_b32_e32 v14, 28
	v_and_b32_e32 v8, 3, v8
	v_lshl_add_u32 v9, v9, 23, v14
	v_cndmask_b32_e32 v8, v16, v8, vcc
	v_and_or_b32 v9, v17, s96, v9
	v_lshl_or_b32 v9, v8, 21, v9
                                        ; implicit-def: $vgpr16
                                        ; implicit-def: $vgpr8
.LBB6_6980:                             ;   in Loop: Header=BB6_6957 Depth=3
	s_andn2_saveexec_b64 s[74:75], s[74:75]
; %bb.6981:                             ;   in Loop: Header=BB6_6957 Depth=3
	v_cmp_lt_i16_e32 vcc, -1, v8
	v_mov_b32_e32 v8, 0xc7600000
	v_mov_b32_e32 v9, 0x47600000
	v_cndmask_b32_e32 v8, v8, v9, vcc
	v_cmp_eq_u32_e32 vcc, 0, v16
	v_mov_b32_e32 v9, 0x7f800001
	v_cndmask_b32_e32 v9, v9, v8, vcc
; %bb.6982:                             ;   in Loop: Header=BB6_6957 Depth=3
	s_or_b64 exec, exec, s[74:75]
.LBB6_6983:                             ;   in Loop: Header=BB6_6957 Depth=3
	s_or_b64 exec, exec, s[34:35]
.LBB6_6984:                             ;   in Loop: Header=BB6_6957 Depth=3
	s_or_b64 exec, exec, s[72:73]
	s_and_saveexec_b64 s[34:35], s[30:31]
	s_cbranch_execz .LBB6_6992
; %bb.6985:                             ;   in Loop: Header=BB6_6957 Depth=3
	v_bfrev_b32_e32 v15, 1
	s_and_saveexec_b64 s[30:31], s[28:29]
	s_cbranch_execz .LBB6_6991
; %bb.6986:                             ;   in Loop: Header=BB6_6957 Depth=3
	v_mov_b32_e32 v8, 3
	v_and_b32_sdwa v14, sext(v11), s95 dst_sel:DWORD dst_unused:UNUSED_PAD src0_sel:BYTE_0 src1_sel:DWORD
	v_and_b32_sdwa v8, sext(v11), v8 dst_sel:DWORD dst_unused:UNUSED_PAD src0_sel:BYTE_0 src1_sel:DWORD
	v_cmp_ne_u32_e32 vcc, s95, v14
                                        ; implicit-def: $vgpr15
	s_and_saveexec_b64 s[28:29], vcc
	s_xor_b64 s[28:29], exec, s[28:29]
	s_cbranch_execz .LBB6_6988
; %bb.6987:                             ;   in Loop: Header=BB6_6957 Depth=3
	v_ffbh_u32_e32 v12, v8
	v_min_u32_e32 v12, 32, v12
	v_and_b32_sdwa v11, sext(v11), s93 dst_sel:DWORD dst_unused:UNUSED_PAD src0_sel:BYTE_0 src1_sel:DWORD
	v_subrev_u32_e32 v14, 29, v12
	v_bfe_u32 v11, v11, 2, 5
	v_lshlrev_b64 v[14:15], v14, v[50:51]
	v_and_b32_e32 v14, 3, v14
	v_cmp_eq_u32_e32 vcc, 0, v11
	v_sub_u32_e32 v12, 30, v12
	v_cndmask_b32_e32 v8, v8, v14, vcc
	v_cndmask_b32_e32 v11, v11, v12, vcc
	v_lshlrev_b32_e32 v8, 21, v8
	v_lshl_or_b32 v8, v11, 23, v8
	v_add_u32_e32 v8, 0x38000000, v8
	v_or_b32_e32 v15, v8, v13
                                        ; implicit-def: $vgpr8
                                        ; implicit-def: $vgpr12
.LBB6_6988:                             ;   in Loop: Header=BB6_6957 Depth=3
	s_andn2_saveexec_b64 s[28:29], s[28:29]
; %bb.6989:                             ;   in Loop: Header=BB6_6957 Depth=3
	v_cmp_eq_u32_e32 vcc, 0, v8
	v_mov_b32_e32 v8, 0x7f800001
	v_cndmask_b32_e32 v15, v8, v12, vcc
; %bb.6990:                             ;   in Loop: Header=BB6_6957 Depth=3
	s_or_b64 exec, exec, s[28:29]
.LBB6_6991:                             ;   in Loop: Header=BB6_6957 Depth=3
	s_or_b64 exec, exec, s[30:31]
.LBB6_6992:                             ;   in Loop: Header=BB6_6957 Depth=3
	s_or_b64 exec, exec, s[34:35]
	v_max_f32_e32 v8, v15, v15
	v_max_f32_e32 v9, v9, v9
	v_min_f32_e32 v15, v9, v8
.LBB6_6993:                             ;   in Loop: Header=BB6_6957 Depth=3
	v_and_b32_sdwa v11, v15, s97 dst_sel:DWORD dst_unused:UNUSED_PAD src0_sel:BYTE_3 src1_sel:DWORD
	v_and_b32_e32 v12, 0x7f800000, v15
	v_mov_b32_e32 v13, v51
	v_and_b32_e32 v50, 0x7fffff, v15
	v_or_b32_e32 v9, 0x7b, v11
	v_cmp_ne_u64_e32 vcc, s[52:53], v[12:13]
	s_and_saveexec_b64 s[28:29], vcc
	s_xor_b64 s[30:31], exec, s[28:29]
	s_cbranch_execz .LBB6_7007
; %bb.6994:                             ;   in Loop: Header=BB6_6957 Depth=3
	v_and_b32_e32 v12, 0x7fffffff, v15
	v_mov_b32_e32 v13, v51
	v_cmp_gt_u64_e32 vcc, s[54:55], v[12:13]
	s_and_saveexec_b64 s[28:29], vcc
	s_xor_b64 s[34:35], exec, s[28:29]
	s_cbranch_execz .LBB6_7006
; %bb.6995:                             ;   in Loop: Header=BB6_6957 Depth=3
	v_cmp_ne_u32_e32 vcc, 0, v15
	v_mov_b32_e32 v9, 0
	s_and_saveexec_b64 s[72:73], vcc
	s_cbranch_execz .LBB6_7005
; %bb.6996:                             ;   in Loop: Header=BB6_6957 Depth=3
	v_bfe_u32 v8, v15, 23, 8
	v_cmp_eq_u32_e32 vcc, 0, v8
	v_add_u32_e32 v9, 0xffffff81, v8
	v_cmp_gt_u32_e64 s[28:29], s38, v8
	v_sub_u32_e32 v8, 0x71, v8
	v_mov_b32_e32 v13, 0xffffff82
	v_cndmask_b32_e64 v8, 0, v8, s[28:29]
	v_cndmask_b32_e32 v14, v9, v13, vcc
	v_mov_b32_e32 v9, 0x70
	v_cndmask_b32_e32 v15, v8, v9, vcc
	v_add_u32_e32 v8, 21, v15
	v_or_b32_e32 v12, 0x800000, v50
	v_lshlrev_b64 v[8:9], v8, -1
	v_cndmask_b32_e32 v50, v12, v50, vcc
	v_not_b32_e32 v9, v9
	v_not_b32_e32 v8, v8
	v_add_u32_e32 v12, 20, v15
	v_and_b32_e32 v9, 0, v9
	v_and_b32_e32 v8, v50, v8
	v_lshlrev_b64 v[12:13], v12, 1
	v_cmp_eq_u64_e32 vcc, v[8:9], v[12:13]
	v_lshrrev_b64 v[8:9], v15, v[50:51]
	v_lshrrev_b32_e32 v12, 23, v8
	v_add3_u32 v14, v15, v14, v12
	v_bfe_u32 v12, v8, 21, 1
	v_add_u32_e32 v12, -1, v12
	v_cndmask_b32_e32 v12, 0, v12, vcc
	v_add_u32_e32 v12, v12, v8
	v_and_b32_e32 v12, 0x1fffff, v12
	v_add_co_u32_e32 v8, vcc, v12, v8
	v_add_u32_e32 v13, 14, v14
	v_addc_co_u32_e32 v9, vcc, 0, v9, vcc
	v_cmp_ne_u32_e32 vcc, 0, v13
                                        ; implicit-def: $vgpr12
	s_and_saveexec_b64 s[28:29], vcc
	s_xor_b64 s[28:29], exec, s[28:29]
; %bb.6997:                             ;   in Loop: Header=BB6_6957 Depth=3
	v_add_u32_e32 v12, 15, v14
	v_cmp_lt_u64_e32 vcc, s[56:57], v[8:9]
	v_cndmask_b32_e32 v12, v13, v12, vcc
	v_cndmask_b32_e64 v13, 0, 1, vcc
	v_lshrrev_b64 v[8:9], v13, v[8:9]
; %bb.6998:                             ;   in Loop: Header=BB6_6957 Depth=3
	s_andn2_saveexec_b64 s[28:29], s[28:29]
; %bb.6999:                             ;   in Loop: Header=BB6_6957 Depth=3
	v_bfe_u32 v12, v8, 23, 1
; %bb.7000:                             ;   in Loop: Header=BB6_6957 Depth=3
	s_or_b64 exec, exec, s[28:29]
	v_lshrrev_b64 v[8:9], 21, v[8:9]
	v_cmp_gt_i32_e32 vcc, 32, v12
	v_cndmask_b32_e32 v9, 0, v9, vcc
	v_cndmask_b32_e32 v8, 3, v8, vcc
	v_cmp_ne_u32_e32 vcc, 0, v12
	v_cmp_ne_u64_e64 s[28:29], 0, v[8:9]
	s_or_b64 s[28:29], vcc, s[28:29]
                                        ; implicit-def: $vgpr9
	s_and_saveexec_b64 vcc, s[28:29]
	s_xor_b64 s[28:29], exec, vcc
; %bb.7001:                             ;   in Loop: Header=BB6_6957 Depth=3
	v_min_i32_e32 v9, 31, v12
	v_lshl_or_b32 v9, v9, 2, v11
	v_and_or_b32 v9, v8, 3, v9
                                        ; implicit-def: $vgpr11
; %bb.7002:                             ;   in Loop: Header=BB6_6957 Depth=3
	s_andn2_saveexec_b64 s[28:29], s[28:29]
; %bb.7003:                             ;   in Loop: Header=BB6_6957 Depth=3
	v_mov_b32_e32 v9, v11
; %bb.7004:                             ;   in Loop: Header=BB6_6957 Depth=3
	s_or_b64 exec, exec, s[28:29]
.LBB6_7005:                             ;   in Loop: Header=BB6_6957 Depth=3
	s_or_b64 exec, exec, s[72:73]
.LBB6_7006:                             ;   in Loop: Header=BB6_6957 Depth=3
	s_andn2_saveexec_b64 s[28:29], s[34:35]
	s_or_b64 exec, exec, s[28:29]
                                        ; implicit-def: $vgpr15
.LBB6_7007:                             ;   in Loop: Header=BB6_6957 Depth=3
	s_andn2_saveexec_b64 s[28:29], s[30:31]
; %bb.7008:                             ;   in Loop: Header=BB6_6957 Depth=3
	v_or_b32_sdwa v8, v15, s39 dst_sel:DWORD dst_unused:UNUSED_PAD src0_sel:BYTE_3 src1_sel:DWORD
	v_cmp_eq_u64_e32 vcc, 0, v[50:51]
	v_cndmask_b32_e32 v9, v8, v9, vcc
; %bb.7009:                             ;   in Loop: Header=BB6_6957 Depth=3
	s_or_b64 exec, exec, s[28:29]
	s_mov_b64 s[72:73], 0
	s_mov_b64 s[34:35], -1
.LBB6_7010:                             ;   Parent Loop BB6_47 Depth=1
                                        ;     Parent Loop BB6_3679 Depth=2
                                        ;       Parent Loop BB6_6957 Depth=3
                                        ; =>      This Inner Loop Header: Depth=4
	s_cmp_eq_u32 s72, 1
	s_cselect_b64 vcc, -1, 0
	v_cndmask_b32_e32 v12, v0, v2, vcc
	v_cndmask_b32_e32 v13, v1, v3, vcc
	v_add_co_u32_e64 v8, s[28:29], 64, v12
	s_cmp_eq_u32 s72, 0
	v_addc_co_u32_e64 v11, s[28:29], 0, v13, s[28:29]
	s_cselect_b64 s[28:29], -1, 0
	s_and_b64 s[30:31], exec, s[34:35]
	s_mov_b64 s[72:73], 1
	s_mov_b64 s[34:35], 0
	v_cndmask_b32_e32 v3, v3, v11, vcc
	v_cndmask_b32_e32 v2, v2, v8, vcc
	v_cndmask_b32_e64 v1, v1, v11, s[28:29]
	v_cndmask_b32_e64 v0, v0, v8, s[28:29]
	s_mov_b64 vcc, s[30:31]
	flat_store_byte v[12:13], v9 glc slc
	s_cbranch_vccnz .LBB6_7010
; %bb.7011:                             ;   in Loop: Header=BB6_6957 Depth=3
	v_accvgpr_read_b32 v8, a44
	v_add_co_u32_e32 v4, vcc, v4, v8
	v_accvgpr_read_b32 v9, a45
	v_addc_co_u32_e32 v5, vcc, v5, v9, vcc
	v_add_co_u32_e32 v6, vcc, v6, v8
	v_addc_co_u32_e32 v7, vcc, v7, v9, vcc
	v_accvgpr_read_b32 v12, a36
	v_add_co_u32_e32 v0, vcc, v0, v12
	v_accvgpr_read_b32 v9, a35
	v_accvgpr_read_b32 v8, a31
	v_addc_co_u32_e32 v1, vcc, v1, v9, vcc
	v_sub_u32_e32 v10, v10, v8
	v_cmp_gt_i32_e32 vcc, 1, v10
	s_or_b64 s[68:69], vcc, s[68:69]
	v_add_co_u32_e32 v2, vcc, v2, v12
	v_addc_co_u32_e32 v3, vcc, v3, v9, vcc
	s_andn2_b64 exec, exec, s[68:69]
	s_cbranch_execnz .LBB6_6957
.LBB6_7012:                             ;   in Loop: Header=BB6_3679 Depth=2
	s_or_b64 exec, exec, s[66:67]
	s_or_b64 exec, exec, s[64:65]
	s_branch .LBB6_3752
.LBB6_7013:                             ;   in Loop: Header=BB6_3679 Depth=2
	s_mov_b64 s[30:31], -1
	s_and_saveexec_b64 s[28:29], s[22:23]
	s_cbranch_execz .LBB6_7015
; %bb.7014:                             ;   in Loop: Header=BB6_3679 Depth=2
	ds_read_b32 v0, v0 offset:720
	s_waitcnt lgkmcnt(0)
	v_and_b32_e32 v0, 15, v0
	v_cmp_eq_u32_e32 vcc, 0, v0
	s_orn2_b64 s[30:31], vcc, exec
.LBB6_7015:                             ;   in Loop: Header=BB6_3679 Depth=2
	s_or_b64 exec, exec, s[28:29]
	s_and_saveexec_b64 s[28:29], s[18:19]
	s_cbranch_execz .LBB6_7017
; %bb.7016:                             ;   in Loop: Header=BB6_3679 Depth=2
	ds_read_b32 v0, v0 offset:784
	s_waitcnt lgkmcnt(0)
	v_and_b32_e32 v0, 15, v0
	v_cmp_eq_u32_e32 vcc, 0, v0
	s_and_b64 vcc, s[30:31], vcc
	s_andn2_b64 s[30:31], s[30:31], exec
	s_and_b64 vcc, vcc, exec
	s_or_b64 s[30:31], s[30:31], vcc
.LBB6_7017:                             ;   in Loop: Header=BB6_3679 Depth=2
	s_or_b64 exec, exec, s[28:29]
	s_xor_b64 vcc, s[30:31], -1
	v_cndmask_b32_e64 v0, 0, 1, vcc
	;;#ASMSTART
	;;#ASMEND
	s_mov_b64 s[28:29], -1
	v_cmp_ne_u32_e32 vcc, 0, v0
	v_mov_b32_e32 v9, 0
	v_mov_b32_e32 v3, v44
	;; [unrolled: 1-line block ×3, first 2 shown]
	v_accvgpr_read_b32 v0, a37
	s_cbranch_vccz .LBB6_7020
; %bb.7018:                             ;   in Loop: Header=BB6_3679 Depth=2
	s_and_saveexec_b64 s[64:65], s[28:29]
	s_cbranch_execnz .LBB6_9337
.LBB6_7019:                             ;   in Loop: Header=BB6_3679 Depth=2
	s_or_b64 exec, exec, s[64:65]
	s_and_saveexec_b64 s[28:29], s[10:11]
	s_cbranch_execnz .LBB6_3753
	s_branch .LBB6_5311
.LBB6_7020:                             ;   in Loop: Header=BB6_3679 Depth=2
	v_ashrrev_i32_e32 v0, 31, v44
	v_lshrrev_b32_e32 v0, 21, v0
	v_add_u32_e32 v0, v44, v0
	v_ashrrev_i32_e32 v27, 11, v0
	v_accvgpr_read_b32 v0, a37
	v_sub_u32_e32 v26, v27, v0
	v_accvgpr_write_b32 a4, v23
	v_cmp_lt_i32_e32 vcc, 0, v26
	s_and_saveexec_b64 s[34:35], vcc
	s_cbranch_execz .LBB6_8560
; %bb.7021:                             ;   in Loop: Header=BB6_3679 Depth=2
	s_trap 2
	ds_read_b128 v[0:3], v0
	v_accvgpr_read_b32 v6, a52
	v_accvgpr_read_b32 v7, a33
	s_bitcmp1_b32 s27, 0
	s_mov_b64 s[64:65], 0
	s_waitcnt lgkmcnt(0)
	ds_read_b64 v[4:5], v0
	v_add_co_u32_e32 v24, vcc, v0, v6
	v_addc_co_u32_e32 v25, vcc, v1, v7, vcc
	v_add_co_u32_e32 v40, vcc, v2, v6
	v_addc_co_u32_e32 v41, vcc, v3, v7, vcc
	s_waitcnt lgkmcnt(0)
	v_add_co_u32_e32 v4, vcc, v4, v6
	v_addc_co_u32_e32 v5, vcc, v5, v7, vcc
	s_cselect_b64 s[66:67], -1, 0
	s_branch .LBB6_7023
.LBB6_7022:                             ;   in Loop: Header=BB6_7023 Depth=3
	s_or_b64 exec, exec, s[28:29]
	v_lshlrev_b32_e32 v1, 16, v34
	v_lshlrev_b32_e32 v2, 8, v33
	v_perm_b32 v1, v16, v1, s82
	v_perm_b32 v2, v2, v32, s9
	v_or_b32_e32 v33, v1, v2
	v_and_b32_e32 v1, 0xff, v30
	v_lshlrev_b32_e32 v3, 8, v29
	v_lshlrev_b32_e32 v2, 24, v31
	;; [unrolled: 1-line block ×3, first 2 shown]
	v_perm_b32 v3, v3, v28, s9
	v_or3_b32 v32, v2, v1, v3
	v_and_b32_e32 v1, 0xff, v21
	v_lshlrev_b32_e32 v3, 8, v20
	v_lshlrev_b32_e32 v2, 24, v35
	;; [unrolled: 1-line block ×3, first 2 shown]
	v_perm_b32 v3, v3, v17, s9
	v_or3_b32 v34, v2, v1, v3
	v_lshlrev_b32_e32 v1, 8, v37
	v_lshlrev_b32_e32 v2, 16, v38
	v_perm_b32 v1, v1, v36, s9
	v_perm_b32 v2, v18, v2, s82
	v_or_b32_e32 v35, v2, v1
	v_lshlrev_b32_e32 v1, 16, v14
	v_lshlrev_b32_e32 v2, 8, v13
	v_perm_b32 v1, v12, v1, s82
	v_perm_b32 v2, v2, v48, s9
	v_or_b32_e32 v11, v1, v2
	v_and_b32_e32 v1, 0xff, v23
	v_lshlrev_b32_e32 v3, 8, v22
	v_lshlrev_b32_e32 v2, 24, v39
	v_lshlrev_b32_e32 v1, 16, v1
	v_perm_b32 v3, v3, v19, s9
	v_or3_b32 v10, v2, v1, v3
	v_and_b32_e32 v1, 0xff, v52
	v_lshlrev_b32_e32 v3, 8, v49
	v_lshlrev_b32_e32 v2, 24, v53
	;; [unrolled: 1-line block ×3, first 2 shown]
	v_perm_b32 v3, v3, v15, s9
	v_or3_b32 v12, v2, v1, v3
	v_lshlrev_b32_e32 v1, 8, v7
	v_lshlrev_b32_e32 v2, 16, v8
	v_perm_b32 v1, v1, v54, s9
	v_perm_b32 v0, v0, v2, s82
	v_or_b32_e32 v13, v0, v1
	v_accvgpr_read_b32 v1, a42
	v_add_co_u32_e32 v24, vcc, v24, v1
	v_accvgpr_read_b32 v2, a43
	v_addc_co_u32_e32 v25, vcc, v25, v2, vcc
	v_add_co_u32_e32 v40, vcc, v40, v1
	v_accvgpr_read_b32 v0, a30
	v_addc_co_u32_e32 v41, vcc, v41, v2, vcc
	v_sub_u32_e32 v26, v26, v0
	v_cmp_gt_i32_e32 vcc, 1, v26
	global_store_dwordx4 v[4:5], v[32:35], off glc slc
	global_store_dwordx4 v[4:5], v[10:13], off offset:1024 glc slc
	s_or_b64 s[64:65], vcc, s[64:65]
	v_add_co_u32_e32 v4, vcc, v4, v1
	v_addc_co_u32_e32 v5, vcc, v5, v2, vcc
	s_andn2_b64 exec, exec, s[64:65]
	s_cbranch_execz .LBB6_8559
.LBB6_7023:                             ;   Parent Loop BB6_47 Depth=1
                                        ;     Parent Loop BB6_3679 Depth=2
                                        ; =>    This Inner Loop Header: Depth=3
	global_load_dwordx4 v[20:23], v[24:25], off glc slc
	global_load_dwordx4 v[0:3], v[24:25], off offset:1024 glc slc
	global_load_dwordx4 v[16:19], v[40:41], off glc slc
	global_load_dwordx4 v[8:11], v[40:41], off offset:1024 glc slc
	s_and_b64 vcc, exec, s[66:67]
	s_waitcnt vmcnt(0)
	v_cmp_ne_u16_sdwa s[28:29], v20, v51 src0_sel:BYTE_0 src1_sel:DWORD
	s_cbranch_vccz .LBB6_7041
; %bb.7024:                             ;   in Loop: Header=BB6_7023 Depth=3
	v_mov_b32_e32 v7, 0
	v_mov_b32_e32 v6, 0
	s_and_saveexec_b64 s[30:31], s[28:29]
	s_cbranch_execz .LBB6_7032
; %bb.7025:                             ;   in Loop: Header=BB6_7023 Depth=3
	v_cmp_ne_u16_sdwa vcc, sext(v20), s94 src0_sel:BYTE_0 src1_sel:DWORD
	v_bfrev_b32_e32 v6, 1
	s_and_saveexec_b64 s[68:69], vcc
	s_cbranch_execz .LBB6_7031
; %bb.7026:                             ;   in Loop: Header=BB6_7023 Depth=3
	v_and_b32_e32 v6, 0x7c, v20
	v_and_b32_e32 v12, 3, v20
	v_cmp_ne_u32_e32 vcc, s95, v6
                                        ; implicit-def: $vgpr6
	s_and_saveexec_b64 s[70:71], vcc
	s_xor_b64 s[70:71], exec, s[70:71]
	s_cbranch_execz .LBB6_7028
; %bb.7027:                             ;   in Loop: Header=BB6_7023 Depth=3
	v_ffbh_u32_e32 v13, v12
	v_min_u32_e32 v13, 32, v13
	v_subrev_u32_e32 v14, 29, v13
	v_bfe_u32 v6, v20, 2, 5
	v_lshlrev_b64 v[14:15], v14, v[20:21]
	v_sub_u32_e32 v13, 30, v13
	v_and_b32_e32 v14, 3, v14
	v_cmp_eq_u32_e32 vcc, 0, v6
	v_cndmask_b32_e32 v6, v6, v13, vcc
	v_cndmask_b32_e32 v12, v12, v14, vcc
	v_bfrev_b32_e32 v14, 28
	v_lshlrev_b32_e32 v13, 24, v20
	v_lshl_add_u32 v6, v6, 23, v14
	v_and_or_b32 v6, v13, s96, v6
	v_lshl_or_b32 v6, v12, 21, v6
                                        ; implicit-def: $vgpr12
.LBB6_7028:                             ;   in Loop: Header=BB6_7023 Depth=3
	s_andn2_saveexec_b64 s[70:71], s[70:71]
; %bb.7029:                             ;   in Loop: Header=BB6_7023 Depth=3
	v_mov_b32_e32 v6, -1
	v_cmp_gt_i16_sdwa vcc, sext(v20), v6 src0_sel:BYTE_0 src1_sel:DWORD
	v_mov_b32_e32 v6, 0xc7600000
	v_mov_b32_e32 v13, 0x47600000
	v_cndmask_b32_e32 v6, v6, v13, vcc
	v_cmp_eq_u32_e32 vcc, 0, v12
	v_mov_b32_e32 v12, 0x7f800001
	v_cndmask_b32_e32 v6, v12, v6, vcc
; %bb.7030:                             ;   in Loop: Header=BB6_7023 Depth=3
	s_or_b64 exec, exec, s[70:71]
.LBB6_7031:                             ;   in Loop: Header=BB6_7023 Depth=3
	s_or_b64 exec, exec, s[68:69]
.LBB6_7032:                             ;   in Loop: Header=BB6_7023 Depth=3
	s_or_b64 exec, exec, s[30:31]
	v_cmp_ne_u16_sdwa vcc, sext(v16), v51 src0_sel:BYTE_0 src1_sel:DWORD
	s_and_saveexec_b64 s[30:31], vcc
	s_cbranch_execz .LBB6_7040
; %bb.7033:                             ;   in Loop: Header=BB6_7023 Depth=3
	v_cmp_ne_u16_sdwa vcc, sext(v16), s94 src0_sel:BYTE_0 src1_sel:DWORD
	v_bfrev_b32_e32 v7, 1
	s_and_saveexec_b64 s[68:69], vcc
	s_cbranch_execz .LBB6_7039
; %bb.7034:                             ;   in Loop: Header=BB6_7023 Depth=3
	v_and_b32_e32 v7, 0x7c, v16
	v_and_b32_e32 v12, 3, v16
	v_cmp_ne_u32_e32 vcc, s95, v7
                                        ; implicit-def: $vgpr7
	s_and_saveexec_b64 s[70:71], vcc
	s_xor_b64 s[70:71], exec, s[70:71]
	s_cbranch_execz .LBB6_7036
; %bb.7035:                             ;   in Loop: Header=BB6_7023 Depth=3
	v_ffbh_u32_e32 v13, v12
	v_min_u32_e32 v13, 32, v13
	v_subrev_u32_e32 v14, 29, v13
	v_bfe_u32 v7, v16, 2, 5
	v_lshlrev_b64 v[14:15], v14, v[16:17]
	v_sub_u32_e32 v13, 30, v13
	v_and_b32_e32 v14, 3, v14
	v_cmp_eq_u32_e32 vcc, 0, v7
	v_cndmask_b32_e32 v7, v7, v13, vcc
	v_cndmask_b32_e32 v12, v12, v14, vcc
	v_bfrev_b32_e32 v14, 28
	v_lshlrev_b32_e32 v13, 24, v16
	v_lshl_add_u32 v7, v7, 23, v14
	v_and_or_b32 v7, v13, s96, v7
	v_lshl_or_b32 v7, v12, 21, v7
                                        ; implicit-def: $vgpr12
.LBB6_7036:                             ;   in Loop: Header=BB6_7023 Depth=3
	s_andn2_saveexec_b64 s[70:71], s[70:71]
; %bb.7037:                             ;   in Loop: Header=BB6_7023 Depth=3
	v_mov_b32_e32 v7, -1
	v_cmp_gt_i16_sdwa vcc, sext(v16), v7 src0_sel:BYTE_0 src1_sel:DWORD
	v_mov_b32_e32 v7, 0xc7600000
	v_mov_b32_e32 v13, 0x47600000
	v_cndmask_b32_e32 v7, v7, v13, vcc
	v_cmp_eq_u32_e32 vcc, 0, v12
	v_mov_b32_e32 v12, 0x7f800001
	v_cndmask_b32_e32 v7, v12, v7, vcc
; %bb.7038:                             ;   in Loop: Header=BB6_7023 Depth=3
	s_or_b64 exec, exec, s[70:71]
.LBB6_7039:                             ;   in Loop: Header=BB6_7023 Depth=3
	s_or_b64 exec, exec, s[68:69]
.LBB6_7040:                             ;   in Loop: Header=BB6_7023 Depth=3
	s_or_b64 exec, exec, s[30:31]
	v_max_f32_e32 v7, v7, v7
	v_max_f32_e32 v6, v6, v6
	;; [unrolled: 1-line block ×3, first 2 shown]
	s_branch .LBB6_7059
.LBB6_7041:                             ;   in Loop: Header=BB6_7023 Depth=3
                                        ; implicit-def: $vgpr6
	s_cbranch_execz .LBB6_7059
; %bb.7042:                             ;   in Loop: Header=BB6_7023 Depth=3
	v_mov_b32_e32 v7, 0
	v_mov_b32_e32 v6, 0
	s_and_saveexec_b64 s[30:31], s[28:29]
	s_cbranch_execz .LBB6_7050
; %bb.7043:                             ;   in Loop: Header=BB6_7023 Depth=3
	v_cmp_ne_u16_sdwa vcc, sext(v20), s94 src0_sel:BYTE_0 src1_sel:DWORD
	v_bfrev_b32_e32 v6, 1
	s_and_saveexec_b64 s[28:29], vcc
	s_cbranch_execz .LBB6_7049
; %bb.7044:                             ;   in Loop: Header=BB6_7023 Depth=3
	v_and_b32_e32 v6, 0x7c, v20
	v_and_b32_e32 v12, 3, v20
	v_cmp_ne_u32_e32 vcc, s95, v6
                                        ; implicit-def: $vgpr6
	s_and_saveexec_b64 s[68:69], vcc
	s_xor_b64 s[68:69], exec, s[68:69]
	s_cbranch_execz .LBB6_7046
; %bb.7045:                             ;   in Loop: Header=BB6_7023 Depth=3
	v_ffbh_u32_e32 v13, v12
	v_min_u32_e32 v13, 32, v13
	v_subrev_u32_e32 v14, 29, v13
	v_bfe_u32 v6, v20, 2, 5
	v_lshlrev_b64 v[14:15], v14, v[20:21]
	v_sub_u32_e32 v13, 30, v13
	v_and_b32_e32 v14, 3, v14
	v_cmp_eq_u32_e32 vcc, 0, v6
	v_cndmask_b32_e32 v6, v6, v13, vcc
	v_cndmask_b32_e32 v12, v12, v14, vcc
	v_bfrev_b32_e32 v14, 28
	v_lshlrev_b32_e32 v13, 24, v20
	v_lshl_add_u32 v6, v6, 23, v14
	v_and_or_b32 v6, v13, s96, v6
	v_lshl_or_b32 v6, v12, 21, v6
                                        ; implicit-def: $vgpr12
.LBB6_7046:                             ;   in Loop: Header=BB6_7023 Depth=3
	s_andn2_saveexec_b64 s[68:69], s[68:69]
; %bb.7047:                             ;   in Loop: Header=BB6_7023 Depth=3
	v_mov_b32_e32 v6, -1
	v_cmp_gt_i16_sdwa vcc, sext(v20), v6 src0_sel:BYTE_0 src1_sel:DWORD
	v_mov_b32_e32 v6, 0xc7600000
	v_mov_b32_e32 v13, 0x47600000
	v_cndmask_b32_e32 v6, v6, v13, vcc
	v_cmp_eq_u32_e32 vcc, 0, v12
	v_mov_b32_e32 v12, 0x7f800001
	v_cndmask_b32_e32 v6, v12, v6, vcc
; %bb.7048:                             ;   in Loop: Header=BB6_7023 Depth=3
	s_or_b64 exec, exec, s[68:69]
.LBB6_7049:                             ;   in Loop: Header=BB6_7023 Depth=3
	s_or_b64 exec, exec, s[28:29]
.LBB6_7050:                             ;   in Loop: Header=BB6_7023 Depth=3
	s_or_b64 exec, exec, s[30:31]
	v_cmp_ne_u16_sdwa vcc, sext(v16), v51 src0_sel:BYTE_0 src1_sel:DWORD
	s_and_saveexec_b64 s[28:29], vcc
	s_cbranch_execz .LBB6_7058
; %bb.7051:                             ;   in Loop: Header=BB6_7023 Depth=3
	v_cmp_ne_u16_sdwa vcc, sext(v16), s94 src0_sel:BYTE_0 src1_sel:DWORD
	v_bfrev_b32_e32 v7, 1
	s_and_saveexec_b64 s[30:31], vcc
	s_cbranch_execz .LBB6_7057
; %bb.7052:                             ;   in Loop: Header=BB6_7023 Depth=3
	v_and_b32_e32 v7, 0x7c, v16
	v_and_b32_e32 v12, 3, v16
	v_cmp_ne_u32_e32 vcc, s95, v7
                                        ; implicit-def: $vgpr7
	s_and_saveexec_b64 s[68:69], vcc
	s_xor_b64 s[68:69], exec, s[68:69]
	s_cbranch_execz .LBB6_7054
; %bb.7053:                             ;   in Loop: Header=BB6_7023 Depth=3
	v_ffbh_u32_e32 v13, v12
	v_min_u32_e32 v13, 32, v13
	v_subrev_u32_e32 v14, 29, v13
	v_bfe_u32 v7, v16, 2, 5
	v_lshlrev_b64 v[14:15], v14, v[16:17]
	v_sub_u32_e32 v13, 30, v13
	v_and_b32_e32 v14, 3, v14
	v_cmp_eq_u32_e32 vcc, 0, v7
	v_cndmask_b32_e32 v7, v7, v13, vcc
	v_cndmask_b32_e32 v12, v12, v14, vcc
	v_bfrev_b32_e32 v14, 28
	v_lshlrev_b32_e32 v13, 24, v16
	v_lshl_add_u32 v7, v7, 23, v14
	v_and_or_b32 v7, v13, s96, v7
	v_lshl_or_b32 v7, v12, 21, v7
                                        ; implicit-def: $vgpr12
.LBB6_7054:                             ;   in Loop: Header=BB6_7023 Depth=3
	s_andn2_saveexec_b64 s[68:69], s[68:69]
; %bb.7055:                             ;   in Loop: Header=BB6_7023 Depth=3
	v_mov_b32_e32 v7, -1
	v_cmp_gt_i16_sdwa vcc, sext(v16), v7 src0_sel:BYTE_0 src1_sel:DWORD
	v_mov_b32_e32 v7, 0xc7600000
	v_mov_b32_e32 v13, 0x47600000
	v_cndmask_b32_e32 v7, v7, v13, vcc
	v_cmp_eq_u32_e32 vcc, 0, v12
	v_mov_b32_e32 v12, 0x7f800001
	v_cndmask_b32_e32 v7, v12, v7, vcc
; %bb.7056:                             ;   in Loop: Header=BB6_7023 Depth=3
	s_or_b64 exec, exec, s[68:69]
.LBB6_7057:                             ;   in Loop: Header=BB6_7023 Depth=3
	s_or_b64 exec, exec, s[30:31]
.LBB6_7058:                             ;   in Loop: Header=BB6_7023 Depth=3
	s_or_b64 exec, exec, s[28:29]
	v_max_f32_e32 v7, v7, v7
	v_max_f32_e32 v6, v6, v6
	v_min_f32_e32 v6, v6, v7
.LBB6_7059:                             ;   in Loop: Header=BB6_7023 Depth=3
	v_and_b32_sdwa v12, v6, s97 dst_sel:DWORD dst_unused:UNUSED_PAD src0_sel:BYTE_3 src1_sel:DWORD
	v_and_b32_e32 v14, 0x7f800000, v6
	v_mov_b32_e32 v15, v51
	v_and_b32_e32 v50, 0x7fffff, v6
	v_or_b32_e32 v28, 0x7b, v12
	v_cmp_ne_u64_e32 vcc, s[52:53], v[14:15]
	s_and_saveexec_b64 s[28:29], vcc
	s_xor_b64 s[30:31], exec, s[28:29]
	s_cbranch_execz .LBB6_7069
; %bb.7060:                             ;   in Loop: Header=BB6_7023 Depth=3
	v_and_b32_e32 v14, 0x7fffffff, v6
	v_mov_b32_e32 v15, v51
	v_cmp_gt_u64_e32 vcc, s[54:55], v[14:15]
	s_and_saveexec_b64 s[68:69], vcc
	s_cbranch_execz .LBB6_7068
; %bb.7061:                             ;   in Loop: Header=BB6_7023 Depth=3
	v_cmp_ne_u32_e32 vcc, 0, v6
	v_mov_b32_e32 v28, 0
	s_and_saveexec_b64 s[70:71], vcc
	s_cbranch_execz .LBB6_7067
; %bb.7062:                             ;   in Loop: Header=BB6_7023 Depth=3
	v_bfe_u32 v6, v6, 23, 8
	v_cmp_eq_u32_e32 vcc, 0, v6
	v_add_u32_e32 v7, 0xffffff81, v6
	v_cmp_gt_u32_e64 s[28:29], s38, v6
	v_sub_u32_e32 v6, 0x71, v6
	v_mov_b32_e32 v14, 0xffffff82
	v_cndmask_b32_e64 v6, 0, v6, s[28:29]
	v_cndmask_b32_e32 v28, v7, v14, vcc
	v_mov_b32_e32 v7, 0x70
	v_cndmask_b32_e32 v29, v6, v7, vcc
	v_add_u32_e32 v6, 21, v29
	v_or_b32_e32 v13, 0x800000, v50
	v_lshlrev_b64 v[6:7], v6, -1
	v_cndmask_b32_e32 v50, v13, v50, vcc
	v_not_b32_e32 v7, v7
	v_not_b32_e32 v6, v6
	v_add_u32_e32 v13, 20, v29
	v_and_b32_e32 v7, 0, v7
	v_and_b32_e32 v6, v50, v6
	v_lshlrev_b64 v[14:15], v13, 1
	v_cmp_eq_u64_e32 vcc, v[6:7], v[14:15]
	v_lshrrev_b64 v[6:7], v29, v[50:51]
	v_lshrrev_b32_e32 v13, 23, v6
	v_add3_u32 v15, v29, v28, v13
	v_bfe_u32 v13, v6, 21, 1
	v_add_u32_e32 v13, -1, v13
	v_cndmask_b32_e32 v13, 0, v13, vcc
	v_add_u32_e32 v13, v13, v6
	v_and_b32_e32 v13, 0x1fffff, v13
	v_add_co_u32_e32 v6, vcc, v13, v6
	v_add_u32_e32 v14, 14, v15
	v_addc_co_u32_e32 v7, vcc, 0, v7, vcc
	v_cmp_ne_u32_e32 vcc, 0, v14
                                        ; implicit-def: $vgpr13
	s_and_saveexec_b64 s[28:29], vcc
	s_xor_b64 s[28:29], exec, s[28:29]
; %bb.7063:                             ;   in Loop: Header=BB6_7023 Depth=3
	v_add_u32_e32 v13, 15, v15
	v_cmp_lt_u64_e32 vcc, s[56:57], v[6:7]
	v_cndmask_b32_e32 v13, v14, v13, vcc
	v_cndmask_b32_e64 v14, 0, 1, vcc
	v_lshrrev_b64 v[6:7], v14, v[6:7]
; %bb.7064:                             ;   in Loop: Header=BB6_7023 Depth=3
	s_andn2_saveexec_b64 s[28:29], s[28:29]
; %bb.7065:                             ;   in Loop: Header=BB6_7023 Depth=3
	v_bfe_u32 v13, v6, 23, 1
; %bb.7066:                             ;   in Loop: Header=BB6_7023 Depth=3
	s_or_b64 exec, exec, s[28:29]
	v_lshrrev_b64 v[6:7], 21, v[6:7]
	v_cmp_gt_i32_e32 vcc, 32, v13
	v_cndmask_b32_e32 v7, 0, v7, vcc
	v_cndmask_b32_e32 v6, 3, v6, vcc
	v_cmp_eq_u64_e64 s[28:29], 0, v[6:7]
	v_min_i32_e32 v7, 31, v13
	v_cmp_eq_u32_e32 vcc, 0, v13
	v_lshlrev_b32_e32 v7, 2, v7
	v_and_or_b32 v6, v6, 3, v7
	s_and_b64 s[28:29], vcc, s[28:29]
	v_cndmask_b32_e64 v6, v6, 0, s[28:29]
	v_or_b32_e32 v28, v6, v12
.LBB6_7067:                             ;   in Loop: Header=BB6_7023 Depth=3
	s_or_b64 exec, exec, s[70:71]
.LBB6_7068:                             ;   in Loop: Header=BB6_7023 Depth=3
	s_or_b64 exec, exec, s[68:69]
                                        ; implicit-def: $vgpr6
.LBB6_7069:                             ;   in Loop: Header=BB6_7023 Depth=3
	s_andn2_saveexec_b64 s[28:29], s[30:31]
; %bb.7070:                             ;   in Loop: Header=BB6_7023 Depth=3
	v_or_b32_sdwa v6, v6, s39 dst_sel:DWORD dst_unused:UNUSED_PAD src0_sel:BYTE_3 src1_sel:DWORD
	v_cmp_eq_u64_e32 vcc, 0, v[50:51]
	v_cndmask_b32_e32 v28, v6, v28, vcc
; %bb.7071:                             ;   in Loop: Header=BB6_7023 Depth=3
	s_or_b64 exec, exec, s[28:29]
	v_lshrrev_b16_e32 v50, 8, v20
	v_lshrrev_b16_e32 v6, 8, v16
	v_cmp_ne_u16_e64 s[28:29], 0, v50
	s_and_b64 vcc, exec, s[66:67]
	s_cbranch_vccz .LBB6_7089
; %bb.7072:                             ;   in Loop: Header=BB6_7023 Depth=3
	v_mov_b32_e32 v7, 0
	v_mov_b32_e32 v12, 0
	s_and_saveexec_b64 s[30:31], s[28:29]
	s_cbranch_execz .LBB6_7080
; %bb.7073:                             ;   in Loop: Header=BB6_7023 Depth=3
	v_cmp_ne_u16_e32 vcc, s97, v50
	v_bfrev_b32_e32 v12, 1
	s_and_saveexec_b64 s[68:69], vcc
	s_cbranch_execz .LBB6_7079
; %bb.7074:                             ;   in Loop: Header=BB6_7023 Depth=3
	v_and_b32_e32 v12, 0x7c, v50
	v_and_b32_e32 v13, 3, v50
	v_cmp_ne_u32_e32 vcc, s95, v12
                                        ; implicit-def: $vgpr12
	s_and_saveexec_b64 s[70:71], vcc
	s_xor_b64 s[70:71], exec, s[70:71]
	s_cbranch_execz .LBB6_7076
; %bb.7075:                             ;   in Loop: Header=BB6_7023 Depth=3
	v_ffbh_u32_e32 v14, v13
	v_min_u32_e32 v29, 32, v14
	v_subrev_u32_e32 v14, 29, v29
	v_bfe_u32 v12, v50, 2, 5
	v_lshlrev_b64 v[14:15], v14, v[50:51]
	v_sub_u32_e32 v15, 30, v29
	v_cmp_eq_u32_e32 vcc, 0, v12
	v_and_b32_e32 v14, 3, v14
	v_cndmask_b32_e32 v12, v12, v15, vcc
	v_bfrev_b32_e32 v15, 28
	v_cndmask_b32_e32 v13, v13, v14, vcc
	v_lshlrev_b32_e32 v14, 16, v20
	v_lshl_add_u32 v12, v12, 23, v15
	v_and_or_b32 v12, v14, s96, v12
	v_lshl_or_b32 v12, v13, 21, v12
                                        ; implicit-def: $vgpr13
.LBB6_7076:                             ;   in Loop: Header=BB6_7023 Depth=3
	s_andn2_saveexec_b64 s[70:71], s[70:71]
; %bb.7077:                             ;   in Loop: Header=BB6_7023 Depth=3
	v_cmp_lt_i16_e32 vcc, -1, v20
	v_mov_b32_e32 v12, 0xc7600000
	v_mov_b32_e32 v14, 0x47600000
	v_cndmask_b32_e32 v12, v12, v14, vcc
	v_cmp_eq_u32_e32 vcc, 0, v13
	v_mov_b32_e32 v13, 0x7f800001
	v_cndmask_b32_e32 v12, v13, v12, vcc
; %bb.7078:                             ;   in Loop: Header=BB6_7023 Depth=3
	s_or_b64 exec, exec, s[70:71]
.LBB6_7079:                             ;   in Loop: Header=BB6_7023 Depth=3
	s_or_b64 exec, exec, s[68:69]
.LBB6_7080:                             ;   in Loop: Header=BB6_7023 Depth=3
	s_or_b64 exec, exec, s[30:31]
	v_cmp_ne_u16_e32 vcc, 0, v6
	s_and_saveexec_b64 s[30:31], vcc
	s_cbranch_execz .LBB6_7088
; %bb.7081:                             ;   in Loop: Header=BB6_7023 Depth=3
	v_cmp_ne_u16_e32 vcc, s97, v6
	v_bfrev_b32_e32 v7, 1
	s_and_saveexec_b64 s[68:69], vcc
	s_cbranch_execz .LBB6_7087
; %bb.7082:                             ;   in Loop: Header=BB6_7023 Depth=3
	v_and_b32_e32 v7, 0x7c, v6
	v_and_b32_e32 v13, 3, v6
	v_cmp_ne_u32_e32 vcc, s95, v7
                                        ; implicit-def: $vgpr7
	s_and_saveexec_b64 s[70:71], vcc
	s_xor_b64 s[70:71], exec, s[70:71]
	s_cbranch_execz .LBB6_7084
; %bb.7083:                             ;   in Loop: Header=BB6_7023 Depth=3
	v_ffbh_u32_e32 v14, v13
	v_min_u32_e32 v30, 32, v14
	v_mov_b32_e32 v7, v51
	v_bfe_u32 v29, v6, 2, 5
	v_subrev_u32_e32 v14, 29, v30
	v_lshlrev_b64 v[14:15], v14, v[6:7]
	v_sub_u32_e32 v7, 30, v30
	v_cmp_eq_u32_e32 vcc, 0, v29
	v_and_b32_e32 v14, 3, v14
	v_cndmask_b32_e32 v7, v29, v7, vcc
	v_bfrev_b32_e32 v15, 28
	v_cndmask_b32_e32 v13, v13, v14, vcc
	v_lshlrev_b32_e32 v14, 16, v16
	v_lshl_add_u32 v7, v7, 23, v15
	v_and_or_b32 v7, v14, s96, v7
	v_lshl_or_b32 v7, v13, 21, v7
                                        ; implicit-def: $vgpr13
.LBB6_7084:                             ;   in Loop: Header=BB6_7023 Depth=3
	s_andn2_saveexec_b64 s[70:71], s[70:71]
; %bb.7085:                             ;   in Loop: Header=BB6_7023 Depth=3
	v_cmp_lt_i16_e32 vcc, -1, v16
	v_mov_b32_e32 v7, 0xc7600000
	v_mov_b32_e32 v14, 0x47600000
	v_cndmask_b32_e32 v7, v7, v14, vcc
	v_cmp_eq_u32_e32 vcc, 0, v13
	v_mov_b32_e32 v13, 0x7f800001
	v_cndmask_b32_e32 v7, v13, v7, vcc
; %bb.7086:                             ;   in Loop: Header=BB6_7023 Depth=3
	s_or_b64 exec, exec, s[70:71]
.LBB6_7087:                             ;   in Loop: Header=BB6_7023 Depth=3
	s_or_b64 exec, exec, s[68:69]
.LBB6_7088:                             ;   in Loop: Header=BB6_7023 Depth=3
	s_or_b64 exec, exec, s[30:31]
	v_max_f32_e32 v7, v7, v7
	v_max_f32_e32 v12, v12, v12
	v_max_f32_e32 v7, v12, v7
	s_branch .LBB6_7107
.LBB6_7089:                             ;   in Loop: Header=BB6_7023 Depth=3
                                        ; implicit-def: $vgpr7
	s_cbranch_execz .LBB6_7107
; %bb.7090:                             ;   in Loop: Header=BB6_7023 Depth=3
	v_mov_b32_e32 v7, 0
	v_mov_b32_e32 v12, 0
	s_and_saveexec_b64 s[30:31], s[28:29]
	s_cbranch_execz .LBB6_7098
; %bb.7091:                             ;   in Loop: Header=BB6_7023 Depth=3
	v_cmp_ne_u16_e32 vcc, s97, v50
	v_bfrev_b32_e32 v12, 1
	s_and_saveexec_b64 s[28:29], vcc
	s_cbranch_execz .LBB6_7097
; %bb.7092:                             ;   in Loop: Header=BB6_7023 Depth=3
	v_and_b32_e32 v12, 0x7c, v50
	v_and_b32_e32 v13, 3, v50
	v_cmp_ne_u32_e32 vcc, s95, v12
                                        ; implicit-def: $vgpr12
	s_and_saveexec_b64 s[68:69], vcc
	s_xor_b64 s[68:69], exec, s[68:69]
	s_cbranch_execz .LBB6_7094
; %bb.7093:                             ;   in Loop: Header=BB6_7023 Depth=3
	v_ffbh_u32_e32 v14, v13
	v_min_u32_e32 v29, 32, v14
	v_subrev_u32_e32 v14, 29, v29
	v_bfe_u32 v12, v50, 2, 5
	v_lshlrev_b64 v[14:15], v14, v[50:51]
	v_sub_u32_e32 v15, 30, v29
	v_cmp_eq_u32_e32 vcc, 0, v12
	v_and_b32_e32 v14, 3, v14
	v_cndmask_b32_e32 v12, v12, v15, vcc
	v_bfrev_b32_e32 v15, 28
	v_cndmask_b32_e32 v13, v13, v14, vcc
	v_lshlrev_b32_e32 v14, 16, v20
	v_lshl_add_u32 v12, v12, 23, v15
	v_and_or_b32 v12, v14, s96, v12
	v_lshl_or_b32 v12, v13, 21, v12
                                        ; implicit-def: $vgpr13
.LBB6_7094:                             ;   in Loop: Header=BB6_7023 Depth=3
	s_andn2_saveexec_b64 s[68:69], s[68:69]
; %bb.7095:                             ;   in Loop: Header=BB6_7023 Depth=3
	v_cmp_lt_i16_e32 vcc, -1, v20
	v_mov_b32_e32 v12, 0xc7600000
	v_mov_b32_e32 v14, 0x47600000
	v_cndmask_b32_e32 v12, v12, v14, vcc
	v_cmp_eq_u32_e32 vcc, 0, v13
	v_mov_b32_e32 v13, 0x7f800001
	v_cndmask_b32_e32 v12, v13, v12, vcc
; %bb.7096:                             ;   in Loop: Header=BB6_7023 Depth=3
	s_or_b64 exec, exec, s[68:69]
.LBB6_7097:                             ;   in Loop: Header=BB6_7023 Depth=3
	s_or_b64 exec, exec, s[28:29]
.LBB6_7098:                             ;   in Loop: Header=BB6_7023 Depth=3
	s_or_b64 exec, exec, s[30:31]
	v_cmp_ne_u16_e32 vcc, 0, v6
	s_and_saveexec_b64 s[28:29], vcc
	s_cbranch_execz .LBB6_7106
; %bb.7099:                             ;   in Loop: Header=BB6_7023 Depth=3
	v_cmp_ne_u16_e32 vcc, s97, v6
	v_bfrev_b32_e32 v7, 1
	s_and_saveexec_b64 s[30:31], vcc
	s_cbranch_execz .LBB6_7105
; %bb.7100:                             ;   in Loop: Header=BB6_7023 Depth=3
	v_and_b32_e32 v7, 0x7c, v6
	v_and_b32_e32 v13, 3, v6
	v_cmp_ne_u32_e32 vcc, s95, v7
                                        ; implicit-def: $vgpr7
	s_and_saveexec_b64 s[68:69], vcc
	s_xor_b64 s[68:69], exec, s[68:69]
	s_cbranch_execz .LBB6_7102
; %bb.7101:                             ;   in Loop: Header=BB6_7023 Depth=3
	v_ffbh_u32_e32 v15, v13
	v_min_u32_e32 v15, 32, v15
	v_mov_b32_e32 v7, v51
	v_subrev_u32_e32 v29, 29, v15
	v_bfe_u32 v14, v6, 2, 5
	v_lshlrev_b64 v[6:7], v29, v[6:7]
	v_sub_u32_e32 v7, 30, v15
	v_cmp_eq_u32_e32 vcc, 0, v14
	v_and_b32_e32 v6, 3, v6
	v_cndmask_b32_e32 v7, v14, v7, vcc
	v_bfrev_b32_e32 v14, 28
	v_cndmask_b32_e32 v6, v13, v6, vcc
	v_lshlrev_b32_e32 v13, 16, v16
	v_lshl_add_u32 v7, v7, 23, v14
	v_and_or_b32 v7, v13, s96, v7
	v_lshl_or_b32 v7, v6, 21, v7
                                        ; implicit-def: $vgpr13
.LBB6_7102:                             ;   in Loop: Header=BB6_7023 Depth=3
	s_andn2_saveexec_b64 s[68:69], s[68:69]
; %bb.7103:                             ;   in Loop: Header=BB6_7023 Depth=3
	v_cmp_lt_i16_e32 vcc, -1, v16
	v_mov_b32_e32 v6, 0xc7600000
	v_mov_b32_e32 v7, 0x47600000
	v_cndmask_b32_e32 v6, v6, v7, vcc
	v_cmp_eq_u32_e32 vcc, 0, v13
	v_mov_b32_e32 v7, 0x7f800001
	v_cndmask_b32_e32 v7, v7, v6, vcc
; %bb.7104:                             ;   in Loop: Header=BB6_7023 Depth=3
	s_or_b64 exec, exec, s[68:69]
.LBB6_7105:                             ;   in Loop: Header=BB6_7023 Depth=3
	s_or_b64 exec, exec, s[30:31]
.LBB6_7106:                             ;   in Loop: Header=BB6_7023 Depth=3
	s_or_b64 exec, exec, s[28:29]
	v_max_f32_e32 v6, v7, v7
	v_max_f32_e32 v7, v12, v12
	v_min_f32_e32 v7, v7, v6
.LBB6_7107:                             ;   in Loop: Header=BB6_7023 Depth=3
	v_and_b32_sdwa v12, v7, s97 dst_sel:DWORD dst_unused:UNUSED_PAD src0_sel:BYTE_3 src1_sel:DWORD
	v_and_b32_e32 v14, 0x7f800000, v7
	v_mov_b32_e32 v15, v51
	v_and_b32_e32 v50, 0x7fffff, v7
	v_or_b32_e32 v29, 0x7b, v12
	v_cmp_ne_u64_e32 vcc, s[52:53], v[14:15]
	s_and_saveexec_b64 s[28:29], vcc
	s_xor_b64 s[30:31], exec, s[28:29]
	s_cbranch_execz .LBB6_7117
; %bb.7108:                             ;   in Loop: Header=BB6_7023 Depth=3
	v_and_b32_e32 v14, 0x7fffffff, v7
	v_mov_b32_e32 v15, v51
	v_cmp_gt_u64_e32 vcc, s[54:55], v[14:15]
	s_and_saveexec_b64 s[68:69], vcc
	s_cbranch_execz .LBB6_7116
; %bb.7109:                             ;   in Loop: Header=BB6_7023 Depth=3
	v_cmp_ne_u32_e32 vcc, 0, v7
	v_mov_b32_e32 v29, 0
	s_and_saveexec_b64 s[70:71], vcc
	s_cbranch_execz .LBB6_7115
; %bb.7110:                             ;   in Loop: Header=BB6_7023 Depth=3
	v_bfe_u32 v6, v7, 23, 8
	v_cmp_eq_u32_e32 vcc, 0, v6
	v_add_u32_e32 v7, 0xffffff81, v6
	v_cmp_gt_u32_e64 s[28:29], s38, v6
	v_sub_u32_e32 v6, 0x71, v6
	v_mov_b32_e32 v14, 0xffffff82
	v_cndmask_b32_e64 v6, 0, v6, s[28:29]
	v_cndmask_b32_e32 v29, v7, v14, vcc
	v_mov_b32_e32 v7, 0x70
	v_cndmask_b32_e32 v30, v6, v7, vcc
	v_add_u32_e32 v6, 21, v30
	v_or_b32_e32 v13, 0x800000, v50
	v_lshlrev_b64 v[6:7], v6, -1
	v_cndmask_b32_e32 v50, v13, v50, vcc
	v_not_b32_e32 v7, v7
	v_not_b32_e32 v6, v6
	v_add_u32_e32 v13, 20, v30
	v_and_b32_e32 v7, 0, v7
	v_and_b32_e32 v6, v50, v6
	v_lshlrev_b64 v[14:15], v13, 1
	v_cmp_eq_u64_e32 vcc, v[6:7], v[14:15]
	v_lshrrev_b64 v[6:7], v30, v[50:51]
	v_lshrrev_b32_e32 v13, 23, v6
	v_add3_u32 v15, v30, v29, v13
	v_bfe_u32 v13, v6, 21, 1
	v_add_u32_e32 v13, -1, v13
	v_cndmask_b32_e32 v13, 0, v13, vcc
	v_add_u32_e32 v13, v13, v6
	v_and_b32_e32 v13, 0x1fffff, v13
	v_add_co_u32_e32 v6, vcc, v13, v6
	v_add_u32_e32 v14, 14, v15
	v_addc_co_u32_e32 v7, vcc, 0, v7, vcc
	v_cmp_ne_u32_e32 vcc, 0, v14
                                        ; implicit-def: $vgpr13
	s_and_saveexec_b64 s[28:29], vcc
	s_xor_b64 s[28:29], exec, s[28:29]
; %bb.7111:                             ;   in Loop: Header=BB6_7023 Depth=3
	v_add_u32_e32 v13, 15, v15
	v_cmp_lt_u64_e32 vcc, s[56:57], v[6:7]
	v_cndmask_b32_e32 v13, v14, v13, vcc
	v_cndmask_b32_e64 v14, 0, 1, vcc
	v_lshrrev_b64 v[6:7], v14, v[6:7]
; %bb.7112:                             ;   in Loop: Header=BB6_7023 Depth=3
	s_andn2_saveexec_b64 s[28:29], s[28:29]
; %bb.7113:                             ;   in Loop: Header=BB6_7023 Depth=3
	v_bfe_u32 v13, v6, 23, 1
; %bb.7114:                             ;   in Loop: Header=BB6_7023 Depth=3
	s_or_b64 exec, exec, s[28:29]
	v_lshrrev_b64 v[6:7], 21, v[6:7]
	v_cmp_gt_i32_e32 vcc, 32, v13
	v_cndmask_b32_e32 v7, 0, v7, vcc
	v_cndmask_b32_e32 v6, 3, v6, vcc
	v_cmp_eq_u64_e64 s[28:29], 0, v[6:7]
	v_min_i32_e32 v7, 31, v13
	v_cmp_eq_u32_e32 vcc, 0, v13
	v_lshlrev_b32_e32 v7, 2, v7
	v_and_or_b32 v6, v6, 3, v7
	s_and_b64 s[28:29], vcc, s[28:29]
	v_cndmask_b32_e64 v6, v6, 0, s[28:29]
	v_or_b32_e32 v29, v6, v12
.LBB6_7115:                             ;   in Loop: Header=BB6_7023 Depth=3
	s_or_b64 exec, exec, s[70:71]
.LBB6_7116:                             ;   in Loop: Header=BB6_7023 Depth=3
	s_or_b64 exec, exec, s[68:69]
                                        ; implicit-def: $vgpr7
.LBB6_7117:                             ;   in Loop: Header=BB6_7023 Depth=3
	s_andn2_saveexec_b64 s[28:29], s[30:31]
; %bb.7118:                             ;   in Loop: Header=BB6_7023 Depth=3
	v_or_b32_sdwa v6, v7, s39 dst_sel:DWORD dst_unused:UNUSED_PAD src0_sel:BYTE_3 src1_sel:DWORD
	v_cmp_eq_u64_e32 vcc, 0, v[50:51]
	v_cndmask_b32_e32 v29, v6, v29, vcc
; %bb.7119:                             ;   in Loop: Header=BB6_7023 Depth=3
	s_or_b64 exec, exec, s[28:29]
	v_lshrrev_b32_e32 v12, 16, v20
	v_lshrrev_b32_e32 v6, 16, v16
	v_cmp_ne_u16_sdwa s[28:29], v12, v51 src0_sel:BYTE_0 src1_sel:DWORD
	s_and_b64 vcc, exec, s[66:67]
	s_cbranch_vccz .LBB6_7137
; %bb.7120:                             ;   in Loop: Header=BB6_7023 Depth=3
	v_mov_b32_e32 v13, 0
	v_mov_b32_e32 v7, 0
	s_and_saveexec_b64 s[30:31], s[28:29]
	s_cbranch_execz .LBB6_7128
; %bb.7121:                             ;   in Loop: Header=BB6_7023 Depth=3
	v_cmp_ne_u16_sdwa vcc, v12, s97 src0_sel:BYTE_0 src1_sel:DWORD
	v_bfrev_b32_e32 v7, 1
	s_and_saveexec_b64 s[68:69], vcc
	s_cbranch_execz .LBB6_7127
; %bb.7122:                             ;   in Loop: Header=BB6_7023 Depth=3
	v_and_b32_e32 v7, 0x7c0000, v20
	v_bfe_u32 v14, v20, 16, 2
	v_cmp_ne_u32_e32 vcc, s36, v7
                                        ; implicit-def: $vgpr7
	s_and_saveexec_b64 s[70:71], vcc
	s_xor_b64 s[70:71], exec, s[70:71]
	s_cbranch_execz .LBB6_7124
; %bb.7123:                             ;   in Loop: Header=BB6_7023 Depth=3
	v_ffbh_u32_e32 v15, v14
	v_min_u32_e32 v15, 32, v15
	v_subrev_u32_e32 v30, 29, v15
	v_bfe_u32 v7, v20, 18, 5
	v_lshlrev_b64 v[30:31], v30, v[12:13]
	v_sub_u32_e32 v15, 30, v15
	v_and_b32_e32 v30, 3, v30
	v_cmp_eq_u32_e32 vcc, 0, v7
	v_cndmask_b32_e32 v7, v7, v15, vcc
	v_cndmask_b32_e32 v14, v14, v30, vcc
	v_bfrev_b32_e32 v30, 28
	v_lshlrev_b32_e32 v15, 24, v12
	v_lshl_add_u32 v7, v7, 23, v30
	v_and_or_b32 v7, v15, s96, v7
	v_lshl_or_b32 v7, v14, 21, v7
                                        ; implicit-def: $vgpr14
.LBB6_7124:                             ;   in Loop: Header=BB6_7023 Depth=3
	s_andn2_saveexec_b64 s[70:71], s[70:71]
; %bb.7125:                             ;   in Loop: Header=BB6_7023 Depth=3
	v_mov_b32_e32 v7, -1
	v_cmp_gt_i16_sdwa vcc, sext(v12), v7 src0_sel:BYTE_0 src1_sel:DWORD
	v_mov_b32_e32 v7, 0xc7600000
	v_mov_b32_e32 v15, 0x47600000
	v_cndmask_b32_e32 v7, v7, v15, vcc
	v_cmp_eq_u32_e32 vcc, 0, v14
	v_mov_b32_e32 v14, 0x7f800001
	v_cndmask_b32_e32 v7, v14, v7, vcc
; %bb.7126:                             ;   in Loop: Header=BB6_7023 Depth=3
	s_or_b64 exec, exec, s[70:71]
.LBB6_7127:                             ;   in Loop: Header=BB6_7023 Depth=3
	s_or_b64 exec, exec, s[68:69]
.LBB6_7128:                             ;   in Loop: Header=BB6_7023 Depth=3
	s_or_b64 exec, exec, s[30:31]
	v_cmp_ne_u16_sdwa vcc, v6, v51 src0_sel:BYTE_0 src1_sel:DWORD
	s_and_saveexec_b64 s[30:31], vcc
	s_cbranch_execz .LBB6_7136
; %bb.7129:                             ;   in Loop: Header=BB6_7023 Depth=3
	v_cmp_ne_u16_sdwa vcc, v6, s97 src0_sel:BYTE_0 src1_sel:DWORD
	v_bfrev_b32_e32 v13, 1
	s_and_saveexec_b64 s[68:69], vcc
	s_cbranch_execz .LBB6_7135
; %bb.7130:                             ;   in Loop: Header=BB6_7023 Depth=3
	v_and_b32_e32 v13, 0x7c0000, v16
	v_bfe_u32 v14, v16, 16, 2
	v_cmp_ne_u32_e32 vcc, s36, v13
                                        ; implicit-def: $vgpr13
	s_and_saveexec_b64 s[70:71], vcc
	s_xor_b64 s[70:71], exec, s[70:71]
	s_cbranch_execz .LBB6_7132
; %bb.7131:                             ;   in Loop: Header=BB6_7023 Depth=3
	v_ffbh_u32_e32 v15, v14
	v_min_u32_e32 v15, 32, v15
	v_subrev_u32_e32 v30, 29, v15
	v_bfe_u32 v13, v16, 18, 5
	v_lshlrev_b64 v[30:31], v30, v[6:7]
	v_sub_u32_e32 v15, 30, v15
	v_and_b32_e32 v30, 3, v30
	v_cmp_eq_u32_e32 vcc, 0, v13
	v_cndmask_b32_e32 v13, v13, v15, vcc
	v_cndmask_b32_e32 v14, v14, v30, vcc
	v_bfrev_b32_e32 v30, 28
	v_lshlrev_b32_e32 v15, 24, v6
	v_lshl_add_u32 v13, v13, 23, v30
	v_and_or_b32 v13, v15, s96, v13
	v_lshl_or_b32 v13, v14, 21, v13
                                        ; implicit-def: $vgpr14
.LBB6_7132:                             ;   in Loop: Header=BB6_7023 Depth=3
	s_andn2_saveexec_b64 s[70:71], s[70:71]
; %bb.7133:                             ;   in Loop: Header=BB6_7023 Depth=3
	v_mov_b32_e32 v13, -1
	v_cmp_gt_i16_sdwa vcc, sext(v6), v13 src0_sel:BYTE_0 src1_sel:DWORD
	v_mov_b32_e32 v13, 0xc7600000
	v_mov_b32_e32 v15, 0x47600000
	v_cndmask_b32_e32 v13, v13, v15, vcc
	v_cmp_eq_u32_e32 vcc, 0, v14
	v_mov_b32_e32 v14, 0x7f800001
	v_cndmask_b32_e32 v13, v14, v13, vcc
; %bb.7134:                             ;   in Loop: Header=BB6_7023 Depth=3
	s_or_b64 exec, exec, s[70:71]
.LBB6_7135:                             ;   in Loop: Header=BB6_7023 Depth=3
	s_or_b64 exec, exec, s[68:69]
.LBB6_7136:                             ;   in Loop: Header=BB6_7023 Depth=3
	s_or_b64 exec, exec, s[30:31]
	v_max_f32_e32 v13, v13, v13
	v_max_f32_e32 v7, v7, v7
	;; [unrolled: 1-line block ×3, first 2 shown]
	s_branch .LBB6_7155
.LBB6_7137:                             ;   in Loop: Header=BB6_7023 Depth=3
                                        ; implicit-def: $vgpr7
	s_cbranch_execz .LBB6_7155
; %bb.7138:                             ;   in Loop: Header=BB6_7023 Depth=3
	v_mov_b32_e32 v13, 0
	v_mov_b32_e32 v7, 0
	s_and_saveexec_b64 s[30:31], s[28:29]
	s_cbranch_execz .LBB6_7146
; %bb.7139:                             ;   in Loop: Header=BB6_7023 Depth=3
	v_cmp_ne_u16_sdwa vcc, v12, s97 src0_sel:BYTE_0 src1_sel:DWORD
	v_bfrev_b32_e32 v7, 1
	s_and_saveexec_b64 s[28:29], vcc
	s_cbranch_execz .LBB6_7145
; %bb.7140:                             ;   in Loop: Header=BB6_7023 Depth=3
	v_and_b32_e32 v7, 0x7c0000, v20
	v_bfe_u32 v14, v20, 16, 2
	v_cmp_ne_u32_e32 vcc, s36, v7
                                        ; implicit-def: $vgpr7
	s_and_saveexec_b64 s[68:69], vcc
	s_xor_b64 s[68:69], exec, s[68:69]
	s_cbranch_execz .LBB6_7142
; %bb.7141:                             ;   in Loop: Header=BB6_7023 Depth=3
	v_ffbh_u32_e32 v15, v14
	v_bfe_u32 v7, v20, 18, 5
	v_min_u32_e32 v15, 32, v15
	v_subrev_u32_e32 v30, 29, v15
	v_sub_u32_e32 v15, 30, v15
	v_cmp_eq_u32_e32 vcc, 0, v7
	v_lshlrev_b64 v[30:31], v30, v[12:13]
	v_cndmask_b32_e32 v7, v7, v15, vcc
	v_bfrev_b32_e32 v15, 28
	v_and_b32_e32 v30, 3, v30
	v_lshlrev_b32_e32 v12, 24, v12
	v_lshl_add_u32 v7, v7, 23, v15
	v_cndmask_b32_e32 v14, v14, v30, vcc
	v_and_or_b32 v7, v12, s96, v7
	v_lshl_or_b32 v7, v14, 21, v7
                                        ; implicit-def: $vgpr14
                                        ; implicit-def: $vgpr12
.LBB6_7142:                             ;   in Loop: Header=BB6_7023 Depth=3
	s_andn2_saveexec_b64 s[68:69], s[68:69]
; %bb.7143:                             ;   in Loop: Header=BB6_7023 Depth=3
	v_mov_b32_e32 v7, -1
	v_cmp_gt_i16_sdwa vcc, sext(v12), v7 src0_sel:BYTE_0 src1_sel:DWORD
	v_mov_b32_e32 v7, 0xc7600000
	v_mov_b32_e32 v12, 0x47600000
	v_cndmask_b32_e32 v7, v7, v12, vcc
	v_cmp_eq_u32_e32 vcc, 0, v14
	v_mov_b32_e32 v12, 0x7f800001
	v_cndmask_b32_e32 v7, v12, v7, vcc
; %bb.7144:                             ;   in Loop: Header=BB6_7023 Depth=3
	s_or_b64 exec, exec, s[68:69]
.LBB6_7145:                             ;   in Loop: Header=BB6_7023 Depth=3
	s_or_b64 exec, exec, s[28:29]
.LBB6_7146:                             ;   in Loop: Header=BB6_7023 Depth=3
	s_or_b64 exec, exec, s[30:31]
	v_cmp_ne_u16_sdwa vcc, v6, v51 src0_sel:BYTE_0 src1_sel:DWORD
	s_and_saveexec_b64 s[28:29], vcc
	s_cbranch_execz .LBB6_7154
; %bb.7147:                             ;   in Loop: Header=BB6_7023 Depth=3
	v_cmp_ne_u16_sdwa vcc, v6, s97 src0_sel:BYTE_0 src1_sel:DWORD
	v_bfrev_b32_e32 v13, 1
	s_and_saveexec_b64 s[30:31], vcc
	s_cbranch_execz .LBB6_7153
; %bb.7148:                             ;   in Loop: Header=BB6_7023 Depth=3
	v_and_b32_e32 v13, 0x7c0000, v16
	v_bfe_u32 v12, v16, 16, 2
	v_cmp_ne_u32_e32 vcc, s36, v13
                                        ; implicit-def: $vgpr13
	s_and_saveexec_b64 s[68:69], vcc
	s_xor_b64 s[68:69], exec, s[68:69]
	s_cbranch_execz .LBB6_7150
; %bb.7149:                             ;   in Loop: Header=BB6_7023 Depth=3
	v_ffbh_u32_e32 v14, v12
	v_min_u32_e32 v30, 32, v14
	v_subrev_u32_e32 v14, 29, v30
	v_bfe_u32 v13, v16, 18, 5
	v_lshlrev_b64 v[14:15], v14, v[6:7]
	v_sub_u32_e32 v15, 30, v30
	v_and_b32_e32 v14, 3, v14
	v_cmp_eq_u32_e32 vcc, 0, v13
	v_cndmask_b32_e32 v13, v13, v15, vcc
	v_cndmask_b32_e32 v12, v12, v14, vcc
	v_bfrev_b32_e32 v14, 28
	v_lshlrev_b32_e32 v6, 24, v6
	v_lshl_add_u32 v13, v13, 23, v14
	v_and_or_b32 v6, v6, s96, v13
	v_lshl_or_b32 v13, v12, 21, v6
                                        ; implicit-def: $vgpr12
                                        ; implicit-def: $vgpr6
.LBB6_7150:                             ;   in Loop: Header=BB6_7023 Depth=3
	s_andn2_saveexec_b64 s[68:69], s[68:69]
; %bb.7151:                             ;   in Loop: Header=BB6_7023 Depth=3
	v_mov_b32_e32 v13, -1
	v_cmp_gt_i16_sdwa vcc, sext(v6), v13 src0_sel:BYTE_0 src1_sel:DWORD
	v_mov_b32_e32 v6, 0xc7600000
	v_mov_b32_e32 v13, 0x47600000
	v_cndmask_b32_e32 v6, v6, v13, vcc
	v_cmp_eq_u32_e32 vcc, 0, v12
	v_mov_b32_e32 v12, 0x7f800001
	v_cndmask_b32_e32 v13, v12, v6, vcc
; %bb.7152:                             ;   in Loop: Header=BB6_7023 Depth=3
	s_or_b64 exec, exec, s[68:69]
.LBB6_7153:                             ;   in Loop: Header=BB6_7023 Depth=3
	s_or_b64 exec, exec, s[30:31]
.LBB6_7154:                             ;   in Loop: Header=BB6_7023 Depth=3
	s_or_b64 exec, exec, s[28:29]
	v_max_f32_e32 v6, v13, v13
	v_max_f32_e32 v7, v7, v7
	v_min_f32_e32 v7, v7, v6
.LBB6_7155:                             ;   in Loop: Header=BB6_7023 Depth=3
	v_and_b32_sdwa v12, v7, s97 dst_sel:DWORD dst_unused:UNUSED_PAD src0_sel:BYTE_3 src1_sel:DWORD
	v_and_b32_e32 v14, 0x7f800000, v7
	v_mov_b32_e32 v15, v51
	v_and_b32_e32 v50, 0x7fffff, v7
	v_or_b32_e32 v30, 0x7b, v12
	v_cmp_ne_u64_e32 vcc, s[52:53], v[14:15]
	s_and_saveexec_b64 s[28:29], vcc
	s_xor_b64 s[30:31], exec, s[28:29]
	s_cbranch_execz .LBB6_7165
; %bb.7156:                             ;   in Loop: Header=BB6_7023 Depth=3
	v_and_b32_e32 v14, 0x7fffffff, v7
	v_mov_b32_e32 v15, v51
	v_cmp_gt_u64_e32 vcc, s[54:55], v[14:15]
	s_and_saveexec_b64 s[68:69], vcc
	s_cbranch_execz .LBB6_7164
; %bb.7157:                             ;   in Loop: Header=BB6_7023 Depth=3
	v_cmp_ne_u32_e32 vcc, 0, v7
	v_mov_b32_e32 v30, 0
	s_and_saveexec_b64 s[70:71], vcc
	s_cbranch_execz .LBB6_7163
; %bb.7158:                             ;   in Loop: Header=BB6_7023 Depth=3
	v_bfe_u32 v6, v7, 23, 8
	v_cmp_eq_u32_e32 vcc, 0, v6
	v_add_u32_e32 v7, 0xffffff81, v6
	v_cmp_gt_u32_e64 s[28:29], s38, v6
	v_sub_u32_e32 v6, 0x71, v6
	v_mov_b32_e32 v14, 0xffffff82
	v_cndmask_b32_e64 v6, 0, v6, s[28:29]
	v_cndmask_b32_e32 v30, v7, v14, vcc
	v_mov_b32_e32 v7, 0x70
	v_cndmask_b32_e32 v31, v6, v7, vcc
	v_add_u32_e32 v6, 21, v31
	v_or_b32_e32 v13, 0x800000, v50
	v_lshlrev_b64 v[6:7], v6, -1
	v_cndmask_b32_e32 v50, v13, v50, vcc
	v_not_b32_e32 v7, v7
	v_not_b32_e32 v6, v6
	v_add_u32_e32 v13, 20, v31
	v_and_b32_e32 v7, 0, v7
	v_and_b32_e32 v6, v50, v6
	v_lshlrev_b64 v[14:15], v13, 1
	v_cmp_eq_u64_e32 vcc, v[6:7], v[14:15]
	v_lshrrev_b64 v[6:7], v31, v[50:51]
	v_lshrrev_b32_e32 v13, 23, v6
	v_add3_u32 v15, v31, v30, v13
	v_bfe_u32 v13, v6, 21, 1
	v_add_u32_e32 v13, -1, v13
	v_cndmask_b32_e32 v13, 0, v13, vcc
	v_add_u32_e32 v13, v13, v6
	v_and_b32_e32 v13, 0x1fffff, v13
	v_add_co_u32_e32 v6, vcc, v13, v6
	v_add_u32_e32 v14, 14, v15
	v_addc_co_u32_e32 v7, vcc, 0, v7, vcc
	v_cmp_ne_u32_e32 vcc, 0, v14
                                        ; implicit-def: $vgpr13
	s_and_saveexec_b64 s[28:29], vcc
	s_xor_b64 s[28:29], exec, s[28:29]
; %bb.7159:                             ;   in Loop: Header=BB6_7023 Depth=3
	v_add_u32_e32 v13, 15, v15
	v_cmp_lt_u64_e32 vcc, s[56:57], v[6:7]
	v_cndmask_b32_e32 v13, v14, v13, vcc
	v_cndmask_b32_e64 v14, 0, 1, vcc
	v_lshrrev_b64 v[6:7], v14, v[6:7]
; %bb.7160:                             ;   in Loop: Header=BB6_7023 Depth=3
	s_andn2_saveexec_b64 s[28:29], s[28:29]
; %bb.7161:                             ;   in Loop: Header=BB6_7023 Depth=3
	v_bfe_u32 v13, v6, 23, 1
; %bb.7162:                             ;   in Loop: Header=BB6_7023 Depth=3
	s_or_b64 exec, exec, s[28:29]
	v_lshrrev_b64 v[6:7], 21, v[6:7]
	v_cmp_gt_i32_e32 vcc, 32, v13
	v_cndmask_b32_e32 v7, 0, v7, vcc
	v_cndmask_b32_e32 v6, 3, v6, vcc
	v_cmp_eq_u64_e64 s[28:29], 0, v[6:7]
	v_min_i32_e32 v7, 31, v13
	v_cmp_eq_u32_e32 vcc, 0, v13
	v_lshlrev_b32_e32 v7, 2, v7
	v_and_or_b32 v6, v6, 3, v7
	s_and_b64 s[28:29], vcc, s[28:29]
	v_cndmask_b32_e64 v6, v6, 0, s[28:29]
	v_or_b32_e32 v30, v6, v12
.LBB6_7163:                             ;   in Loop: Header=BB6_7023 Depth=3
	s_or_b64 exec, exec, s[70:71]
.LBB6_7164:                             ;   in Loop: Header=BB6_7023 Depth=3
	s_or_b64 exec, exec, s[68:69]
                                        ; implicit-def: $vgpr7
.LBB6_7165:                             ;   in Loop: Header=BB6_7023 Depth=3
	s_andn2_saveexec_b64 s[28:29], s[30:31]
; %bb.7166:                             ;   in Loop: Header=BB6_7023 Depth=3
	v_or_b32_sdwa v6, v7, s39 dst_sel:DWORD dst_unused:UNUSED_PAD src0_sel:BYTE_3 src1_sel:DWORD
	v_cmp_eq_u64_e32 vcc, 0, v[50:51]
	v_cndmask_b32_e32 v30, v6, v30, vcc
; %bb.7167:                             ;   in Loop: Header=BB6_7023 Depth=3
	s_or_b64 exec, exec, s[28:29]
	v_lshrrev_b32_e32 v12, 24, v20
	v_lshrrev_b32_e32 v6, 24, v16
	v_cmp_lt_u32_e64 s[28:29], s43, v20
	s_and_b64 vcc, exec, s[66:67]
	s_cbranch_vccz .LBB6_7185
; %bb.7168:                             ;   in Loop: Header=BB6_7023 Depth=3
	v_mov_b32_e32 v13, 0
	v_mov_b32_e32 v7, 0
	s_and_saveexec_b64 s[30:31], s[28:29]
	s_cbranch_execz .LBB6_7176
; %bb.7169:                             ;   in Loop: Header=BB6_7023 Depth=3
	v_cmp_ne_u32_e32 vcc, s97, v12
	v_bfrev_b32_e32 v7, 1
	s_and_saveexec_b64 s[68:69], vcc
	s_cbranch_execz .LBB6_7175
; %bb.7170:                             ;   in Loop: Header=BB6_7023 Depth=3
	v_and_b32_e32 v7, 0x7c000000, v20
	v_bfe_u32 v14, v20, 24, 2
	v_cmp_ne_u32_e32 vcc, s37, v7
                                        ; implicit-def: $vgpr7
	s_and_saveexec_b64 s[70:71], vcc
	s_xor_b64 s[70:71], exec, s[70:71]
	s_cbranch_execz .LBB6_7172
; %bb.7171:                             ;   in Loop: Header=BB6_7023 Depth=3
	v_ffbh_u32_e32 v15, v14
	v_bfe_u32 v7, v20, 26, 5
	v_min_u32_e32 v15, 32, v15
	v_subrev_u32_e32 v31, 29, v15
	v_sub_u32_e32 v15, 30, v15
	v_cmp_eq_u32_e32 vcc, 0, v7
	v_lshlrev_b64 v[32:33], v31, v[12:13]
	v_cndmask_b32_e32 v7, v7, v15, vcc
	v_bfrev_b32_e32 v15, 28
	v_and_b32_e32 v31, 3, v32
	v_lshl_add_u32 v7, v7, 23, v15
	v_cndmask_b32_e32 v14, v14, v31, vcc
	v_and_or_b32 v7, v20, s96, v7
	v_lshl_or_b32 v7, v14, 21, v7
                                        ; implicit-def: $vgpr14
.LBB6_7172:                             ;   in Loop: Header=BB6_7023 Depth=3
	s_andn2_saveexec_b64 s[70:71], s[70:71]
; %bb.7173:                             ;   in Loop: Header=BB6_7023 Depth=3
	v_cmp_lt_i32_e32 vcc, -1, v20
	v_mov_b32_e32 v7, 0xc7600000
	v_mov_b32_e32 v15, 0x47600000
	v_cndmask_b32_e32 v7, v7, v15, vcc
	v_cmp_eq_u32_e32 vcc, 0, v14
	v_mov_b32_e32 v14, 0x7f800001
	v_cndmask_b32_e32 v7, v14, v7, vcc
; %bb.7174:                             ;   in Loop: Header=BB6_7023 Depth=3
	s_or_b64 exec, exec, s[70:71]
.LBB6_7175:                             ;   in Loop: Header=BB6_7023 Depth=3
	s_or_b64 exec, exec, s[68:69]
.LBB6_7176:                             ;   in Loop: Header=BB6_7023 Depth=3
	s_or_b64 exec, exec, s[30:31]
	v_cmp_lt_u32_e32 vcc, s43, v16
	s_and_saveexec_b64 s[30:31], vcc
	s_cbranch_execz .LBB6_7184
; %bb.7177:                             ;   in Loop: Header=BB6_7023 Depth=3
	v_cmp_ne_u32_e32 vcc, s97, v6
	v_bfrev_b32_e32 v13, 1
	s_and_saveexec_b64 s[68:69], vcc
	s_cbranch_execz .LBB6_7183
; %bb.7178:                             ;   in Loop: Header=BB6_7023 Depth=3
	v_and_b32_e32 v13, 0x7c000000, v16
	v_bfe_u32 v14, v16, 24, 2
	v_cmp_ne_u32_e32 vcc, s37, v13
                                        ; implicit-def: $vgpr13
	s_and_saveexec_b64 s[70:71], vcc
	s_xor_b64 s[70:71], exec, s[70:71]
	s_cbranch_execz .LBB6_7180
; %bb.7179:                             ;   in Loop: Header=BB6_7023 Depth=3
	v_ffbh_u32_e32 v15, v14
	v_bfe_u32 v13, v16, 26, 5
	v_min_u32_e32 v15, 32, v15
	v_subrev_u32_e32 v31, 29, v15
	v_sub_u32_e32 v15, 30, v15
	v_cmp_eq_u32_e32 vcc, 0, v13
	v_lshlrev_b64 v[32:33], v31, v[6:7]
	v_cndmask_b32_e32 v13, v13, v15, vcc
	v_bfrev_b32_e32 v15, 28
	v_and_b32_e32 v31, 3, v32
	v_lshl_add_u32 v13, v13, 23, v15
	v_cndmask_b32_e32 v14, v14, v31, vcc
	v_and_or_b32 v13, v16, s96, v13
	v_lshl_or_b32 v13, v14, 21, v13
                                        ; implicit-def: $vgpr14
.LBB6_7180:                             ;   in Loop: Header=BB6_7023 Depth=3
	s_andn2_saveexec_b64 s[70:71], s[70:71]
; %bb.7181:                             ;   in Loop: Header=BB6_7023 Depth=3
	v_cmp_lt_i32_e32 vcc, -1, v16
	v_mov_b32_e32 v13, 0xc7600000
	v_mov_b32_e32 v15, 0x47600000
	v_cndmask_b32_e32 v13, v13, v15, vcc
	v_cmp_eq_u32_e32 vcc, 0, v14
	v_mov_b32_e32 v14, 0x7f800001
	v_cndmask_b32_e32 v13, v14, v13, vcc
; %bb.7182:                             ;   in Loop: Header=BB6_7023 Depth=3
	s_or_b64 exec, exec, s[70:71]
.LBB6_7183:                             ;   in Loop: Header=BB6_7023 Depth=3
	s_or_b64 exec, exec, s[68:69]
.LBB6_7184:                             ;   in Loop: Header=BB6_7023 Depth=3
	s_or_b64 exec, exec, s[30:31]
	v_max_f32_e32 v13, v13, v13
	v_max_f32_e32 v7, v7, v7
	;; [unrolled: 1-line block ×3, first 2 shown]
	s_branch .LBB6_7203
.LBB6_7185:                             ;   in Loop: Header=BB6_7023 Depth=3
                                        ; implicit-def: $vgpr7
	s_cbranch_execz .LBB6_7203
; %bb.7186:                             ;   in Loop: Header=BB6_7023 Depth=3
	v_mov_b32_e32 v13, 0
	v_mov_b32_e32 v7, 0
	s_and_saveexec_b64 s[30:31], s[28:29]
	s_cbranch_execz .LBB6_7194
; %bb.7187:                             ;   in Loop: Header=BB6_7023 Depth=3
	v_cmp_ne_u32_e32 vcc, s97, v12
	v_bfrev_b32_e32 v7, 1
	s_and_saveexec_b64 s[28:29], vcc
	s_cbranch_execz .LBB6_7193
; %bb.7188:                             ;   in Loop: Header=BB6_7023 Depth=3
	v_and_b32_e32 v7, 0x7c000000, v20
	v_bfe_u32 v14, v20, 24, 2
	v_cmp_ne_u32_e32 vcc, s37, v7
                                        ; implicit-def: $vgpr7
	s_and_saveexec_b64 s[68:69], vcc
	s_xor_b64 s[68:69], exec, s[68:69]
	s_cbranch_execz .LBB6_7190
; %bb.7189:                             ;   in Loop: Header=BB6_7023 Depth=3
	v_ffbh_u32_e32 v15, v14
	v_min_u32_e32 v15, 32, v15
	v_subrev_u32_e32 v31, 29, v15
	v_bfe_u32 v7, v20, 26, 5
	v_lshlrev_b64 v[32:33], v31, v[12:13]
	v_sub_u32_e32 v12, 30, v15
	v_and_b32_e32 v15, 3, v32
	v_cmp_eq_u32_e32 vcc, 0, v7
	v_cndmask_b32_e32 v7, v7, v12, vcc
	v_cndmask_b32_e32 v12, v14, v15, vcc
	v_bfrev_b32_e32 v14, 28
	v_lshl_add_u32 v7, v7, 23, v14
	v_and_or_b32 v7, v20, s96, v7
	v_lshl_or_b32 v7, v12, 21, v7
                                        ; implicit-def: $vgpr14
.LBB6_7190:                             ;   in Loop: Header=BB6_7023 Depth=3
	s_andn2_saveexec_b64 s[68:69], s[68:69]
; %bb.7191:                             ;   in Loop: Header=BB6_7023 Depth=3
	v_cmp_lt_i32_e32 vcc, -1, v20
	v_mov_b32_e32 v7, 0xc7600000
	v_mov_b32_e32 v12, 0x47600000
	v_cndmask_b32_e32 v7, v7, v12, vcc
	v_cmp_eq_u32_e32 vcc, 0, v14
	v_mov_b32_e32 v12, 0x7f800001
	v_cndmask_b32_e32 v7, v12, v7, vcc
; %bb.7192:                             ;   in Loop: Header=BB6_7023 Depth=3
	s_or_b64 exec, exec, s[68:69]
.LBB6_7193:                             ;   in Loop: Header=BB6_7023 Depth=3
	s_or_b64 exec, exec, s[28:29]
.LBB6_7194:                             ;   in Loop: Header=BB6_7023 Depth=3
	s_or_b64 exec, exec, s[30:31]
	v_cmp_lt_u32_e32 vcc, s43, v16
	s_and_saveexec_b64 s[28:29], vcc
	s_cbranch_execz .LBB6_7202
; %bb.7195:                             ;   in Loop: Header=BB6_7023 Depth=3
	v_cmp_ne_u32_e32 vcc, s97, v6
	v_bfrev_b32_e32 v13, 1
	s_and_saveexec_b64 s[30:31], vcc
	s_cbranch_execz .LBB6_7201
; %bb.7196:                             ;   in Loop: Header=BB6_7023 Depth=3
	v_and_b32_e32 v13, 0x7c000000, v16
	v_bfe_u32 v12, v16, 24, 2
	v_cmp_ne_u32_e32 vcc, s37, v13
                                        ; implicit-def: $vgpr13
	s_and_saveexec_b64 s[68:69], vcc
	s_xor_b64 s[68:69], exec, s[68:69]
	s_cbranch_execz .LBB6_7198
; %bb.7197:                             ;   in Loop: Header=BB6_7023 Depth=3
	v_ffbh_u32_e32 v14, v12
	v_min_u32_e32 v31, 32, v14
	v_bfe_u32 v13, v16, 26, 5
	v_subrev_u32_e32 v14, 29, v31
	v_lshlrev_b64 v[14:15], v14, v[6:7]
	v_sub_u32_e32 v6, 30, v31
	v_cmp_eq_u32_e32 vcc, 0, v13
	v_cndmask_b32_e32 v6, v13, v6, vcc
	v_bfrev_b32_e32 v13, 28
	v_and_b32_e32 v14, 3, v14
	v_lshl_add_u32 v6, v6, 23, v13
	v_cndmask_b32_e32 v12, v12, v14, vcc
	v_and_or_b32 v6, v16, s96, v6
	v_lshl_or_b32 v13, v12, 21, v6
                                        ; implicit-def: $vgpr12
.LBB6_7198:                             ;   in Loop: Header=BB6_7023 Depth=3
	s_andn2_saveexec_b64 s[68:69], s[68:69]
; %bb.7199:                             ;   in Loop: Header=BB6_7023 Depth=3
	v_cmp_lt_i32_e32 vcc, -1, v16
	v_mov_b32_e32 v6, 0xc7600000
	v_mov_b32_e32 v13, 0x47600000
	v_cndmask_b32_e32 v6, v6, v13, vcc
	v_cmp_eq_u32_e32 vcc, 0, v12
	v_mov_b32_e32 v12, 0x7f800001
	v_cndmask_b32_e32 v13, v12, v6, vcc
; %bb.7200:                             ;   in Loop: Header=BB6_7023 Depth=3
	s_or_b64 exec, exec, s[68:69]
.LBB6_7201:                             ;   in Loop: Header=BB6_7023 Depth=3
	s_or_b64 exec, exec, s[30:31]
.LBB6_7202:                             ;   in Loop: Header=BB6_7023 Depth=3
	s_or_b64 exec, exec, s[28:29]
	v_max_f32_e32 v6, v13, v13
	v_max_f32_e32 v7, v7, v7
	v_min_f32_e32 v7, v7, v6
.LBB6_7203:                             ;   in Loop: Header=BB6_7023 Depth=3
	v_and_b32_sdwa v12, v7, s97 dst_sel:DWORD dst_unused:UNUSED_PAD src0_sel:BYTE_3 src1_sel:DWORD
	v_and_b32_e32 v14, 0x7f800000, v7
	v_mov_b32_e32 v15, v51
	v_and_b32_e32 v50, 0x7fffff, v7
	v_or_b32_e32 v31, 0x7b, v12
	v_cmp_ne_u64_e32 vcc, s[52:53], v[14:15]
	s_and_saveexec_b64 s[28:29], vcc
	s_xor_b64 s[30:31], exec, s[28:29]
	s_cbranch_execz .LBB6_7213
; %bb.7204:                             ;   in Loop: Header=BB6_7023 Depth=3
	v_and_b32_e32 v14, 0x7fffffff, v7
	v_mov_b32_e32 v15, v51
	v_cmp_gt_u64_e32 vcc, s[54:55], v[14:15]
	s_and_saveexec_b64 s[68:69], vcc
	s_cbranch_execz .LBB6_7212
; %bb.7205:                             ;   in Loop: Header=BB6_7023 Depth=3
	v_cmp_ne_u32_e32 vcc, 0, v7
	v_mov_b32_e32 v31, 0
	s_and_saveexec_b64 s[70:71], vcc
	s_cbranch_execz .LBB6_7211
; %bb.7206:                             ;   in Loop: Header=BB6_7023 Depth=3
	v_bfe_u32 v6, v7, 23, 8
	v_cmp_eq_u32_e32 vcc, 0, v6
	v_add_u32_e32 v7, 0xffffff81, v6
	v_cmp_gt_u32_e64 s[28:29], s38, v6
	v_sub_u32_e32 v6, 0x71, v6
	v_mov_b32_e32 v14, 0xffffff82
	v_cndmask_b32_e64 v6, 0, v6, s[28:29]
	v_cndmask_b32_e32 v31, v7, v14, vcc
	v_mov_b32_e32 v7, 0x70
	v_cndmask_b32_e32 v32, v6, v7, vcc
	v_add_u32_e32 v6, 21, v32
	v_or_b32_e32 v13, 0x800000, v50
	v_lshlrev_b64 v[6:7], v6, -1
	v_cndmask_b32_e32 v50, v13, v50, vcc
	v_not_b32_e32 v7, v7
	v_not_b32_e32 v6, v6
	v_add_u32_e32 v13, 20, v32
	v_and_b32_e32 v7, 0, v7
	v_and_b32_e32 v6, v50, v6
	v_lshlrev_b64 v[14:15], v13, 1
	v_cmp_eq_u64_e32 vcc, v[6:7], v[14:15]
	v_lshrrev_b64 v[6:7], v32, v[50:51]
	v_lshrrev_b32_e32 v13, 23, v6
	v_add3_u32 v15, v32, v31, v13
	v_bfe_u32 v13, v6, 21, 1
	v_add_u32_e32 v13, -1, v13
	v_cndmask_b32_e32 v13, 0, v13, vcc
	v_add_u32_e32 v13, v13, v6
	v_and_b32_e32 v13, 0x1fffff, v13
	v_add_co_u32_e32 v6, vcc, v13, v6
	v_add_u32_e32 v14, 14, v15
	v_addc_co_u32_e32 v7, vcc, 0, v7, vcc
	v_cmp_ne_u32_e32 vcc, 0, v14
                                        ; implicit-def: $vgpr13
	s_and_saveexec_b64 s[28:29], vcc
	s_xor_b64 s[28:29], exec, s[28:29]
; %bb.7207:                             ;   in Loop: Header=BB6_7023 Depth=3
	v_add_u32_e32 v13, 15, v15
	v_cmp_lt_u64_e32 vcc, s[56:57], v[6:7]
	v_cndmask_b32_e32 v13, v14, v13, vcc
	v_cndmask_b32_e64 v14, 0, 1, vcc
	v_lshrrev_b64 v[6:7], v14, v[6:7]
; %bb.7208:                             ;   in Loop: Header=BB6_7023 Depth=3
	s_andn2_saveexec_b64 s[28:29], s[28:29]
; %bb.7209:                             ;   in Loop: Header=BB6_7023 Depth=3
	v_bfe_u32 v13, v6, 23, 1
; %bb.7210:                             ;   in Loop: Header=BB6_7023 Depth=3
	s_or_b64 exec, exec, s[28:29]
	v_lshrrev_b64 v[6:7], 21, v[6:7]
	v_cmp_gt_i32_e32 vcc, 32, v13
	v_cndmask_b32_e32 v7, 0, v7, vcc
	v_cndmask_b32_e32 v6, 3, v6, vcc
	v_cmp_eq_u64_e64 s[28:29], 0, v[6:7]
	v_min_i32_e32 v7, 31, v13
	v_cmp_eq_u32_e32 vcc, 0, v13
	v_lshlrev_b32_e32 v7, 2, v7
	v_and_or_b32 v6, v6, 3, v7
	s_and_b64 s[28:29], vcc, s[28:29]
	v_cndmask_b32_e64 v6, v6, 0, s[28:29]
	v_or_b32_e32 v31, v6, v12
.LBB6_7211:                             ;   in Loop: Header=BB6_7023 Depth=3
	s_or_b64 exec, exec, s[70:71]
.LBB6_7212:                             ;   in Loop: Header=BB6_7023 Depth=3
	s_or_b64 exec, exec, s[68:69]
                                        ; implicit-def: $vgpr7
.LBB6_7213:                             ;   in Loop: Header=BB6_7023 Depth=3
	s_andn2_saveexec_b64 s[28:29], s[30:31]
; %bb.7214:                             ;   in Loop: Header=BB6_7023 Depth=3
	v_or_b32_sdwa v6, v7, s39 dst_sel:DWORD dst_unused:UNUSED_PAD src0_sel:BYTE_3 src1_sel:DWORD
	v_cmp_eq_u64_e32 vcc, 0, v[50:51]
	v_cndmask_b32_e32 v31, v6, v31, vcc
; %bb.7215:                             ;   in Loop: Header=BB6_7023 Depth=3
	s_or_b64 exec, exec, s[28:29]
	v_mov_b32_e32 v50, v21
	v_mov_b32_e32 v6, v17
	;; [unrolled: 1-line block ×3, first 2 shown]
	v_cmp_ne_u16_sdwa s[28:29], v21, v51 src0_sel:BYTE_0 src1_sel:DWORD
	s_and_b64 vcc, exec, s[66:67]
	s_cbranch_vccz .LBB6_7233
; %bb.7216:                             ;   in Loop: Header=BB6_7023 Depth=3
	v_mov_b32_e32 v13, 0
	v_mov_b32_e32 v12, 0
	s_and_saveexec_b64 s[30:31], s[28:29]
	s_cbranch_execz .LBB6_7224
; %bb.7217:                             ;   in Loop: Header=BB6_7023 Depth=3
	v_cmp_ne_u16_sdwa vcc, v21, s97 src0_sel:BYTE_0 src1_sel:DWORD
	v_bfrev_b32_e32 v12, 1
	s_and_saveexec_b64 s[68:69], vcc
	s_cbranch_execz .LBB6_7223
; %bb.7218:                             ;   in Loop: Header=BB6_7023 Depth=3
	v_and_b32_e32 v12, 0x7c, v21
	v_and_b32_e32 v14, 3, v21
	v_cmp_ne_u32_e32 vcc, s95, v12
                                        ; implicit-def: $vgpr12
	s_and_saveexec_b64 s[70:71], vcc
	s_xor_b64 s[70:71], exec, s[70:71]
	s_cbranch_execz .LBB6_7220
; %bb.7219:                             ;   in Loop: Header=BB6_7023 Depth=3
	v_ffbh_u32_e32 v15, v14
	v_min_u32_e32 v15, 32, v15
	v_subrev_u32_e32 v32, 29, v15
	v_bfe_u32 v12, v21, 2, 5
	v_lshlrev_b64 v[32:33], v32, v[50:51]
	v_sub_u32_e32 v15, 30, v15
	v_and_b32_e32 v32, 3, v32
	v_cmp_eq_u32_e32 vcc, 0, v12
	v_cndmask_b32_e32 v12, v12, v15, vcc
	v_cndmask_b32_e32 v14, v14, v32, vcc
	v_bfrev_b32_e32 v32, 28
	v_lshlrev_b32_e32 v15, 24, v21
	v_lshl_add_u32 v12, v12, 23, v32
	v_and_or_b32 v12, v15, s96, v12
	v_lshl_or_b32 v12, v14, 21, v12
                                        ; implicit-def: $vgpr14
.LBB6_7220:                             ;   in Loop: Header=BB6_7023 Depth=3
	s_andn2_saveexec_b64 s[70:71], s[70:71]
; %bb.7221:                             ;   in Loop: Header=BB6_7023 Depth=3
	v_mov_b32_e32 v12, -1
	v_cmp_gt_i16_sdwa vcc, sext(v21), v12 src0_sel:BYTE_0 src1_sel:DWORD
	v_mov_b32_e32 v12, 0xc7600000
	v_mov_b32_e32 v15, 0x47600000
	v_cndmask_b32_e32 v12, v12, v15, vcc
	v_cmp_eq_u32_e32 vcc, 0, v14
	v_mov_b32_e32 v14, 0x7f800001
	v_cndmask_b32_e32 v12, v14, v12, vcc
; %bb.7222:                             ;   in Loop: Header=BB6_7023 Depth=3
	s_or_b64 exec, exec, s[70:71]
.LBB6_7223:                             ;   in Loop: Header=BB6_7023 Depth=3
	s_or_b64 exec, exec, s[68:69]
.LBB6_7224:                             ;   in Loop: Header=BB6_7023 Depth=3
	s_or_b64 exec, exec, s[30:31]
	v_cmp_ne_u16_sdwa vcc, v17, v51 src0_sel:BYTE_0 src1_sel:DWORD
	s_and_saveexec_b64 s[30:31], vcc
	s_cbranch_execz .LBB6_7232
; %bb.7225:                             ;   in Loop: Header=BB6_7023 Depth=3
	v_cmp_ne_u16_sdwa vcc, v17, s97 src0_sel:BYTE_0 src1_sel:DWORD
	v_bfrev_b32_e32 v13, 1
	s_and_saveexec_b64 s[68:69], vcc
	s_cbranch_execz .LBB6_7231
; %bb.7226:                             ;   in Loop: Header=BB6_7023 Depth=3
	v_and_b32_e32 v13, 0x7c, v17
	v_and_b32_e32 v14, 3, v17
	v_cmp_ne_u32_e32 vcc, s95, v13
                                        ; implicit-def: $vgpr13
	s_and_saveexec_b64 s[70:71], vcc
	s_xor_b64 s[70:71], exec, s[70:71]
	s_cbranch_execz .LBB6_7228
; %bb.7227:                             ;   in Loop: Header=BB6_7023 Depth=3
	v_ffbh_u32_e32 v15, v14
	v_min_u32_e32 v15, 32, v15
	v_subrev_u32_e32 v32, 29, v15
	v_bfe_u32 v13, v17, 2, 5
	v_lshlrev_b64 v[32:33], v32, v[6:7]
	v_sub_u32_e32 v15, 30, v15
	v_and_b32_e32 v32, 3, v32
	v_cmp_eq_u32_e32 vcc, 0, v13
	v_cndmask_b32_e32 v13, v13, v15, vcc
	v_cndmask_b32_e32 v14, v14, v32, vcc
	v_bfrev_b32_e32 v32, 28
	v_lshlrev_b32_e32 v15, 24, v17
	v_lshl_add_u32 v13, v13, 23, v32
	v_and_or_b32 v13, v15, s96, v13
	v_lshl_or_b32 v13, v14, 21, v13
                                        ; implicit-def: $vgpr14
.LBB6_7228:                             ;   in Loop: Header=BB6_7023 Depth=3
	s_andn2_saveexec_b64 s[70:71], s[70:71]
; %bb.7229:                             ;   in Loop: Header=BB6_7023 Depth=3
	v_mov_b32_e32 v13, -1
	v_cmp_gt_i16_sdwa vcc, sext(v17), v13 src0_sel:BYTE_0 src1_sel:DWORD
	v_mov_b32_e32 v13, 0xc7600000
	v_mov_b32_e32 v15, 0x47600000
	v_cndmask_b32_e32 v13, v13, v15, vcc
	v_cmp_eq_u32_e32 vcc, 0, v14
	v_mov_b32_e32 v14, 0x7f800001
	v_cndmask_b32_e32 v13, v14, v13, vcc
; %bb.7230:                             ;   in Loop: Header=BB6_7023 Depth=3
	s_or_b64 exec, exec, s[70:71]
.LBB6_7231:                             ;   in Loop: Header=BB6_7023 Depth=3
	s_or_b64 exec, exec, s[68:69]
.LBB6_7232:                             ;   in Loop: Header=BB6_7023 Depth=3
	s_or_b64 exec, exec, s[30:31]
	v_max_f32_e32 v13, v13, v13
	v_max_f32_e32 v12, v12, v12
	;; [unrolled: 1-line block ×3, first 2 shown]
	s_branch .LBB6_7251
.LBB6_7233:                             ;   in Loop: Header=BB6_7023 Depth=3
                                        ; implicit-def: $vgpr14
	s_cbranch_execz .LBB6_7251
; %bb.7234:                             ;   in Loop: Header=BB6_7023 Depth=3
	v_mov_b32_e32 v13, 0
	v_mov_b32_e32 v12, 0
	s_and_saveexec_b64 s[30:31], s[28:29]
	s_cbranch_execz .LBB6_7242
; %bb.7235:                             ;   in Loop: Header=BB6_7023 Depth=3
	v_cmp_ne_u16_sdwa vcc, v21, s97 src0_sel:BYTE_0 src1_sel:DWORD
	v_bfrev_b32_e32 v12, 1
	s_and_saveexec_b64 s[28:29], vcc
	s_cbranch_execz .LBB6_7241
; %bb.7236:                             ;   in Loop: Header=BB6_7023 Depth=3
	v_and_b32_e32 v12, 0x7c, v21
	v_and_b32_e32 v14, 3, v21
	v_cmp_ne_u32_e32 vcc, s95, v12
                                        ; implicit-def: $vgpr12
	s_and_saveexec_b64 s[68:69], vcc
	s_xor_b64 s[68:69], exec, s[68:69]
	s_cbranch_execz .LBB6_7238
; %bb.7237:                             ;   in Loop: Header=BB6_7023 Depth=3
	v_ffbh_u32_e32 v15, v14
	v_min_u32_e32 v15, 32, v15
	v_subrev_u32_e32 v32, 29, v15
	v_bfe_u32 v12, v21, 2, 5
	v_lshlrev_b64 v[32:33], v32, v[50:51]
	v_sub_u32_e32 v15, 30, v15
	v_and_b32_e32 v32, 3, v32
	v_cmp_eq_u32_e32 vcc, 0, v12
	v_cndmask_b32_e32 v12, v12, v15, vcc
	v_cndmask_b32_e32 v14, v14, v32, vcc
	v_bfrev_b32_e32 v32, 28
	v_lshlrev_b32_e32 v15, 24, v21
	v_lshl_add_u32 v12, v12, 23, v32
	v_and_or_b32 v12, v15, s96, v12
	v_lshl_or_b32 v12, v14, 21, v12
                                        ; implicit-def: $vgpr14
.LBB6_7238:                             ;   in Loop: Header=BB6_7023 Depth=3
	s_andn2_saveexec_b64 s[68:69], s[68:69]
; %bb.7239:                             ;   in Loop: Header=BB6_7023 Depth=3
	v_mov_b32_e32 v12, -1
	v_cmp_gt_i16_sdwa vcc, sext(v21), v12 src0_sel:BYTE_0 src1_sel:DWORD
	v_mov_b32_e32 v12, 0xc7600000
	v_mov_b32_e32 v15, 0x47600000
	v_cndmask_b32_e32 v12, v12, v15, vcc
	v_cmp_eq_u32_e32 vcc, 0, v14
	v_mov_b32_e32 v14, 0x7f800001
	v_cndmask_b32_e32 v12, v14, v12, vcc
; %bb.7240:                             ;   in Loop: Header=BB6_7023 Depth=3
	s_or_b64 exec, exec, s[68:69]
.LBB6_7241:                             ;   in Loop: Header=BB6_7023 Depth=3
	s_or_b64 exec, exec, s[28:29]
.LBB6_7242:                             ;   in Loop: Header=BB6_7023 Depth=3
	s_or_b64 exec, exec, s[30:31]
	v_cmp_ne_u16_sdwa vcc, v17, v51 src0_sel:BYTE_0 src1_sel:DWORD
	s_and_saveexec_b64 s[28:29], vcc
	s_cbranch_execz .LBB6_7250
; %bb.7243:                             ;   in Loop: Header=BB6_7023 Depth=3
	v_cmp_ne_u16_sdwa vcc, v17, s97 src0_sel:BYTE_0 src1_sel:DWORD
	v_bfrev_b32_e32 v13, 1
	s_and_saveexec_b64 s[30:31], vcc
	s_cbranch_execz .LBB6_7249
; %bb.7244:                             ;   in Loop: Header=BB6_7023 Depth=3
	v_and_b32_e32 v13, 0x7c, v17
	v_and_b32_e32 v14, 3, v17
	v_cmp_ne_u32_e32 vcc, s95, v13
                                        ; implicit-def: $vgpr13
	s_and_saveexec_b64 s[68:69], vcc
	s_xor_b64 s[68:69], exec, s[68:69]
	s_cbranch_execz .LBB6_7246
; %bb.7245:                             ;   in Loop: Header=BB6_7023 Depth=3
	v_ffbh_u32_e32 v15, v14
	v_min_u32_e32 v15, 32, v15
	v_subrev_u32_e32 v32, 29, v15
	v_bfe_u32 v13, v17, 2, 5
	v_lshlrev_b64 v[32:33], v32, v[6:7]
	v_sub_u32_e32 v7, 30, v15
	v_and_b32_e32 v15, 3, v32
	v_cmp_eq_u32_e32 vcc, 0, v13
	v_cndmask_b32_e32 v7, v13, v7, vcc
	v_cndmask_b32_e32 v13, v14, v15, vcc
	v_bfrev_b32_e32 v15, 28
	v_lshlrev_b32_e32 v14, 24, v17
	v_lshl_add_u32 v7, v7, 23, v15
	v_and_or_b32 v7, v14, s96, v7
	v_lshl_or_b32 v13, v13, 21, v7
                                        ; implicit-def: $vgpr14
.LBB6_7246:                             ;   in Loop: Header=BB6_7023 Depth=3
	s_andn2_saveexec_b64 s[68:69], s[68:69]
; %bb.7247:                             ;   in Loop: Header=BB6_7023 Depth=3
	v_mov_b32_e32 v7, -1
	v_cmp_gt_i16_sdwa vcc, sext(v17), v7 src0_sel:BYTE_0 src1_sel:DWORD
	v_mov_b32_e32 v7, 0xc7600000
	v_mov_b32_e32 v13, 0x47600000
	v_cndmask_b32_e32 v7, v7, v13, vcc
	v_cmp_eq_u32_e32 vcc, 0, v14
	v_mov_b32_e32 v13, 0x7f800001
	v_cndmask_b32_e32 v13, v13, v7, vcc
; %bb.7248:                             ;   in Loop: Header=BB6_7023 Depth=3
	s_or_b64 exec, exec, s[68:69]
.LBB6_7249:                             ;   in Loop: Header=BB6_7023 Depth=3
	s_or_b64 exec, exec, s[30:31]
.LBB6_7250:                             ;   in Loop: Header=BB6_7023 Depth=3
	s_or_b64 exec, exec, s[28:29]
	v_max_f32_e32 v7, v13, v13
	v_max_f32_e32 v12, v12, v12
	v_min_f32_e32 v14, v12, v7
.LBB6_7251:                             ;   in Loop: Header=BB6_7023 Depth=3
	v_and_b32_sdwa v7, v14, s97 dst_sel:DWORD dst_unused:UNUSED_PAD src0_sel:BYTE_3 src1_sel:DWORD
	v_and_b32_e32 v34, 0x7f800000, v14
	v_mov_b32_e32 v35, v51
	v_and_b32_e32 v12, 0x7fffff, v14
	v_mov_b32_e32 v13, v51
	v_or_b32_e32 v32, 0x7b, v7
	v_cmp_ne_u64_e32 vcc, s[52:53], v[34:35]
	s_and_saveexec_b64 s[28:29], vcc
	s_xor_b64 s[30:31], exec, s[28:29]
	s_cbranch_execz .LBB6_7261
; %bb.7252:                             ;   in Loop: Header=BB6_7023 Depth=3
	v_and_b32_e32 v34, 0x7fffffff, v14
	v_mov_b32_e32 v35, v51
	v_cmp_gt_u64_e32 vcc, s[54:55], v[34:35]
	s_and_saveexec_b64 s[68:69], vcc
	s_cbranch_execz .LBB6_7260
; %bb.7253:                             ;   in Loop: Header=BB6_7023 Depth=3
	v_cmp_ne_u32_e32 vcc, 0, v14
	v_mov_b32_e32 v32, 0
	s_and_saveexec_b64 s[70:71], vcc
	s_cbranch_execz .LBB6_7259
; %bb.7254:                             ;   in Loop: Header=BB6_7023 Depth=3
	v_bfe_u32 v14, v14, 23, 8
	v_cmp_eq_u32_e32 vcc, 0, v14
	v_add_u32_e32 v15, 0xffffff81, v14
	v_cmp_gt_u32_e64 s[28:29], s38, v14
	v_sub_u32_e32 v14, 0x71, v14
	v_mov_b32_e32 v33, 0xffffff82
	v_cndmask_b32_e64 v14, 0, v14, s[28:29]
	v_cndmask_b32_e32 v34, v15, v33, vcc
	v_mov_b32_e32 v15, 0x70
	v_cndmask_b32_e32 v35, v14, v15, vcc
	v_add_u32_e32 v14, 21, v35
	v_or_b32_e32 v32, 0x800000, v12
	v_lshlrev_b64 v[14:15], v14, -1
	v_cndmask_b32_e32 v12, v32, v12, vcc
	v_not_b32_e32 v15, v15
	v_not_b32_e32 v14, v14
	v_add_u32_e32 v32, 20, v35
	v_and_b32_e32 v15, 0, v15
	v_and_b32_e32 v14, v12, v14
	v_lshlrev_b64 v[32:33], v32, 1
	v_lshrrev_b64 v[12:13], v35, v[12:13]
	v_cmp_eq_u64_e32 vcc, v[14:15], v[32:33]
	v_lshrrev_b32_e32 v14, 23, v12
	v_add3_u32 v32, v35, v34, v14
	v_bfe_u32 v14, v12, 21, 1
	v_add_u32_e32 v14, -1, v14
	v_cndmask_b32_e32 v14, 0, v14, vcc
	v_add_u32_e32 v14, v14, v12
	v_and_b32_e32 v14, 0x1fffff, v14
	v_add_co_u32_e32 v12, vcc, v14, v12
	v_add_u32_e32 v15, 14, v32
	v_addc_co_u32_e32 v13, vcc, 0, v13, vcc
	v_cmp_ne_u32_e32 vcc, 0, v15
                                        ; implicit-def: $vgpr14
	s_and_saveexec_b64 s[28:29], vcc
	s_xor_b64 s[28:29], exec, s[28:29]
; %bb.7255:                             ;   in Loop: Header=BB6_7023 Depth=3
	v_add_u32_e32 v14, 15, v32
	v_cmp_lt_u64_e32 vcc, s[56:57], v[12:13]
	v_cndmask_b32_e32 v14, v15, v14, vcc
	v_cndmask_b32_e64 v15, 0, 1, vcc
	v_lshrrev_b64 v[12:13], v15, v[12:13]
; %bb.7256:                             ;   in Loop: Header=BB6_7023 Depth=3
	s_andn2_saveexec_b64 s[28:29], s[28:29]
; %bb.7257:                             ;   in Loop: Header=BB6_7023 Depth=3
	v_bfe_u32 v14, v12, 23, 1
; %bb.7258:                             ;   in Loop: Header=BB6_7023 Depth=3
	s_or_b64 exec, exec, s[28:29]
	v_lshrrev_b64 v[12:13], 21, v[12:13]
	v_cmp_gt_i32_e32 vcc, 32, v14
	v_cndmask_b32_e32 v13, 0, v13, vcc
	v_cndmask_b32_e32 v12, 3, v12, vcc
	v_cmp_eq_u64_e64 s[28:29], 0, v[12:13]
	v_min_i32_e32 v13, 31, v14
	v_cmp_eq_u32_e32 vcc, 0, v14
	v_lshlrev_b32_e32 v13, 2, v13
	v_and_or_b32 v12, v12, 3, v13
	s_and_b64 s[28:29], vcc, s[28:29]
	v_cndmask_b32_e64 v12, v12, 0, s[28:29]
	v_or_b32_e32 v32, v12, v7
.LBB6_7259:                             ;   in Loop: Header=BB6_7023 Depth=3
	s_or_b64 exec, exec, s[70:71]
.LBB6_7260:                             ;   in Loop: Header=BB6_7023 Depth=3
	s_or_b64 exec, exec, s[68:69]
                                        ; implicit-def: $vgpr14
                                        ; implicit-def: $vgpr12_vgpr13
.LBB6_7261:                             ;   in Loop: Header=BB6_7023 Depth=3
	s_andn2_saveexec_b64 s[28:29], s[30:31]
; %bb.7262:                             ;   in Loop: Header=BB6_7023 Depth=3
	v_or_b32_sdwa v7, v14, s39 dst_sel:DWORD dst_unused:UNUSED_PAD src0_sel:BYTE_3 src1_sel:DWORD
	v_cmp_eq_u64_e32 vcc, 0, v[12:13]
	v_cndmask_b32_e32 v32, v7, v32, vcc
; %bb.7263:                             ;   in Loop: Header=BB6_7023 Depth=3
	s_or_b64 exec, exec, s[28:29]
	v_lshrrev_b16_e32 v14, 8, v50
	v_lshrrev_b16_e32 v12, 8, v6
	v_cmp_ne_u16_e64 s[28:29], 0, v14
	s_and_b64 vcc, exec, s[66:67]
	s_cbranch_vccz .LBB6_7281
; %bb.7264:                             ;   in Loop: Header=BB6_7023 Depth=3
	v_mov_b32_e32 v13, 0
	v_mov_b32_e32 v7, 0
	s_and_saveexec_b64 s[30:31], s[28:29]
	s_cbranch_execz .LBB6_7272
; %bb.7265:                             ;   in Loop: Header=BB6_7023 Depth=3
	v_cmp_ne_u16_e32 vcc, s97, v14
	v_bfrev_b32_e32 v7, 1
	s_and_saveexec_b64 s[68:69], vcc
	s_cbranch_execz .LBB6_7271
; %bb.7266:                             ;   in Loop: Header=BB6_7023 Depth=3
	v_and_b32_e32 v7, 0x7c, v14
	v_and_b32_e32 v33, 3, v14
	v_cmp_ne_u32_e32 vcc, s95, v7
                                        ; implicit-def: $vgpr7
	s_and_saveexec_b64 s[70:71], vcc
	s_xor_b64 s[70:71], exec, s[70:71]
	s_cbranch_execz .LBB6_7268
; %bb.7267:                             ;   in Loop: Header=BB6_7023 Depth=3
	v_ffbh_u32_e32 v34, v33
	v_min_u32_e32 v36, 32, v34
	v_mov_b32_e32 v15, v51
	v_subrev_u32_e32 v34, 29, v36
	v_bfe_u32 v7, v14, 2, 5
	v_lshlrev_b64 v[34:35], v34, v[14:15]
	v_sub_u32_e32 v15, 30, v36
	v_and_b32_e32 v34, 3, v34
	v_cmp_eq_u32_e32 vcc, 0, v7
	v_cndmask_b32_e32 v7, v7, v15, vcc
	v_cndmask_b32_e32 v15, v33, v34, vcc
	v_bfrev_b32_e32 v34, 28
	v_lshlrev_b32_e32 v33, 16, v50
	v_lshl_add_u32 v7, v7, 23, v34
	v_and_or_b32 v7, v33, s96, v7
	v_lshl_or_b32 v7, v15, 21, v7
                                        ; implicit-def: $vgpr33
.LBB6_7268:                             ;   in Loop: Header=BB6_7023 Depth=3
	s_andn2_saveexec_b64 s[70:71], s[70:71]
; %bb.7269:                             ;   in Loop: Header=BB6_7023 Depth=3
	v_cmp_lt_i16_e32 vcc, -1, v50
	v_mov_b32_e32 v7, 0xc7600000
	v_mov_b32_e32 v15, 0x47600000
	v_cndmask_b32_e32 v7, v7, v15, vcc
	v_cmp_eq_u32_e32 vcc, 0, v33
	v_mov_b32_e32 v15, 0x7f800001
	v_cndmask_b32_e32 v7, v15, v7, vcc
; %bb.7270:                             ;   in Loop: Header=BB6_7023 Depth=3
	s_or_b64 exec, exec, s[70:71]
.LBB6_7271:                             ;   in Loop: Header=BB6_7023 Depth=3
	s_or_b64 exec, exec, s[68:69]
.LBB6_7272:                             ;   in Loop: Header=BB6_7023 Depth=3
	s_or_b64 exec, exec, s[30:31]
	v_cmp_ne_u16_e32 vcc, 0, v12
	s_and_saveexec_b64 s[30:31], vcc
	s_cbranch_execz .LBB6_7280
; %bb.7273:                             ;   in Loop: Header=BB6_7023 Depth=3
	v_cmp_ne_u16_e32 vcc, s97, v12
	v_bfrev_b32_e32 v13, 1
	s_and_saveexec_b64 s[68:69], vcc
	s_cbranch_execz .LBB6_7279
; %bb.7274:                             ;   in Loop: Header=BB6_7023 Depth=3
	v_and_b32_e32 v13, 0x7c, v12
	v_and_b32_e32 v15, 3, v12
	v_cmp_ne_u32_e32 vcc, s95, v13
                                        ; implicit-def: $vgpr13
	s_and_saveexec_b64 s[70:71], vcc
	s_xor_b64 s[70:71], exec, s[70:71]
	s_cbranch_execz .LBB6_7276
; %bb.7275:                             ;   in Loop: Header=BB6_7023 Depth=3
	v_ffbh_u32_e32 v34, v15
	v_min_u32_e32 v36, 32, v34
	v_mov_b32_e32 v13, v51
	v_subrev_u32_e32 v34, 29, v36
	v_bfe_u32 v33, v12, 2, 5
	v_lshlrev_b64 v[34:35], v34, v[12:13]
	v_sub_u32_e32 v13, 30, v36
	v_and_b32_e32 v34, 3, v34
	v_cmp_eq_u32_e32 vcc, 0, v33
	v_cndmask_b32_e32 v13, v33, v13, vcc
	v_cndmask_b32_e32 v15, v15, v34, vcc
	v_bfrev_b32_e32 v34, 28
	v_lshlrev_b32_e32 v33, 16, v6
	v_lshl_add_u32 v13, v13, 23, v34
	v_and_or_b32 v13, v33, s96, v13
	v_lshl_or_b32 v13, v15, 21, v13
                                        ; implicit-def: $vgpr15
.LBB6_7276:                             ;   in Loop: Header=BB6_7023 Depth=3
	s_andn2_saveexec_b64 s[70:71], s[70:71]
; %bb.7277:                             ;   in Loop: Header=BB6_7023 Depth=3
	v_cmp_lt_i16_e32 vcc, -1, v6
	v_mov_b32_e32 v13, 0xc7600000
	v_mov_b32_e32 v33, 0x47600000
	v_cndmask_b32_e32 v13, v13, v33, vcc
	v_cmp_eq_u32_e32 vcc, 0, v15
	v_mov_b32_e32 v15, 0x7f800001
	v_cndmask_b32_e32 v13, v15, v13, vcc
; %bb.7278:                             ;   in Loop: Header=BB6_7023 Depth=3
	s_or_b64 exec, exec, s[70:71]
.LBB6_7279:                             ;   in Loop: Header=BB6_7023 Depth=3
	s_or_b64 exec, exec, s[68:69]
.LBB6_7280:                             ;   in Loop: Header=BB6_7023 Depth=3
	s_or_b64 exec, exec, s[30:31]
	v_max_f32_e32 v13, v13, v13
	v_max_f32_e32 v7, v7, v7
	v_max_f32_e32 v7, v7, v13
	s_branch .LBB6_7299
.LBB6_7281:                             ;   in Loop: Header=BB6_7023 Depth=3
                                        ; implicit-def: $vgpr7
	s_cbranch_execz .LBB6_7299
; %bb.7282:                             ;   in Loop: Header=BB6_7023 Depth=3
	v_mov_b32_e32 v13, 0
	v_mov_b32_e32 v15, 0
	s_and_saveexec_b64 s[30:31], s[28:29]
	s_cbranch_execz .LBB6_7290
; %bb.7283:                             ;   in Loop: Header=BB6_7023 Depth=3
	v_cmp_ne_u16_e32 vcc, s97, v14
	v_bfrev_b32_e32 v15, 1
	s_and_saveexec_b64 s[28:29], vcc
	s_cbranch_execz .LBB6_7289
; %bb.7284:                             ;   in Loop: Header=BB6_7023 Depth=3
	v_and_b32_e32 v15, 0x7c, v14
	v_and_b32_e32 v7, 3, v14
	v_cmp_ne_u32_e32 vcc, s95, v15
                                        ; implicit-def: $vgpr15
	s_and_saveexec_b64 s[68:69], vcc
	s_xor_b64 s[68:69], exec, s[68:69]
	s_cbranch_execz .LBB6_7286
; %bb.7285:                             ;   in Loop: Header=BB6_7023 Depth=3
	v_ffbh_u32_e32 v34, v7
	v_min_u32_e32 v34, 32, v34
	v_mov_b32_e32 v15, v51
	v_subrev_u32_e32 v35, 29, v34
	v_bfe_u32 v33, v14, 2, 5
	v_lshlrev_b64 v[14:15], v35, v[14:15]
	v_sub_u32_e32 v15, 30, v34
	v_cmp_eq_u32_e32 vcc, 0, v33
	v_and_b32_e32 v14, 3, v14
	v_cndmask_b32_e32 v15, v33, v15, vcc
	v_bfrev_b32_e32 v33, 28
	v_cndmask_b32_e32 v7, v7, v14, vcc
	v_lshlrev_b32_e32 v14, 16, v50
	v_lshl_add_u32 v15, v15, 23, v33
	v_and_or_b32 v14, v14, s96, v15
	v_lshl_or_b32 v15, v7, 21, v14
                                        ; implicit-def: $vgpr7
.LBB6_7286:                             ;   in Loop: Header=BB6_7023 Depth=3
	s_andn2_saveexec_b64 s[68:69], s[68:69]
; %bb.7287:                             ;   in Loop: Header=BB6_7023 Depth=3
	v_cmp_lt_i16_e32 vcc, -1, v50
	v_mov_b32_e32 v14, 0xc7600000
	v_mov_b32_e32 v15, 0x47600000
	v_cndmask_b32_e32 v14, v14, v15, vcc
	v_cmp_eq_u32_e32 vcc, 0, v7
	v_mov_b32_e32 v7, 0x7f800001
	v_cndmask_b32_e32 v15, v7, v14, vcc
; %bb.7288:                             ;   in Loop: Header=BB6_7023 Depth=3
	s_or_b64 exec, exec, s[68:69]
.LBB6_7289:                             ;   in Loop: Header=BB6_7023 Depth=3
	s_or_b64 exec, exec, s[28:29]
.LBB6_7290:                             ;   in Loop: Header=BB6_7023 Depth=3
	s_or_b64 exec, exec, s[30:31]
	v_cmp_ne_u16_e32 vcc, 0, v12
	s_and_saveexec_b64 s[28:29], vcc
	s_cbranch_execz .LBB6_7298
; %bb.7291:                             ;   in Loop: Header=BB6_7023 Depth=3
	v_cmp_ne_u16_e32 vcc, s97, v12
	v_bfrev_b32_e32 v13, 1
	s_and_saveexec_b64 s[30:31], vcc
	s_cbranch_execz .LBB6_7297
; %bb.7292:                             ;   in Loop: Header=BB6_7023 Depth=3
	v_and_b32_e32 v7, 0x7c, v12
	v_and_b32_e32 v14, 3, v12
	v_cmp_ne_u32_e32 vcc, s95, v7
                                        ; implicit-def: $vgpr13
	s_and_saveexec_b64 s[68:69], vcc
	s_xor_b64 s[68:69], exec, s[68:69]
	s_cbranch_execz .LBB6_7294
; %bb.7293:                             ;   in Loop: Header=BB6_7023 Depth=3
	v_ffbh_u32_e32 v33, v14
	v_min_u32_e32 v33, 32, v33
	v_mov_b32_e32 v13, v51
	v_subrev_u32_e32 v34, 29, v33
	v_bfe_u32 v7, v12, 2, 5
	v_lshlrev_b64 v[12:13], v34, v[12:13]
	v_sub_u32_e32 v13, 30, v33
	v_cmp_eq_u32_e32 vcc, 0, v7
	v_cndmask_b32_e32 v7, v7, v13, vcc
	v_bfrev_b32_e32 v13, 28
	v_and_b32_e32 v12, 3, v12
	v_lshlrev_b32_e32 v6, 16, v6
	v_lshl_add_u32 v7, v7, 23, v13
	v_cndmask_b32_e32 v12, v14, v12, vcc
	v_and_or_b32 v6, v6, s96, v7
	v_lshl_or_b32 v13, v12, 21, v6
                                        ; implicit-def: $vgpr14
                                        ; implicit-def: $vgpr6_vgpr7
.LBB6_7294:                             ;   in Loop: Header=BB6_7023 Depth=3
	s_andn2_saveexec_b64 s[68:69], s[68:69]
; %bb.7295:                             ;   in Loop: Header=BB6_7023 Depth=3
	v_cmp_lt_i16_e32 vcc, -1, v6
	v_mov_b32_e32 v6, 0xc7600000
	v_mov_b32_e32 v7, 0x47600000
	v_cndmask_b32_e32 v6, v6, v7, vcc
	v_cmp_eq_u32_e32 vcc, 0, v14
	v_mov_b32_e32 v7, 0x7f800001
	v_cndmask_b32_e32 v13, v7, v6, vcc
; %bb.7296:                             ;   in Loop: Header=BB6_7023 Depth=3
	s_or_b64 exec, exec, s[68:69]
.LBB6_7297:                             ;   in Loop: Header=BB6_7023 Depth=3
	s_or_b64 exec, exec, s[30:31]
.LBB6_7298:                             ;   in Loop: Header=BB6_7023 Depth=3
	s_or_b64 exec, exec, s[28:29]
	v_max_f32_e32 v6, v13, v13
	v_max_f32_e32 v7, v15, v15
	v_min_f32_e32 v7, v7, v6
.LBB6_7299:                             ;   in Loop: Header=BB6_7023 Depth=3
	v_and_b32_sdwa v12, v7, s97 dst_sel:DWORD dst_unused:UNUSED_PAD src0_sel:BYTE_3 src1_sel:DWORD
	v_and_b32_e32 v14, 0x7f800000, v7
	v_mov_b32_e32 v15, v51
	v_and_b32_e32 v50, 0x7fffff, v7
	v_or_b32_e32 v33, 0x7b, v12
	v_cmp_ne_u64_e32 vcc, s[52:53], v[14:15]
	s_and_saveexec_b64 s[28:29], vcc
	s_xor_b64 s[30:31], exec, s[28:29]
	s_cbranch_execz .LBB6_7309
; %bb.7300:                             ;   in Loop: Header=BB6_7023 Depth=3
	v_and_b32_e32 v14, 0x7fffffff, v7
	v_mov_b32_e32 v15, v51
	v_cmp_gt_u64_e32 vcc, s[54:55], v[14:15]
	s_and_saveexec_b64 s[68:69], vcc
	s_cbranch_execz .LBB6_7308
; %bb.7301:                             ;   in Loop: Header=BB6_7023 Depth=3
	v_cmp_ne_u32_e32 vcc, 0, v7
	v_mov_b32_e32 v33, 0
	s_and_saveexec_b64 s[70:71], vcc
	s_cbranch_execz .LBB6_7307
; %bb.7302:                             ;   in Loop: Header=BB6_7023 Depth=3
	v_bfe_u32 v6, v7, 23, 8
	v_cmp_eq_u32_e32 vcc, 0, v6
	v_add_u32_e32 v7, 0xffffff81, v6
	v_cmp_gt_u32_e64 s[28:29], s38, v6
	v_sub_u32_e32 v6, 0x71, v6
	v_mov_b32_e32 v14, 0xffffff82
	v_cndmask_b32_e64 v6, 0, v6, s[28:29]
	v_cndmask_b32_e32 v33, v7, v14, vcc
	v_mov_b32_e32 v7, 0x70
	v_cndmask_b32_e32 v34, v6, v7, vcc
	v_add_u32_e32 v6, 21, v34
	v_or_b32_e32 v13, 0x800000, v50
	v_lshlrev_b64 v[6:7], v6, -1
	v_cndmask_b32_e32 v50, v13, v50, vcc
	v_not_b32_e32 v7, v7
	v_not_b32_e32 v6, v6
	v_add_u32_e32 v13, 20, v34
	v_and_b32_e32 v7, 0, v7
	v_and_b32_e32 v6, v50, v6
	v_lshlrev_b64 v[14:15], v13, 1
	v_cmp_eq_u64_e32 vcc, v[6:7], v[14:15]
	v_lshrrev_b64 v[6:7], v34, v[50:51]
	v_lshrrev_b32_e32 v13, 23, v6
	v_add3_u32 v15, v34, v33, v13
	v_bfe_u32 v13, v6, 21, 1
	v_add_u32_e32 v13, -1, v13
	v_cndmask_b32_e32 v13, 0, v13, vcc
	v_add_u32_e32 v13, v13, v6
	v_and_b32_e32 v13, 0x1fffff, v13
	v_add_co_u32_e32 v6, vcc, v13, v6
	v_add_u32_e32 v14, 14, v15
	v_addc_co_u32_e32 v7, vcc, 0, v7, vcc
	v_cmp_ne_u32_e32 vcc, 0, v14
                                        ; implicit-def: $vgpr13
	s_and_saveexec_b64 s[28:29], vcc
	s_xor_b64 s[28:29], exec, s[28:29]
; %bb.7303:                             ;   in Loop: Header=BB6_7023 Depth=3
	v_add_u32_e32 v13, 15, v15
	v_cmp_lt_u64_e32 vcc, s[56:57], v[6:7]
	v_cndmask_b32_e32 v13, v14, v13, vcc
	v_cndmask_b32_e64 v14, 0, 1, vcc
	v_lshrrev_b64 v[6:7], v14, v[6:7]
; %bb.7304:                             ;   in Loop: Header=BB6_7023 Depth=3
	s_andn2_saveexec_b64 s[28:29], s[28:29]
; %bb.7305:                             ;   in Loop: Header=BB6_7023 Depth=3
	v_bfe_u32 v13, v6, 23, 1
; %bb.7306:                             ;   in Loop: Header=BB6_7023 Depth=3
	s_or_b64 exec, exec, s[28:29]
	v_lshrrev_b64 v[6:7], 21, v[6:7]
	v_cmp_gt_i32_e32 vcc, 32, v13
	v_cndmask_b32_e32 v7, 0, v7, vcc
	v_cndmask_b32_e32 v6, 3, v6, vcc
	v_cmp_eq_u64_e64 s[28:29], 0, v[6:7]
	v_min_i32_e32 v7, 31, v13
	v_cmp_eq_u32_e32 vcc, 0, v13
	v_lshlrev_b32_e32 v7, 2, v7
	v_and_or_b32 v6, v6, 3, v7
	s_and_b64 s[28:29], vcc, s[28:29]
	v_cndmask_b32_e64 v6, v6, 0, s[28:29]
	v_or_b32_e32 v33, v6, v12
.LBB6_7307:                             ;   in Loop: Header=BB6_7023 Depth=3
	s_or_b64 exec, exec, s[70:71]
.LBB6_7308:                             ;   in Loop: Header=BB6_7023 Depth=3
	s_or_b64 exec, exec, s[68:69]
                                        ; implicit-def: $vgpr7
.LBB6_7309:                             ;   in Loop: Header=BB6_7023 Depth=3
	s_andn2_saveexec_b64 s[28:29], s[30:31]
; %bb.7310:                             ;   in Loop: Header=BB6_7023 Depth=3
	v_or_b32_sdwa v6, v7, s39 dst_sel:DWORD dst_unused:UNUSED_PAD src0_sel:BYTE_3 src1_sel:DWORD
	v_cmp_eq_u64_e32 vcc, 0, v[50:51]
	v_cndmask_b32_e32 v33, v6, v33, vcc
; %bb.7311:                             ;   in Loop: Header=BB6_7023 Depth=3
	s_or_b64 exec, exec, s[28:29]
	v_lshrrev_b32_e32 v12, 16, v21
	v_lshrrev_b32_e32 v6, 16, v17
	v_cmp_ne_u16_sdwa s[28:29], v12, v51 src0_sel:BYTE_0 src1_sel:DWORD
	s_and_b64 vcc, exec, s[66:67]
	s_cbranch_vccz .LBB6_7329
; %bb.7312:                             ;   in Loop: Header=BB6_7023 Depth=3
	v_mov_b32_e32 v13, 0
	v_mov_b32_e32 v7, 0
	s_and_saveexec_b64 s[30:31], s[28:29]
	s_cbranch_execz .LBB6_7320
; %bb.7313:                             ;   in Loop: Header=BB6_7023 Depth=3
	v_cmp_ne_u16_sdwa vcc, v12, s97 src0_sel:BYTE_0 src1_sel:DWORD
	v_bfrev_b32_e32 v7, 1
	s_and_saveexec_b64 s[68:69], vcc
	s_cbranch_execz .LBB6_7319
; %bb.7314:                             ;   in Loop: Header=BB6_7023 Depth=3
	v_and_b32_e32 v7, 0x7c0000, v21
	v_bfe_u32 v14, v21, 16, 2
	v_cmp_ne_u32_e32 vcc, s36, v7
                                        ; implicit-def: $vgpr7
	s_and_saveexec_b64 s[70:71], vcc
	s_xor_b64 s[70:71], exec, s[70:71]
	s_cbranch_execz .LBB6_7316
; %bb.7315:                             ;   in Loop: Header=BB6_7023 Depth=3
	v_ffbh_u32_e32 v15, v14
	v_min_u32_e32 v15, 32, v15
	v_subrev_u32_e32 v34, 29, v15
	v_bfe_u32 v7, v21, 18, 5
	v_lshlrev_b64 v[34:35], v34, v[12:13]
	v_sub_u32_e32 v15, 30, v15
	v_and_b32_e32 v34, 3, v34
	v_cmp_eq_u32_e32 vcc, 0, v7
	v_cndmask_b32_e32 v7, v7, v15, vcc
	v_cndmask_b32_e32 v14, v14, v34, vcc
	v_bfrev_b32_e32 v34, 28
	v_lshlrev_b32_e32 v15, 24, v12
	v_lshl_add_u32 v7, v7, 23, v34
	v_and_or_b32 v7, v15, s96, v7
	v_lshl_or_b32 v7, v14, 21, v7
                                        ; implicit-def: $vgpr14
.LBB6_7316:                             ;   in Loop: Header=BB6_7023 Depth=3
	s_andn2_saveexec_b64 s[70:71], s[70:71]
; %bb.7317:                             ;   in Loop: Header=BB6_7023 Depth=3
	v_mov_b32_e32 v7, -1
	v_cmp_gt_i16_sdwa vcc, sext(v12), v7 src0_sel:BYTE_0 src1_sel:DWORD
	v_mov_b32_e32 v7, 0xc7600000
	v_mov_b32_e32 v15, 0x47600000
	v_cndmask_b32_e32 v7, v7, v15, vcc
	v_cmp_eq_u32_e32 vcc, 0, v14
	v_mov_b32_e32 v14, 0x7f800001
	v_cndmask_b32_e32 v7, v14, v7, vcc
; %bb.7318:                             ;   in Loop: Header=BB6_7023 Depth=3
	s_or_b64 exec, exec, s[70:71]
.LBB6_7319:                             ;   in Loop: Header=BB6_7023 Depth=3
	s_or_b64 exec, exec, s[68:69]
.LBB6_7320:                             ;   in Loop: Header=BB6_7023 Depth=3
	s_or_b64 exec, exec, s[30:31]
	v_cmp_ne_u16_sdwa vcc, v6, v51 src0_sel:BYTE_0 src1_sel:DWORD
	s_and_saveexec_b64 s[30:31], vcc
	s_cbranch_execz .LBB6_7328
; %bb.7321:                             ;   in Loop: Header=BB6_7023 Depth=3
	v_cmp_ne_u16_sdwa vcc, v6, s97 src0_sel:BYTE_0 src1_sel:DWORD
	v_bfrev_b32_e32 v13, 1
	s_and_saveexec_b64 s[68:69], vcc
	s_cbranch_execz .LBB6_7327
; %bb.7322:                             ;   in Loop: Header=BB6_7023 Depth=3
	v_and_b32_e32 v13, 0x7c0000, v17
	v_bfe_u32 v14, v17, 16, 2
	v_cmp_ne_u32_e32 vcc, s36, v13
                                        ; implicit-def: $vgpr13
	s_and_saveexec_b64 s[70:71], vcc
	s_xor_b64 s[70:71], exec, s[70:71]
	s_cbranch_execz .LBB6_7324
; %bb.7323:                             ;   in Loop: Header=BB6_7023 Depth=3
	v_ffbh_u32_e32 v15, v14
	v_min_u32_e32 v15, 32, v15
	v_subrev_u32_e32 v34, 29, v15
	v_bfe_u32 v13, v17, 18, 5
	v_lshlrev_b64 v[34:35], v34, v[6:7]
	v_sub_u32_e32 v15, 30, v15
	v_and_b32_e32 v34, 3, v34
	v_cmp_eq_u32_e32 vcc, 0, v13
	v_cndmask_b32_e32 v13, v13, v15, vcc
	v_cndmask_b32_e32 v14, v14, v34, vcc
	v_bfrev_b32_e32 v34, 28
	v_lshlrev_b32_e32 v15, 24, v6
	v_lshl_add_u32 v13, v13, 23, v34
	v_and_or_b32 v13, v15, s96, v13
	v_lshl_or_b32 v13, v14, 21, v13
                                        ; implicit-def: $vgpr14
.LBB6_7324:                             ;   in Loop: Header=BB6_7023 Depth=3
	s_andn2_saveexec_b64 s[70:71], s[70:71]
; %bb.7325:                             ;   in Loop: Header=BB6_7023 Depth=3
	v_mov_b32_e32 v13, -1
	v_cmp_gt_i16_sdwa vcc, sext(v6), v13 src0_sel:BYTE_0 src1_sel:DWORD
	v_mov_b32_e32 v13, 0xc7600000
	v_mov_b32_e32 v15, 0x47600000
	v_cndmask_b32_e32 v13, v13, v15, vcc
	v_cmp_eq_u32_e32 vcc, 0, v14
	v_mov_b32_e32 v14, 0x7f800001
	v_cndmask_b32_e32 v13, v14, v13, vcc
; %bb.7326:                             ;   in Loop: Header=BB6_7023 Depth=3
	s_or_b64 exec, exec, s[70:71]
.LBB6_7327:                             ;   in Loop: Header=BB6_7023 Depth=3
	s_or_b64 exec, exec, s[68:69]
.LBB6_7328:                             ;   in Loop: Header=BB6_7023 Depth=3
	s_or_b64 exec, exec, s[30:31]
	v_max_f32_e32 v13, v13, v13
	v_max_f32_e32 v7, v7, v7
	;; [unrolled: 1-line block ×3, first 2 shown]
	s_branch .LBB6_7347
.LBB6_7329:                             ;   in Loop: Header=BB6_7023 Depth=3
                                        ; implicit-def: $vgpr7
	s_cbranch_execz .LBB6_7347
; %bb.7330:                             ;   in Loop: Header=BB6_7023 Depth=3
	v_mov_b32_e32 v13, 0
	v_mov_b32_e32 v7, 0
	s_and_saveexec_b64 s[30:31], s[28:29]
	s_cbranch_execz .LBB6_7338
; %bb.7331:                             ;   in Loop: Header=BB6_7023 Depth=3
	v_cmp_ne_u16_sdwa vcc, v12, s97 src0_sel:BYTE_0 src1_sel:DWORD
	v_bfrev_b32_e32 v7, 1
	s_and_saveexec_b64 s[28:29], vcc
	s_cbranch_execz .LBB6_7337
; %bb.7332:                             ;   in Loop: Header=BB6_7023 Depth=3
	v_and_b32_e32 v7, 0x7c0000, v21
	v_bfe_u32 v14, v21, 16, 2
	v_cmp_ne_u32_e32 vcc, s36, v7
                                        ; implicit-def: $vgpr7
	s_and_saveexec_b64 s[68:69], vcc
	s_xor_b64 s[68:69], exec, s[68:69]
	s_cbranch_execz .LBB6_7334
; %bb.7333:                             ;   in Loop: Header=BB6_7023 Depth=3
	v_ffbh_u32_e32 v15, v14
	v_bfe_u32 v7, v21, 18, 5
	v_min_u32_e32 v15, 32, v15
	v_subrev_u32_e32 v34, 29, v15
	v_sub_u32_e32 v15, 30, v15
	v_cmp_eq_u32_e32 vcc, 0, v7
	v_lshlrev_b64 v[34:35], v34, v[12:13]
	v_cndmask_b32_e32 v7, v7, v15, vcc
	v_bfrev_b32_e32 v15, 28
	v_and_b32_e32 v34, 3, v34
	v_lshlrev_b32_e32 v12, 24, v12
	v_lshl_add_u32 v7, v7, 23, v15
	v_cndmask_b32_e32 v14, v14, v34, vcc
	v_and_or_b32 v7, v12, s96, v7
	v_lshl_or_b32 v7, v14, 21, v7
                                        ; implicit-def: $vgpr14
                                        ; implicit-def: $vgpr12
.LBB6_7334:                             ;   in Loop: Header=BB6_7023 Depth=3
	s_andn2_saveexec_b64 s[68:69], s[68:69]
; %bb.7335:                             ;   in Loop: Header=BB6_7023 Depth=3
	v_mov_b32_e32 v7, -1
	v_cmp_gt_i16_sdwa vcc, sext(v12), v7 src0_sel:BYTE_0 src1_sel:DWORD
	v_mov_b32_e32 v7, 0xc7600000
	v_mov_b32_e32 v12, 0x47600000
	v_cndmask_b32_e32 v7, v7, v12, vcc
	v_cmp_eq_u32_e32 vcc, 0, v14
	v_mov_b32_e32 v12, 0x7f800001
	v_cndmask_b32_e32 v7, v12, v7, vcc
; %bb.7336:                             ;   in Loop: Header=BB6_7023 Depth=3
	s_or_b64 exec, exec, s[68:69]
.LBB6_7337:                             ;   in Loop: Header=BB6_7023 Depth=3
	s_or_b64 exec, exec, s[28:29]
.LBB6_7338:                             ;   in Loop: Header=BB6_7023 Depth=3
	s_or_b64 exec, exec, s[30:31]
	v_cmp_ne_u16_sdwa vcc, v6, v51 src0_sel:BYTE_0 src1_sel:DWORD
	s_and_saveexec_b64 s[28:29], vcc
	s_cbranch_execz .LBB6_7346
; %bb.7339:                             ;   in Loop: Header=BB6_7023 Depth=3
	v_cmp_ne_u16_sdwa vcc, v6, s97 src0_sel:BYTE_0 src1_sel:DWORD
	v_bfrev_b32_e32 v13, 1
	s_and_saveexec_b64 s[30:31], vcc
	s_cbranch_execz .LBB6_7345
; %bb.7340:                             ;   in Loop: Header=BB6_7023 Depth=3
	v_and_b32_e32 v13, 0x7c0000, v17
	v_bfe_u32 v12, v17, 16, 2
	v_cmp_ne_u32_e32 vcc, s36, v13
                                        ; implicit-def: $vgpr13
	s_and_saveexec_b64 s[68:69], vcc
	s_xor_b64 s[68:69], exec, s[68:69]
	s_cbranch_execz .LBB6_7342
; %bb.7341:                             ;   in Loop: Header=BB6_7023 Depth=3
	v_ffbh_u32_e32 v14, v12
	v_min_u32_e32 v34, 32, v14
	v_subrev_u32_e32 v14, 29, v34
	v_bfe_u32 v13, v17, 18, 5
	v_lshlrev_b64 v[14:15], v14, v[6:7]
	v_sub_u32_e32 v15, 30, v34
	v_and_b32_e32 v14, 3, v14
	v_cmp_eq_u32_e32 vcc, 0, v13
	v_cndmask_b32_e32 v13, v13, v15, vcc
	v_cndmask_b32_e32 v12, v12, v14, vcc
	v_bfrev_b32_e32 v14, 28
	v_lshlrev_b32_e32 v6, 24, v6
	v_lshl_add_u32 v13, v13, 23, v14
	v_and_or_b32 v6, v6, s96, v13
	v_lshl_or_b32 v13, v12, 21, v6
                                        ; implicit-def: $vgpr12
                                        ; implicit-def: $vgpr6
.LBB6_7342:                             ;   in Loop: Header=BB6_7023 Depth=3
	s_andn2_saveexec_b64 s[68:69], s[68:69]
; %bb.7343:                             ;   in Loop: Header=BB6_7023 Depth=3
	v_mov_b32_e32 v13, -1
	v_cmp_gt_i16_sdwa vcc, sext(v6), v13 src0_sel:BYTE_0 src1_sel:DWORD
	v_mov_b32_e32 v6, 0xc7600000
	v_mov_b32_e32 v13, 0x47600000
	v_cndmask_b32_e32 v6, v6, v13, vcc
	v_cmp_eq_u32_e32 vcc, 0, v12
	v_mov_b32_e32 v12, 0x7f800001
	v_cndmask_b32_e32 v13, v12, v6, vcc
; %bb.7344:                             ;   in Loop: Header=BB6_7023 Depth=3
	s_or_b64 exec, exec, s[68:69]
.LBB6_7345:                             ;   in Loop: Header=BB6_7023 Depth=3
	s_or_b64 exec, exec, s[30:31]
.LBB6_7346:                             ;   in Loop: Header=BB6_7023 Depth=3
	s_or_b64 exec, exec, s[28:29]
	v_max_f32_e32 v6, v13, v13
	v_max_f32_e32 v7, v7, v7
	v_min_f32_e32 v7, v7, v6
.LBB6_7347:                             ;   in Loop: Header=BB6_7023 Depth=3
	v_and_b32_sdwa v12, v7, s97 dst_sel:DWORD dst_unused:UNUSED_PAD src0_sel:BYTE_3 src1_sel:DWORD
	v_and_b32_e32 v14, 0x7f800000, v7
	v_mov_b32_e32 v15, v51
	v_and_b32_e32 v50, 0x7fffff, v7
	v_or_b32_e32 v34, 0x7b, v12
	v_cmp_ne_u64_e32 vcc, s[52:53], v[14:15]
	s_and_saveexec_b64 s[28:29], vcc
	s_xor_b64 s[30:31], exec, s[28:29]
	s_cbranch_execz .LBB6_7357
; %bb.7348:                             ;   in Loop: Header=BB6_7023 Depth=3
	v_and_b32_e32 v14, 0x7fffffff, v7
	v_mov_b32_e32 v15, v51
	v_cmp_gt_u64_e32 vcc, s[54:55], v[14:15]
	s_and_saveexec_b64 s[68:69], vcc
	s_cbranch_execz .LBB6_7356
; %bb.7349:                             ;   in Loop: Header=BB6_7023 Depth=3
	v_cmp_ne_u32_e32 vcc, 0, v7
	v_mov_b32_e32 v34, 0
	s_and_saveexec_b64 s[70:71], vcc
	s_cbranch_execz .LBB6_7355
; %bb.7350:                             ;   in Loop: Header=BB6_7023 Depth=3
	v_bfe_u32 v6, v7, 23, 8
	v_cmp_eq_u32_e32 vcc, 0, v6
	v_add_u32_e32 v7, 0xffffff81, v6
	v_cmp_gt_u32_e64 s[28:29], s38, v6
	v_sub_u32_e32 v6, 0x71, v6
	v_mov_b32_e32 v14, 0xffffff82
	v_cndmask_b32_e64 v6, 0, v6, s[28:29]
	v_cndmask_b32_e32 v34, v7, v14, vcc
	v_mov_b32_e32 v7, 0x70
	v_cndmask_b32_e32 v35, v6, v7, vcc
	v_add_u32_e32 v6, 21, v35
	v_or_b32_e32 v13, 0x800000, v50
	v_lshlrev_b64 v[6:7], v6, -1
	v_cndmask_b32_e32 v50, v13, v50, vcc
	v_not_b32_e32 v7, v7
	v_not_b32_e32 v6, v6
	v_add_u32_e32 v13, 20, v35
	v_and_b32_e32 v7, 0, v7
	v_and_b32_e32 v6, v50, v6
	v_lshlrev_b64 v[14:15], v13, 1
	v_cmp_eq_u64_e32 vcc, v[6:7], v[14:15]
	v_lshrrev_b64 v[6:7], v35, v[50:51]
	v_lshrrev_b32_e32 v13, 23, v6
	v_add3_u32 v15, v35, v34, v13
	v_bfe_u32 v13, v6, 21, 1
	v_add_u32_e32 v13, -1, v13
	v_cndmask_b32_e32 v13, 0, v13, vcc
	v_add_u32_e32 v13, v13, v6
	v_and_b32_e32 v13, 0x1fffff, v13
	v_add_co_u32_e32 v6, vcc, v13, v6
	v_add_u32_e32 v14, 14, v15
	v_addc_co_u32_e32 v7, vcc, 0, v7, vcc
	v_cmp_ne_u32_e32 vcc, 0, v14
                                        ; implicit-def: $vgpr13
	s_and_saveexec_b64 s[28:29], vcc
	s_xor_b64 s[28:29], exec, s[28:29]
; %bb.7351:                             ;   in Loop: Header=BB6_7023 Depth=3
	v_add_u32_e32 v13, 15, v15
	v_cmp_lt_u64_e32 vcc, s[56:57], v[6:7]
	v_cndmask_b32_e32 v13, v14, v13, vcc
	v_cndmask_b32_e64 v14, 0, 1, vcc
	v_lshrrev_b64 v[6:7], v14, v[6:7]
; %bb.7352:                             ;   in Loop: Header=BB6_7023 Depth=3
	s_andn2_saveexec_b64 s[28:29], s[28:29]
; %bb.7353:                             ;   in Loop: Header=BB6_7023 Depth=3
	v_bfe_u32 v13, v6, 23, 1
; %bb.7354:                             ;   in Loop: Header=BB6_7023 Depth=3
	s_or_b64 exec, exec, s[28:29]
	v_lshrrev_b64 v[6:7], 21, v[6:7]
	v_cmp_gt_i32_e32 vcc, 32, v13
	v_cndmask_b32_e32 v7, 0, v7, vcc
	v_cndmask_b32_e32 v6, 3, v6, vcc
	v_cmp_eq_u64_e64 s[28:29], 0, v[6:7]
	v_min_i32_e32 v7, 31, v13
	v_cmp_eq_u32_e32 vcc, 0, v13
	v_lshlrev_b32_e32 v7, 2, v7
	v_and_or_b32 v6, v6, 3, v7
	s_and_b64 s[28:29], vcc, s[28:29]
	v_cndmask_b32_e64 v6, v6, 0, s[28:29]
	v_or_b32_e32 v34, v6, v12
.LBB6_7355:                             ;   in Loop: Header=BB6_7023 Depth=3
	s_or_b64 exec, exec, s[70:71]
.LBB6_7356:                             ;   in Loop: Header=BB6_7023 Depth=3
	s_or_b64 exec, exec, s[68:69]
                                        ; implicit-def: $vgpr7
.LBB6_7357:                             ;   in Loop: Header=BB6_7023 Depth=3
	s_andn2_saveexec_b64 s[28:29], s[30:31]
; %bb.7358:                             ;   in Loop: Header=BB6_7023 Depth=3
	v_or_b32_sdwa v6, v7, s39 dst_sel:DWORD dst_unused:UNUSED_PAD src0_sel:BYTE_3 src1_sel:DWORD
	v_cmp_eq_u64_e32 vcc, 0, v[50:51]
	v_cndmask_b32_e32 v34, v6, v34, vcc
; %bb.7359:                             ;   in Loop: Header=BB6_7023 Depth=3
	s_or_b64 exec, exec, s[28:29]
	v_lshrrev_b32_e32 v12, 24, v21
	v_lshrrev_b32_e32 v6, 24, v17
	v_cmp_lt_u64_e64 s[28:29], s[42:43], v[20:21]
	s_and_b64 vcc, exec, s[66:67]
	s_cbranch_vccz .LBB6_7377
; %bb.7360:                             ;   in Loop: Header=BB6_7023 Depth=3
	v_mov_b32_e32 v13, 0
	v_mov_b32_e32 v7, 0
	s_and_saveexec_b64 s[30:31], s[28:29]
	s_cbranch_execz .LBB6_7368
; %bb.7361:                             ;   in Loop: Header=BB6_7023 Depth=3
	v_cmp_ne_u32_e32 vcc, s97, v12
	v_bfrev_b32_e32 v7, 1
	s_and_saveexec_b64 s[68:69], vcc
	s_cbranch_execz .LBB6_7367
; %bb.7362:                             ;   in Loop: Header=BB6_7023 Depth=3
	v_and_b32_e32 v7, 0x7c000000, v21
	v_bfe_u32 v14, v21, 24, 2
	v_cmp_ne_u32_e32 vcc, s37, v7
                                        ; implicit-def: $vgpr7
	s_and_saveexec_b64 s[70:71], vcc
	s_xor_b64 s[70:71], exec, s[70:71]
	s_cbranch_execz .LBB6_7364
; %bb.7363:                             ;   in Loop: Header=BB6_7023 Depth=3
	v_ffbh_u32_e32 v15, v14
	v_bfe_u32 v7, v21, 26, 5
	v_min_u32_e32 v15, 32, v15
	v_subrev_u32_e32 v35, 29, v15
	v_sub_u32_e32 v15, 30, v15
	v_cmp_eq_u32_e32 vcc, 0, v7
	v_lshlrev_b64 v[36:37], v35, v[12:13]
	v_cndmask_b32_e32 v7, v7, v15, vcc
	v_bfrev_b32_e32 v15, 28
	v_and_b32_e32 v35, 3, v36
	v_lshl_add_u32 v7, v7, 23, v15
	v_cndmask_b32_e32 v14, v14, v35, vcc
	v_and_or_b32 v7, v21, s96, v7
	v_lshl_or_b32 v7, v14, 21, v7
                                        ; implicit-def: $vgpr14
.LBB6_7364:                             ;   in Loop: Header=BB6_7023 Depth=3
	s_andn2_saveexec_b64 s[70:71], s[70:71]
; %bb.7365:                             ;   in Loop: Header=BB6_7023 Depth=3
	v_cmp_lt_i64_e32 vcc, -1, v[20:21]
	v_mov_b32_e32 v7, 0xc7600000
	v_mov_b32_e32 v15, 0x47600000
	v_cndmask_b32_e32 v7, v7, v15, vcc
	v_cmp_eq_u32_e32 vcc, 0, v14
	v_mov_b32_e32 v14, 0x7f800001
	v_cndmask_b32_e32 v7, v14, v7, vcc
; %bb.7366:                             ;   in Loop: Header=BB6_7023 Depth=3
	s_or_b64 exec, exec, s[70:71]
.LBB6_7367:                             ;   in Loop: Header=BB6_7023 Depth=3
	s_or_b64 exec, exec, s[68:69]
.LBB6_7368:                             ;   in Loop: Header=BB6_7023 Depth=3
	s_or_b64 exec, exec, s[30:31]
	v_cmp_lt_u64_e32 vcc, s[42:43], v[16:17]
	s_and_saveexec_b64 s[30:31], vcc
	s_cbranch_execz .LBB6_7376
; %bb.7369:                             ;   in Loop: Header=BB6_7023 Depth=3
	v_cmp_ne_u32_e32 vcc, s97, v6
	v_bfrev_b32_e32 v13, 1
	s_and_saveexec_b64 s[68:69], vcc
	s_cbranch_execz .LBB6_7375
; %bb.7370:                             ;   in Loop: Header=BB6_7023 Depth=3
	v_and_b32_e32 v13, 0x7c000000, v17
	v_bfe_u32 v14, v17, 24, 2
	v_cmp_ne_u32_e32 vcc, s37, v13
                                        ; implicit-def: $vgpr13
	s_and_saveexec_b64 s[70:71], vcc
	s_xor_b64 s[70:71], exec, s[70:71]
	s_cbranch_execz .LBB6_7372
; %bb.7371:                             ;   in Loop: Header=BB6_7023 Depth=3
	v_ffbh_u32_e32 v15, v14
	v_bfe_u32 v13, v17, 26, 5
	v_min_u32_e32 v15, 32, v15
	v_subrev_u32_e32 v35, 29, v15
	v_sub_u32_e32 v15, 30, v15
	v_cmp_eq_u32_e32 vcc, 0, v13
	v_lshlrev_b64 v[36:37], v35, v[6:7]
	v_cndmask_b32_e32 v13, v13, v15, vcc
	v_bfrev_b32_e32 v15, 28
	v_and_b32_e32 v35, 3, v36
	v_lshl_add_u32 v13, v13, 23, v15
	v_cndmask_b32_e32 v14, v14, v35, vcc
	v_and_or_b32 v13, v17, s96, v13
	v_lshl_or_b32 v13, v14, 21, v13
                                        ; implicit-def: $vgpr14
.LBB6_7372:                             ;   in Loop: Header=BB6_7023 Depth=3
	s_andn2_saveexec_b64 s[70:71], s[70:71]
; %bb.7373:                             ;   in Loop: Header=BB6_7023 Depth=3
	v_cmp_lt_i64_e32 vcc, -1, v[16:17]
	v_mov_b32_e32 v13, 0xc7600000
	v_mov_b32_e32 v15, 0x47600000
	v_cndmask_b32_e32 v13, v13, v15, vcc
	v_cmp_eq_u32_e32 vcc, 0, v14
	v_mov_b32_e32 v14, 0x7f800001
	v_cndmask_b32_e32 v13, v14, v13, vcc
; %bb.7374:                             ;   in Loop: Header=BB6_7023 Depth=3
	s_or_b64 exec, exec, s[70:71]
.LBB6_7375:                             ;   in Loop: Header=BB6_7023 Depth=3
	s_or_b64 exec, exec, s[68:69]
.LBB6_7376:                             ;   in Loop: Header=BB6_7023 Depth=3
	s_or_b64 exec, exec, s[30:31]
	v_max_f32_e32 v13, v13, v13
	v_max_f32_e32 v7, v7, v7
	;; [unrolled: 1-line block ×3, first 2 shown]
	s_branch .LBB6_7395
.LBB6_7377:                             ;   in Loop: Header=BB6_7023 Depth=3
                                        ; implicit-def: $vgpr7
	s_cbranch_execz .LBB6_7395
; %bb.7378:                             ;   in Loop: Header=BB6_7023 Depth=3
	v_mov_b32_e32 v13, 0
	v_mov_b32_e32 v7, 0
	s_and_saveexec_b64 s[30:31], s[28:29]
	s_cbranch_execz .LBB6_7386
; %bb.7379:                             ;   in Loop: Header=BB6_7023 Depth=3
	v_cmp_ne_u32_e32 vcc, s97, v12
	v_bfrev_b32_e32 v7, 1
	s_and_saveexec_b64 s[28:29], vcc
	s_cbranch_execz .LBB6_7385
; %bb.7380:                             ;   in Loop: Header=BB6_7023 Depth=3
	v_and_b32_e32 v7, 0x7c000000, v21
	v_bfe_u32 v14, v21, 24, 2
	v_cmp_ne_u32_e32 vcc, s37, v7
                                        ; implicit-def: $vgpr7
	s_and_saveexec_b64 s[68:69], vcc
	s_xor_b64 s[68:69], exec, s[68:69]
	s_cbranch_execz .LBB6_7382
; %bb.7381:                             ;   in Loop: Header=BB6_7023 Depth=3
	v_ffbh_u32_e32 v15, v14
	v_min_u32_e32 v15, 32, v15
	v_subrev_u32_e32 v20, 29, v15
	v_bfe_u32 v7, v21, 26, 5
	v_lshlrev_b64 v[36:37], v20, v[12:13]
	v_sub_u32_e32 v12, 30, v15
	v_and_b32_e32 v15, 3, v36
	v_cmp_eq_u32_e32 vcc, 0, v7
	v_cndmask_b32_e32 v7, v7, v12, vcc
	v_cndmask_b32_e32 v12, v14, v15, vcc
	v_bfrev_b32_e32 v14, 28
	v_lshl_add_u32 v7, v7, 23, v14
	v_and_or_b32 v7, v21, s96, v7
	v_lshl_or_b32 v7, v12, 21, v7
                                        ; implicit-def: $vgpr14
.LBB6_7382:                             ;   in Loop: Header=BB6_7023 Depth=3
	s_andn2_saveexec_b64 s[68:69], s[68:69]
; %bb.7383:                             ;   in Loop: Header=BB6_7023 Depth=3
	v_cmp_lt_i64_e32 vcc, -1, v[20:21]
	v_mov_b32_e32 v7, 0xc7600000
	v_mov_b32_e32 v12, 0x47600000
	v_cndmask_b32_e32 v7, v7, v12, vcc
	v_cmp_eq_u32_e32 vcc, 0, v14
	v_mov_b32_e32 v12, 0x7f800001
	v_cndmask_b32_e32 v7, v12, v7, vcc
; %bb.7384:                             ;   in Loop: Header=BB6_7023 Depth=3
	s_or_b64 exec, exec, s[68:69]
.LBB6_7385:                             ;   in Loop: Header=BB6_7023 Depth=3
	s_or_b64 exec, exec, s[28:29]
.LBB6_7386:                             ;   in Loop: Header=BB6_7023 Depth=3
	s_or_b64 exec, exec, s[30:31]
	v_cmp_lt_u64_e32 vcc, s[42:43], v[16:17]
	s_and_saveexec_b64 s[28:29], vcc
	s_cbranch_execz .LBB6_7394
; %bb.7387:                             ;   in Loop: Header=BB6_7023 Depth=3
	v_cmp_ne_u32_e32 vcc, s97, v6
	v_bfrev_b32_e32 v13, 1
	s_and_saveexec_b64 s[30:31], vcc
	s_cbranch_execz .LBB6_7393
; %bb.7388:                             ;   in Loop: Header=BB6_7023 Depth=3
	v_and_b32_e32 v13, 0x7c000000, v17
	v_bfe_u32 v12, v17, 24, 2
	v_cmp_ne_u32_e32 vcc, s37, v13
                                        ; implicit-def: $vgpr13
	s_and_saveexec_b64 s[68:69], vcc
	s_xor_b64 s[68:69], exec, s[68:69]
	s_cbranch_execz .LBB6_7390
; %bb.7389:                             ;   in Loop: Header=BB6_7023 Depth=3
	v_ffbh_u32_e32 v14, v12
	v_min_u32_e32 v16, 32, v14
	v_bfe_u32 v13, v17, 26, 5
	v_subrev_u32_e32 v14, 29, v16
	v_lshlrev_b64 v[14:15], v14, v[6:7]
	v_sub_u32_e32 v6, 30, v16
	v_cmp_eq_u32_e32 vcc, 0, v13
	v_cndmask_b32_e32 v6, v13, v6, vcc
	v_bfrev_b32_e32 v13, 28
	v_and_b32_e32 v14, 3, v14
	v_lshl_add_u32 v6, v6, 23, v13
	v_cndmask_b32_e32 v12, v12, v14, vcc
	v_and_or_b32 v6, v17, s96, v6
	v_lshl_or_b32 v13, v12, 21, v6
                                        ; implicit-def: $vgpr12
.LBB6_7390:                             ;   in Loop: Header=BB6_7023 Depth=3
	s_andn2_saveexec_b64 s[68:69], s[68:69]
; %bb.7391:                             ;   in Loop: Header=BB6_7023 Depth=3
	v_cmp_lt_i64_e32 vcc, -1, v[16:17]
	v_mov_b32_e32 v6, 0xc7600000
	v_mov_b32_e32 v13, 0x47600000
	v_cndmask_b32_e32 v6, v6, v13, vcc
	v_cmp_eq_u32_e32 vcc, 0, v12
	v_mov_b32_e32 v12, 0x7f800001
	v_cndmask_b32_e32 v13, v12, v6, vcc
; %bb.7392:                             ;   in Loop: Header=BB6_7023 Depth=3
	s_or_b64 exec, exec, s[68:69]
.LBB6_7393:                             ;   in Loop: Header=BB6_7023 Depth=3
	s_or_b64 exec, exec, s[30:31]
.LBB6_7394:                             ;   in Loop: Header=BB6_7023 Depth=3
	s_or_b64 exec, exec, s[28:29]
	v_max_f32_e32 v6, v13, v13
	v_max_f32_e32 v7, v7, v7
	v_min_f32_e32 v7, v7, v6
.LBB6_7395:                             ;   in Loop: Header=BB6_7023 Depth=3
	v_and_b32_sdwa v12, v7, s97 dst_sel:DWORD dst_unused:UNUSED_PAD src0_sel:BYTE_3 src1_sel:DWORD
	v_and_b32_e32 v14, 0x7f800000, v7
	v_mov_b32_e32 v15, v51
	v_and_b32_e32 v50, 0x7fffff, v7
	v_or_b32_e32 v16, 0x7b, v12
	v_cmp_ne_u64_e32 vcc, s[52:53], v[14:15]
	s_and_saveexec_b64 s[28:29], vcc
	s_xor_b64 s[30:31], exec, s[28:29]
	s_cbranch_execz .LBB6_7423
; %bb.7396:                             ;   in Loop: Header=BB6_7023 Depth=3
	v_and_b32_e32 v14, 0x7fffffff, v7
	v_mov_b32_e32 v15, v51
	v_cmp_gt_u64_e32 vcc, s[54:55], v[14:15]
	s_and_saveexec_b64 s[68:69], vcc
	s_cbranch_execz .LBB6_7404
; %bb.7397:                             ;   in Loop: Header=BB6_7023 Depth=3
	v_cmp_ne_u32_e32 vcc, 0, v7
	v_mov_b32_e32 v16, 0
	s_and_saveexec_b64 s[70:71], vcc
	s_cbranch_execz .LBB6_7403
; %bb.7398:                             ;   in Loop: Header=BB6_7023 Depth=3
	v_bfe_u32 v6, v7, 23, 8
	v_cmp_eq_u32_e32 vcc, 0, v6
	v_add_u32_e32 v7, 0xffffff81, v6
	v_cmp_gt_u32_e64 s[28:29], s38, v6
	v_sub_u32_e32 v6, 0x71, v6
	v_mov_b32_e32 v14, 0xffffff82
	v_cndmask_b32_e64 v6, 0, v6, s[28:29]
	v_cndmask_b32_e32 v16, v7, v14, vcc
	v_mov_b32_e32 v7, 0x70
	v_cndmask_b32_e32 v17, v6, v7, vcc
	v_add_u32_e32 v6, 21, v17
	v_or_b32_e32 v13, 0x800000, v50
	v_lshlrev_b64 v[6:7], v6, -1
	v_cndmask_b32_e32 v50, v13, v50, vcc
	v_not_b32_e32 v7, v7
	v_not_b32_e32 v6, v6
	v_add_u32_e32 v13, 20, v17
	v_and_b32_e32 v7, 0, v7
	v_and_b32_e32 v6, v50, v6
	v_lshlrev_b64 v[14:15], v13, 1
	v_cmp_eq_u64_e32 vcc, v[6:7], v[14:15]
	v_lshrrev_b64 v[6:7], v17, v[50:51]
	v_lshrrev_b32_e32 v13, 23, v6
	v_add3_u32 v15, v17, v16, v13
	v_bfe_u32 v13, v6, 21, 1
	v_add_u32_e32 v13, -1, v13
	v_cndmask_b32_e32 v13, 0, v13, vcc
	v_add_u32_e32 v13, v13, v6
	v_and_b32_e32 v13, 0x1fffff, v13
	v_add_co_u32_e32 v6, vcc, v13, v6
	v_add_u32_e32 v14, 14, v15
	v_addc_co_u32_e32 v7, vcc, 0, v7, vcc
	v_cmp_ne_u32_e32 vcc, 0, v14
                                        ; implicit-def: $vgpr13
	s_and_saveexec_b64 s[28:29], vcc
	s_xor_b64 s[28:29], exec, s[28:29]
; %bb.7399:                             ;   in Loop: Header=BB6_7023 Depth=3
	v_add_u32_e32 v13, 15, v15
	v_cmp_lt_u64_e32 vcc, s[56:57], v[6:7]
	v_cndmask_b32_e32 v13, v14, v13, vcc
	v_cndmask_b32_e64 v14, 0, 1, vcc
	v_lshrrev_b64 v[6:7], v14, v[6:7]
; %bb.7400:                             ;   in Loop: Header=BB6_7023 Depth=3
	s_andn2_saveexec_b64 s[28:29], s[28:29]
; %bb.7401:                             ;   in Loop: Header=BB6_7023 Depth=3
	v_bfe_u32 v13, v6, 23, 1
; %bb.7402:                             ;   in Loop: Header=BB6_7023 Depth=3
	s_or_b64 exec, exec, s[28:29]
	v_lshrrev_b64 v[6:7], 21, v[6:7]
	v_cmp_gt_i32_e32 vcc, 32, v13
	v_cndmask_b32_e32 v7, 0, v7, vcc
	v_cndmask_b32_e32 v6, 3, v6, vcc
	v_cmp_eq_u64_e64 s[28:29], 0, v[6:7]
	v_min_i32_e32 v7, 31, v13
	v_lshlrev_b32_e32 v7, 2, v7
	v_cmp_eq_u32_e32 vcc, 0, v13
	v_and_b32_e32 v7, 0xfc, v7
	v_and_or_b32 v6, v6, 3, v7
	s_and_b64 s[28:29], vcc, s[28:29]
	v_cndmask_b32_e64 v6, v6, 0, s[28:29]
	v_or_b32_e32 v16, v6, v12
.LBB6_7403:                             ;   in Loop: Header=BB6_7023 Depth=3
	s_or_b64 exec, exec, s[70:71]
.LBB6_7404:                             ;   in Loop: Header=BB6_7023 Depth=3
	s_or_b64 exec, exec, s[68:69]
                                        ; implicit-def: $vgpr7
	s_andn2_saveexec_b64 s[28:29], s[30:31]
	s_cbranch_execnz .LBB6_7424
.LBB6_7405:                             ;   in Loop: Header=BB6_7023 Depth=3
	s_or_b64 exec, exec, s[28:29]
	v_cmp_ne_u16_sdwa s[28:29], v22, v51 src0_sel:BYTE_0 src1_sel:DWORD
	s_and_b64 vcc, exec, s[66:67]
	s_cbranch_vccz .LBB6_7425
.LBB6_7406:                             ;   in Loop: Header=BB6_7023 Depth=3
	v_mov_b32_e32 v7, 0
	v_mov_b32_e32 v6, 0
	s_and_saveexec_b64 s[30:31], s[28:29]
	s_cbranch_execz .LBB6_7414
; %bb.7407:                             ;   in Loop: Header=BB6_7023 Depth=3
	v_cmp_ne_u16_sdwa vcc, sext(v22), s94 src0_sel:BYTE_0 src1_sel:DWORD
	v_bfrev_b32_e32 v6, 1
	s_and_saveexec_b64 s[68:69], vcc
	s_cbranch_execz .LBB6_7413
; %bb.7408:                             ;   in Loop: Header=BB6_7023 Depth=3
	v_and_b32_e32 v6, 0x7c, v22
	v_and_b32_e32 v12, 3, v22
	v_cmp_ne_u32_e32 vcc, s95, v6
                                        ; implicit-def: $vgpr6
	s_and_saveexec_b64 s[70:71], vcc
	s_xor_b64 s[70:71], exec, s[70:71]
	s_cbranch_execz .LBB6_7410
; %bb.7409:                             ;   in Loop: Header=BB6_7023 Depth=3
	v_ffbh_u32_e32 v13, v12
	v_min_u32_e32 v13, 32, v13
	v_subrev_u32_e32 v14, 29, v13
	v_bfe_u32 v6, v22, 2, 5
	v_lshlrev_b64 v[14:15], v14, v[22:23]
	v_sub_u32_e32 v13, 30, v13
	v_and_b32_e32 v14, 3, v14
	v_cmp_eq_u32_e32 vcc, 0, v6
	v_cndmask_b32_e32 v6, v6, v13, vcc
	v_cndmask_b32_e32 v12, v12, v14, vcc
	v_bfrev_b32_e32 v14, 28
	v_lshlrev_b32_e32 v13, 24, v22
	v_lshl_add_u32 v6, v6, 23, v14
	v_and_or_b32 v6, v13, s96, v6
	v_lshl_or_b32 v6, v12, 21, v6
                                        ; implicit-def: $vgpr12
.LBB6_7410:                             ;   in Loop: Header=BB6_7023 Depth=3
	s_andn2_saveexec_b64 s[70:71], s[70:71]
; %bb.7411:                             ;   in Loop: Header=BB6_7023 Depth=3
	v_mov_b32_e32 v6, -1
	v_cmp_gt_i16_sdwa vcc, sext(v22), v6 src0_sel:BYTE_0 src1_sel:DWORD
	v_mov_b32_e32 v6, 0xc7600000
	v_mov_b32_e32 v13, 0x47600000
	v_cndmask_b32_e32 v6, v6, v13, vcc
	v_cmp_eq_u32_e32 vcc, 0, v12
	v_mov_b32_e32 v12, 0x7f800001
	v_cndmask_b32_e32 v6, v12, v6, vcc
; %bb.7412:                             ;   in Loop: Header=BB6_7023 Depth=3
	s_or_b64 exec, exec, s[70:71]
.LBB6_7413:                             ;   in Loop: Header=BB6_7023 Depth=3
	s_or_b64 exec, exec, s[68:69]
.LBB6_7414:                             ;   in Loop: Header=BB6_7023 Depth=3
	s_or_b64 exec, exec, s[30:31]
	v_cmp_ne_u16_sdwa vcc, sext(v18), v51 src0_sel:BYTE_0 src1_sel:DWORD
	s_and_saveexec_b64 s[30:31], vcc
	s_cbranch_execz .LBB6_7422
; %bb.7415:                             ;   in Loop: Header=BB6_7023 Depth=3
	v_cmp_ne_u16_sdwa vcc, sext(v18), s94 src0_sel:BYTE_0 src1_sel:DWORD
	v_bfrev_b32_e32 v7, 1
	s_and_saveexec_b64 s[68:69], vcc
	s_cbranch_execz .LBB6_7421
; %bb.7416:                             ;   in Loop: Header=BB6_7023 Depth=3
	v_and_b32_e32 v7, 0x7c, v18
	v_and_b32_e32 v12, 3, v18
	v_cmp_ne_u32_e32 vcc, s95, v7
                                        ; implicit-def: $vgpr7
	s_and_saveexec_b64 s[70:71], vcc
	s_xor_b64 s[70:71], exec, s[70:71]
	s_cbranch_execz .LBB6_7418
; %bb.7417:                             ;   in Loop: Header=BB6_7023 Depth=3
	v_ffbh_u32_e32 v13, v12
	v_min_u32_e32 v13, 32, v13
	v_subrev_u32_e32 v14, 29, v13
	v_bfe_u32 v7, v18, 2, 5
	v_lshlrev_b64 v[14:15], v14, v[18:19]
	v_sub_u32_e32 v13, 30, v13
	v_and_b32_e32 v14, 3, v14
	v_cmp_eq_u32_e32 vcc, 0, v7
	v_cndmask_b32_e32 v7, v7, v13, vcc
	v_cndmask_b32_e32 v12, v12, v14, vcc
	v_bfrev_b32_e32 v14, 28
	v_lshlrev_b32_e32 v13, 24, v18
	v_lshl_add_u32 v7, v7, 23, v14
	v_and_or_b32 v7, v13, s96, v7
	v_lshl_or_b32 v7, v12, 21, v7
                                        ; implicit-def: $vgpr12
.LBB6_7418:                             ;   in Loop: Header=BB6_7023 Depth=3
	s_andn2_saveexec_b64 s[70:71], s[70:71]
; %bb.7419:                             ;   in Loop: Header=BB6_7023 Depth=3
	v_mov_b32_e32 v7, -1
	v_cmp_gt_i16_sdwa vcc, sext(v18), v7 src0_sel:BYTE_0 src1_sel:DWORD
	v_mov_b32_e32 v7, 0xc7600000
	v_mov_b32_e32 v13, 0x47600000
	v_cndmask_b32_e32 v7, v7, v13, vcc
	v_cmp_eq_u32_e32 vcc, 0, v12
	v_mov_b32_e32 v12, 0x7f800001
	v_cndmask_b32_e32 v7, v12, v7, vcc
; %bb.7420:                             ;   in Loop: Header=BB6_7023 Depth=3
	s_or_b64 exec, exec, s[70:71]
.LBB6_7421:                             ;   in Loop: Header=BB6_7023 Depth=3
	s_or_b64 exec, exec, s[68:69]
.LBB6_7422:                             ;   in Loop: Header=BB6_7023 Depth=3
	s_or_b64 exec, exec, s[30:31]
	v_max_f32_e32 v7, v7, v7
	v_max_f32_e32 v6, v6, v6
	;; [unrolled: 1-line block ×3, first 2 shown]
	s_branch .LBB6_7443
.LBB6_7423:                             ;   in Loop: Header=BB6_7023 Depth=3
	s_andn2_saveexec_b64 s[28:29], s[30:31]
	s_cbranch_execz .LBB6_7405
.LBB6_7424:                             ;   in Loop: Header=BB6_7023 Depth=3
	v_or_b32_sdwa v6, v7, s39 dst_sel:DWORD dst_unused:UNUSED_PAD src0_sel:BYTE_3 src1_sel:DWORD
	v_cmp_eq_u64_e32 vcc, 0, v[50:51]
	v_cndmask_b32_e32 v16, v6, v16, vcc
	s_or_b64 exec, exec, s[28:29]
	v_cmp_ne_u16_sdwa s[28:29], v22, v51 src0_sel:BYTE_0 src1_sel:DWORD
	s_and_b64 vcc, exec, s[66:67]
	s_cbranch_vccnz .LBB6_7406
.LBB6_7425:                             ;   in Loop: Header=BB6_7023 Depth=3
                                        ; implicit-def: $vgpr6
	s_cbranch_execz .LBB6_7443
; %bb.7426:                             ;   in Loop: Header=BB6_7023 Depth=3
	v_mov_b32_e32 v7, 0
	v_mov_b32_e32 v6, 0
	s_and_saveexec_b64 s[30:31], s[28:29]
	s_cbranch_execz .LBB6_7434
; %bb.7427:                             ;   in Loop: Header=BB6_7023 Depth=3
	v_cmp_ne_u16_sdwa vcc, sext(v22), s94 src0_sel:BYTE_0 src1_sel:DWORD
	v_bfrev_b32_e32 v6, 1
	s_and_saveexec_b64 s[28:29], vcc
	s_cbranch_execz .LBB6_7433
; %bb.7428:                             ;   in Loop: Header=BB6_7023 Depth=3
	v_and_b32_e32 v6, 0x7c, v22
	v_and_b32_e32 v12, 3, v22
	v_cmp_ne_u32_e32 vcc, s95, v6
                                        ; implicit-def: $vgpr6
	s_and_saveexec_b64 s[68:69], vcc
	s_xor_b64 s[68:69], exec, s[68:69]
	s_cbranch_execz .LBB6_7430
; %bb.7429:                             ;   in Loop: Header=BB6_7023 Depth=3
	v_ffbh_u32_e32 v13, v12
	v_min_u32_e32 v13, 32, v13
	v_subrev_u32_e32 v14, 29, v13
	v_bfe_u32 v6, v22, 2, 5
	v_lshlrev_b64 v[14:15], v14, v[22:23]
	v_sub_u32_e32 v13, 30, v13
	v_and_b32_e32 v14, 3, v14
	v_cmp_eq_u32_e32 vcc, 0, v6
	v_cndmask_b32_e32 v6, v6, v13, vcc
	v_cndmask_b32_e32 v12, v12, v14, vcc
	v_bfrev_b32_e32 v14, 28
	v_lshlrev_b32_e32 v13, 24, v22
	v_lshl_add_u32 v6, v6, 23, v14
	v_and_or_b32 v6, v13, s96, v6
	v_lshl_or_b32 v6, v12, 21, v6
                                        ; implicit-def: $vgpr12
.LBB6_7430:                             ;   in Loop: Header=BB6_7023 Depth=3
	s_andn2_saveexec_b64 s[68:69], s[68:69]
; %bb.7431:                             ;   in Loop: Header=BB6_7023 Depth=3
	v_mov_b32_e32 v6, -1
	v_cmp_gt_i16_sdwa vcc, sext(v22), v6 src0_sel:BYTE_0 src1_sel:DWORD
	v_mov_b32_e32 v6, 0xc7600000
	v_mov_b32_e32 v13, 0x47600000
	v_cndmask_b32_e32 v6, v6, v13, vcc
	v_cmp_eq_u32_e32 vcc, 0, v12
	v_mov_b32_e32 v12, 0x7f800001
	v_cndmask_b32_e32 v6, v12, v6, vcc
; %bb.7432:                             ;   in Loop: Header=BB6_7023 Depth=3
	s_or_b64 exec, exec, s[68:69]
.LBB6_7433:                             ;   in Loop: Header=BB6_7023 Depth=3
	s_or_b64 exec, exec, s[28:29]
.LBB6_7434:                             ;   in Loop: Header=BB6_7023 Depth=3
	s_or_b64 exec, exec, s[30:31]
	v_cmp_ne_u16_sdwa vcc, sext(v18), v51 src0_sel:BYTE_0 src1_sel:DWORD
	s_and_saveexec_b64 s[28:29], vcc
	s_cbranch_execz .LBB6_7442
; %bb.7435:                             ;   in Loop: Header=BB6_7023 Depth=3
	v_cmp_ne_u16_sdwa vcc, sext(v18), s94 src0_sel:BYTE_0 src1_sel:DWORD
	v_bfrev_b32_e32 v7, 1
	s_and_saveexec_b64 s[30:31], vcc
	s_cbranch_execz .LBB6_7441
; %bb.7436:                             ;   in Loop: Header=BB6_7023 Depth=3
	v_and_b32_e32 v7, 0x7c, v18
	v_and_b32_e32 v12, 3, v18
	v_cmp_ne_u32_e32 vcc, s95, v7
                                        ; implicit-def: $vgpr7
	s_and_saveexec_b64 s[68:69], vcc
	s_xor_b64 s[68:69], exec, s[68:69]
	s_cbranch_execz .LBB6_7438
; %bb.7437:                             ;   in Loop: Header=BB6_7023 Depth=3
	v_ffbh_u32_e32 v13, v12
	v_min_u32_e32 v13, 32, v13
	v_subrev_u32_e32 v14, 29, v13
	v_bfe_u32 v7, v18, 2, 5
	v_lshlrev_b64 v[14:15], v14, v[18:19]
	v_sub_u32_e32 v13, 30, v13
	v_and_b32_e32 v14, 3, v14
	v_cmp_eq_u32_e32 vcc, 0, v7
	v_cndmask_b32_e32 v7, v7, v13, vcc
	v_cndmask_b32_e32 v12, v12, v14, vcc
	v_bfrev_b32_e32 v14, 28
	v_lshlrev_b32_e32 v13, 24, v18
	v_lshl_add_u32 v7, v7, 23, v14
	v_and_or_b32 v7, v13, s96, v7
	v_lshl_or_b32 v7, v12, 21, v7
                                        ; implicit-def: $vgpr12
.LBB6_7438:                             ;   in Loop: Header=BB6_7023 Depth=3
	s_andn2_saveexec_b64 s[68:69], s[68:69]
; %bb.7439:                             ;   in Loop: Header=BB6_7023 Depth=3
	v_mov_b32_e32 v7, -1
	v_cmp_gt_i16_sdwa vcc, sext(v18), v7 src0_sel:BYTE_0 src1_sel:DWORD
	v_mov_b32_e32 v7, 0xc7600000
	v_mov_b32_e32 v13, 0x47600000
	v_cndmask_b32_e32 v7, v7, v13, vcc
	v_cmp_eq_u32_e32 vcc, 0, v12
	v_mov_b32_e32 v12, 0x7f800001
	v_cndmask_b32_e32 v7, v12, v7, vcc
; %bb.7440:                             ;   in Loop: Header=BB6_7023 Depth=3
	s_or_b64 exec, exec, s[68:69]
.LBB6_7441:                             ;   in Loop: Header=BB6_7023 Depth=3
	s_or_b64 exec, exec, s[30:31]
.LBB6_7442:                             ;   in Loop: Header=BB6_7023 Depth=3
	s_or_b64 exec, exec, s[28:29]
	v_max_f32_e32 v7, v7, v7
	v_max_f32_e32 v6, v6, v6
	v_min_f32_e32 v6, v6, v7
.LBB6_7443:                             ;   in Loop: Header=BB6_7023 Depth=3
	v_and_b32_sdwa v12, v6, s97 dst_sel:DWORD dst_unused:UNUSED_PAD src0_sel:BYTE_3 src1_sel:DWORD
	v_and_b32_e32 v14, 0x7f800000, v6
	v_mov_b32_e32 v15, v51
	v_and_b32_e32 v50, 0x7fffff, v6
	v_or_b32_e32 v17, 0x7b, v12
	v_cmp_ne_u64_e32 vcc, s[52:53], v[14:15]
	s_and_saveexec_b64 s[28:29], vcc
	s_xor_b64 s[30:31], exec, s[28:29]
	s_cbranch_execz .LBB6_7453
; %bb.7444:                             ;   in Loop: Header=BB6_7023 Depth=3
	v_and_b32_e32 v14, 0x7fffffff, v6
	v_mov_b32_e32 v15, v51
	v_cmp_gt_u64_e32 vcc, s[54:55], v[14:15]
	s_and_saveexec_b64 s[68:69], vcc
	s_cbranch_execz .LBB6_7452
; %bb.7445:                             ;   in Loop: Header=BB6_7023 Depth=3
	v_cmp_ne_u32_e32 vcc, 0, v6
	v_mov_b32_e32 v17, 0
	s_and_saveexec_b64 s[70:71], vcc
	s_cbranch_execz .LBB6_7451
; %bb.7446:                             ;   in Loop: Header=BB6_7023 Depth=3
	v_bfe_u32 v6, v6, 23, 8
	v_cmp_eq_u32_e32 vcc, 0, v6
	v_add_u32_e32 v7, 0xffffff81, v6
	v_cmp_gt_u32_e64 s[28:29], s38, v6
	v_sub_u32_e32 v6, 0x71, v6
	v_mov_b32_e32 v14, 0xffffff82
	v_cndmask_b32_e64 v6, 0, v6, s[28:29]
	v_cndmask_b32_e32 v17, v7, v14, vcc
	v_mov_b32_e32 v7, 0x70
	v_cndmask_b32_e32 v20, v6, v7, vcc
	v_add_u32_e32 v6, 21, v20
	v_or_b32_e32 v13, 0x800000, v50
	v_lshlrev_b64 v[6:7], v6, -1
	v_cndmask_b32_e32 v50, v13, v50, vcc
	v_not_b32_e32 v7, v7
	v_not_b32_e32 v6, v6
	v_add_u32_e32 v13, 20, v20
	v_and_b32_e32 v7, 0, v7
	v_and_b32_e32 v6, v50, v6
	v_lshlrev_b64 v[14:15], v13, 1
	v_cmp_eq_u64_e32 vcc, v[6:7], v[14:15]
	v_lshrrev_b64 v[6:7], v20, v[50:51]
	v_lshrrev_b32_e32 v13, 23, v6
	v_add3_u32 v15, v20, v17, v13
	v_bfe_u32 v13, v6, 21, 1
	v_add_u32_e32 v13, -1, v13
	v_cndmask_b32_e32 v13, 0, v13, vcc
	v_add_u32_e32 v13, v13, v6
	v_and_b32_e32 v13, 0x1fffff, v13
	v_add_co_u32_e32 v6, vcc, v13, v6
	v_add_u32_e32 v14, 14, v15
	v_addc_co_u32_e32 v7, vcc, 0, v7, vcc
	v_cmp_ne_u32_e32 vcc, 0, v14
                                        ; implicit-def: $vgpr13
	s_and_saveexec_b64 s[28:29], vcc
	s_xor_b64 s[28:29], exec, s[28:29]
; %bb.7447:                             ;   in Loop: Header=BB6_7023 Depth=3
	v_add_u32_e32 v13, 15, v15
	v_cmp_lt_u64_e32 vcc, s[56:57], v[6:7]
	v_cndmask_b32_e32 v13, v14, v13, vcc
	v_cndmask_b32_e64 v14, 0, 1, vcc
	v_lshrrev_b64 v[6:7], v14, v[6:7]
; %bb.7448:                             ;   in Loop: Header=BB6_7023 Depth=3
	s_andn2_saveexec_b64 s[28:29], s[28:29]
; %bb.7449:                             ;   in Loop: Header=BB6_7023 Depth=3
	v_bfe_u32 v13, v6, 23, 1
; %bb.7450:                             ;   in Loop: Header=BB6_7023 Depth=3
	s_or_b64 exec, exec, s[28:29]
	v_lshrrev_b64 v[6:7], 21, v[6:7]
	v_cmp_gt_i32_e32 vcc, 32, v13
	v_cndmask_b32_e32 v7, 0, v7, vcc
	v_cndmask_b32_e32 v6, 3, v6, vcc
	v_cmp_eq_u64_e64 s[28:29], 0, v[6:7]
	v_min_i32_e32 v7, 31, v13
	v_cmp_eq_u32_e32 vcc, 0, v13
	v_lshlrev_b32_e32 v7, 2, v7
	v_and_or_b32 v6, v6, 3, v7
	s_and_b64 s[28:29], vcc, s[28:29]
	v_cndmask_b32_e64 v6, v6, 0, s[28:29]
	v_or_b32_e32 v17, v6, v12
.LBB6_7451:                             ;   in Loop: Header=BB6_7023 Depth=3
	s_or_b64 exec, exec, s[70:71]
.LBB6_7452:                             ;   in Loop: Header=BB6_7023 Depth=3
	s_or_b64 exec, exec, s[68:69]
                                        ; implicit-def: $vgpr6
.LBB6_7453:                             ;   in Loop: Header=BB6_7023 Depth=3
	s_andn2_saveexec_b64 s[28:29], s[30:31]
; %bb.7454:                             ;   in Loop: Header=BB6_7023 Depth=3
	v_or_b32_sdwa v6, v6, s39 dst_sel:DWORD dst_unused:UNUSED_PAD src0_sel:BYTE_3 src1_sel:DWORD
	v_cmp_eq_u64_e32 vcc, 0, v[50:51]
	v_cndmask_b32_e32 v17, v6, v17, vcc
; %bb.7455:                             ;   in Loop: Header=BB6_7023 Depth=3
	s_or_b64 exec, exec, s[28:29]
	v_lshrrev_b16_e32 v50, 8, v22
	v_lshrrev_b16_e32 v6, 8, v18
	v_cmp_ne_u16_e64 s[28:29], 0, v50
	s_and_b64 vcc, exec, s[66:67]
	s_cbranch_vccz .LBB6_7473
; %bb.7456:                             ;   in Loop: Header=BB6_7023 Depth=3
	v_mov_b32_e32 v7, 0
	v_mov_b32_e32 v12, 0
	s_and_saveexec_b64 s[30:31], s[28:29]
	s_cbranch_execz .LBB6_7464
; %bb.7457:                             ;   in Loop: Header=BB6_7023 Depth=3
	v_cmp_ne_u16_e32 vcc, s97, v50
	v_bfrev_b32_e32 v12, 1
	s_and_saveexec_b64 s[68:69], vcc
	s_cbranch_execz .LBB6_7463
; %bb.7458:                             ;   in Loop: Header=BB6_7023 Depth=3
	v_and_b32_e32 v12, 0x7c, v50
	v_and_b32_e32 v13, 3, v50
	v_cmp_ne_u32_e32 vcc, s95, v12
                                        ; implicit-def: $vgpr12
	s_and_saveexec_b64 s[70:71], vcc
	s_xor_b64 s[70:71], exec, s[70:71]
	s_cbranch_execz .LBB6_7460
; %bb.7459:                             ;   in Loop: Header=BB6_7023 Depth=3
	v_ffbh_u32_e32 v14, v13
	v_min_u32_e32 v20, 32, v14
	v_subrev_u32_e32 v14, 29, v20
	v_bfe_u32 v12, v50, 2, 5
	v_lshlrev_b64 v[14:15], v14, v[50:51]
	v_sub_u32_e32 v15, 30, v20
	v_cmp_eq_u32_e32 vcc, 0, v12
	v_and_b32_e32 v14, 3, v14
	v_cndmask_b32_e32 v12, v12, v15, vcc
	v_bfrev_b32_e32 v15, 28
	v_cndmask_b32_e32 v13, v13, v14, vcc
	v_lshlrev_b32_e32 v14, 16, v22
	v_lshl_add_u32 v12, v12, 23, v15
	v_and_or_b32 v12, v14, s96, v12
	v_lshl_or_b32 v12, v13, 21, v12
                                        ; implicit-def: $vgpr13
.LBB6_7460:                             ;   in Loop: Header=BB6_7023 Depth=3
	s_andn2_saveexec_b64 s[70:71], s[70:71]
; %bb.7461:                             ;   in Loop: Header=BB6_7023 Depth=3
	v_cmp_lt_i16_e32 vcc, -1, v22
	v_mov_b32_e32 v12, 0xc7600000
	v_mov_b32_e32 v14, 0x47600000
	v_cndmask_b32_e32 v12, v12, v14, vcc
	v_cmp_eq_u32_e32 vcc, 0, v13
	v_mov_b32_e32 v13, 0x7f800001
	v_cndmask_b32_e32 v12, v13, v12, vcc
; %bb.7462:                             ;   in Loop: Header=BB6_7023 Depth=3
	s_or_b64 exec, exec, s[70:71]
.LBB6_7463:                             ;   in Loop: Header=BB6_7023 Depth=3
	s_or_b64 exec, exec, s[68:69]
.LBB6_7464:                             ;   in Loop: Header=BB6_7023 Depth=3
	s_or_b64 exec, exec, s[30:31]
	v_cmp_ne_u16_e32 vcc, 0, v6
	s_and_saveexec_b64 s[30:31], vcc
	s_cbranch_execz .LBB6_7472
; %bb.7465:                             ;   in Loop: Header=BB6_7023 Depth=3
	v_cmp_ne_u16_e32 vcc, s97, v6
	v_bfrev_b32_e32 v7, 1
	s_and_saveexec_b64 s[68:69], vcc
	s_cbranch_execz .LBB6_7471
; %bb.7466:                             ;   in Loop: Header=BB6_7023 Depth=3
	v_and_b32_e32 v7, 0x7c, v6
	v_and_b32_e32 v13, 3, v6
	v_cmp_ne_u32_e32 vcc, s95, v7
                                        ; implicit-def: $vgpr7
	s_and_saveexec_b64 s[70:71], vcc
	s_xor_b64 s[70:71], exec, s[70:71]
	s_cbranch_execz .LBB6_7468
; %bb.7467:                             ;   in Loop: Header=BB6_7023 Depth=3
	v_ffbh_u32_e32 v14, v13
	v_min_u32_e32 v21, 32, v14
	v_mov_b32_e32 v7, v51
	v_bfe_u32 v20, v6, 2, 5
	v_subrev_u32_e32 v14, 29, v21
	v_lshlrev_b64 v[14:15], v14, v[6:7]
	v_sub_u32_e32 v7, 30, v21
	v_cmp_eq_u32_e32 vcc, 0, v20
	v_and_b32_e32 v14, 3, v14
	v_cndmask_b32_e32 v7, v20, v7, vcc
	v_bfrev_b32_e32 v15, 28
	v_cndmask_b32_e32 v13, v13, v14, vcc
	v_lshlrev_b32_e32 v14, 16, v18
	v_lshl_add_u32 v7, v7, 23, v15
	v_and_or_b32 v7, v14, s96, v7
	v_lshl_or_b32 v7, v13, 21, v7
                                        ; implicit-def: $vgpr13
.LBB6_7468:                             ;   in Loop: Header=BB6_7023 Depth=3
	s_andn2_saveexec_b64 s[70:71], s[70:71]
; %bb.7469:                             ;   in Loop: Header=BB6_7023 Depth=3
	v_cmp_lt_i16_e32 vcc, -1, v18
	v_mov_b32_e32 v7, 0xc7600000
	v_mov_b32_e32 v14, 0x47600000
	v_cndmask_b32_e32 v7, v7, v14, vcc
	v_cmp_eq_u32_e32 vcc, 0, v13
	v_mov_b32_e32 v13, 0x7f800001
	v_cndmask_b32_e32 v7, v13, v7, vcc
; %bb.7470:                             ;   in Loop: Header=BB6_7023 Depth=3
	s_or_b64 exec, exec, s[70:71]
.LBB6_7471:                             ;   in Loop: Header=BB6_7023 Depth=3
	s_or_b64 exec, exec, s[68:69]
.LBB6_7472:                             ;   in Loop: Header=BB6_7023 Depth=3
	s_or_b64 exec, exec, s[30:31]
	v_max_f32_e32 v7, v7, v7
	v_max_f32_e32 v12, v12, v12
	;; [unrolled: 1-line block ×3, first 2 shown]
	s_branch .LBB6_7491
.LBB6_7473:                             ;   in Loop: Header=BB6_7023 Depth=3
                                        ; implicit-def: $vgpr7
	s_cbranch_execz .LBB6_7491
; %bb.7474:                             ;   in Loop: Header=BB6_7023 Depth=3
	v_mov_b32_e32 v7, 0
	v_mov_b32_e32 v12, 0
	s_and_saveexec_b64 s[30:31], s[28:29]
	s_cbranch_execz .LBB6_7482
; %bb.7475:                             ;   in Loop: Header=BB6_7023 Depth=3
	v_cmp_ne_u16_e32 vcc, s97, v50
	v_bfrev_b32_e32 v12, 1
	s_and_saveexec_b64 s[28:29], vcc
	s_cbranch_execz .LBB6_7481
; %bb.7476:                             ;   in Loop: Header=BB6_7023 Depth=3
	v_and_b32_e32 v12, 0x7c, v50
	v_and_b32_e32 v13, 3, v50
	v_cmp_ne_u32_e32 vcc, s95, v12
                                        ; implicit-def: $vgpr12
	s_and_saveexec_b64 s[68:69], vcc
	s_xor_b64 s[68:69], exec, s[68:69]
	s_cbranch_execz .LBB6_7478
; %bb.7477:                             ;   in Loop: Header=BB6_7023 Depth=3
	v_ffbh_u32_e32 v14, v13
	v_min_u32_e32 v20, 32, v14
	v_subrev_u32_e32 v14, 29, v20
	v_bfe_u32 v12, v50, 2, 5
	v_lshlrev_b64 v[14:15], v14, v[50:51]
	v_sub_u32_e32 v15, 30, v20
	v_cmp_eq_u32_e32 vcc, 0, v12
	v_and_b32_e32 v14, 3, v14
	v_cndmask_b32_e32 v12, v12, v15, vcc
	v_bfrev_b32_e32 v15, 28
	v_cndmask_b32_e32 v13, v13, v14, vcc
	v_lshlrev_b32_e32 v14, 16, v22
	v_lshl_add_u32 v12, v12, 23, v15
	v_and_or_b32 v12, v14, s96, v12
	v_lshl_or_b32 v12, v13, 21, v12
                                        ; implicit-def: $vgpr13
.LBB6_7478:                             ;   in Loop: Header=BB6_7023 Depth=3
	s_andn2_saveexec_b64 s[68:69], s[68:69]
; %bb.7479:                             ;   in Loop: Header=BB6_7023 Depth=3
	v_cmp_lt_i16_e32 vcc, -1, v22
	v_mov_b32_e32 v12, 0xc7600000
	v_mov_b32_e32 v14, 0x47600000
	v_cndmask_b32_e32 v12, v12, v14, vcc
	v_cmp_eq_u32_e32 vcc, 0, v13
	v_mov_b32_e32 v13, 0x7f800001
	v_cndmask_b32_e32 v12, v13, v12, vcc
; %bb.7480:                             ;   in Loop: Header=BB6_7023 Depth=3
	s_or_b64 exec, exec, s[68:69]
.LBB6_7481:                             ;   in Loop: Header=BB6_7023 Depth=3
	s_or_b64 exec, exec, s[28:29]
.LBB6_7482:                             ;   in Loop: Header=BB6_7023 Depth=3
	s_or_b64 exec, exec, s[30:31]
	v_cmp_ne_u16_e32 vcc, 0, v6
	s_and_saveexec_b64 s[28:29], vcc
	s_cbranch_execz .LBB6_7490
; %bb.7483:                             ;   in Loop: Header=BB6_7023 Depth=3
	v_cmp_ne_u16_e32 vcc, s97, v6
	v_bfrev_b32_e32 v7, 1
	s_and_saveexec_b64 s[30:31], vcc
	s_cbranch_execz .LBB6_7489
; %bb.7484:                             ;   in Loop: Header=BB6_7023 Depth=3
	v_and_b32_e32 v7, 0x7c, v6
	v_and_b32_e32 v13, 3, v6
	v_cmp_ne_u32_e32 vcc, s95, v7
                                        ; implicit-def: $vgpr7
	s_and_saveexec_b64 s[68:69], vcc
	s_xor_b64 s[68:69], exec, s[68:69]
	s_cbranch_execz .LBB6_7486
; %bb.7485:                             ;   in Loop: Header=BB6_7023 Depth=3
	v_ffbh_u32_e32 v15, v13
	v_min_u32_e32 v15, 32, v15
	v_mov_b32_e32 v7, v51
	v_subrev_u32_e32 v20, 29, v15
	v_bfe_u32 v14, v6, 2, 5
	v_lshlrev_b64 v[6:7], v20, v[6:7]
	v_sub_u32_e32 v7, 30, v15
	v_cmp_eq_u32_e32 vcc, 0, v14
	v_and_b32_e32 v6, 3, v6
	v_cndmask_b32_e32 v7, v14, v7, vcc
	v_bfrev_b32_e32 v14, 28
	v_cndmask_b32_e32 v6, v13, v6, vcc
	v_lshlrev_b32_e32 v13, 16, v18
	v_lshl_add_u32 v7, v7, 23, v14
	v_and_or_b32 v7, v13, s96, v7
	v_lshl_or_b32 v7, v6, 21, v7
                                        ; implicit-def: $vgpr13
.LBB6_7486:                             ;   in Loop: Header=BB6_7023 Depth=3
	s_andn2_saveexec_b64 s[68:69], s[68:69]
; %bb.7487:                             ;   in Loop: Header=BB6_7023 Depth=3
	v_cmp_lt_i16_e32 vcc, -1, v18
	v_mov_b32_e32 v6, 0xc7600000
	v_mov_b32_e32 v7, 0x47600000
	v_cndmask_b32_e32 v6, v6, v7, vcc
	v_cmp_eq_u32_e32 vcc, 0, v13
	v_mov_b32_e32 v7, 0x7f800001
	v_cndmask_b32_e32 v7, v7, v6, vcc
; %bb.7488:                             ;   in Loop: Header=BB6_7023 Depth=3
	s_or_b64 exec, exec, s[68:69]
.LBB6_7489:                             ;   in Loop: Header=BB6_7023 Depth=3
	s_or_b64 exec, exec, s[30:31]
.LBB6_7490:                             ;   in Loop: Header=BB6_7023 Depth=3
	s_or_b64 exec, exec, s[28:29]
	v_max_f32_e32 v6, v7, v7
	v_max_f32_e32 v7, v12, v12
	v_min_f32_e32 v7, v7, v6
.LBB6_7491:                             ;   in Loop: Header=BB6_7023 Depth=3
	v_and_b32_sdwa v12, v7, s97 dst_sel:DWORD dst_unused:UNUSED_PAD src0_sel:BYTE_3 src1_sel:DWORD
	v_and_b32_e32 v14, 0x7f800000, v7
	v_mov_b32_e32 v15, v51
	v_and_b32_e32 v50, 0x7fffff, v7
	v_or_b32_e32 v20, 0x7b, v12
	v_cmp_ne_u64_e32 vcc, s[52:53], v[14:15]
	s_and_saveexec_b64 s[28:29], vcc
	s_xor_b64 s[30:31], exec, s[28:29]
	s_cbranch_execz .LBB6_7501
; %bb.7492:                             ;   in Loop: Header=BB6_7023 Depth=3
	v_and_b32_e32 v14, 0x7fffffff, v7
	v_mov_b32_e32 v15, v51
	v_cmp_gt_u64_e32 vcc, s[54:55], v[14:15]
	s_and_saveexec_b64 s[68:69], vcc
	s_cbranch_execz .LBB6_7500
; %bb.7493:                             ;   in Loop: Header=BB6_7023 Depth=3
	v_cmp_ne_u32_e32 vcc, 0, v7
	v_mov_b32_e32 v20, 0
	s_and_saveexec_b64 s[70:71], vcc
	s_cbranch_execz .LBB6_7499
; %bb.7494:                             ;   in Loop: Header=BB6_7023 Depth=3
	v_bfe_u32 v6, v7, 23, 8
	v_cmp_eq_u32_e32 vcc, 0, v6
	v_add_u32_e32 v7, 0xffffff81, v6
	v_cmp_gt_u32_e64 s[28:29], s38, v6
	v_sub_u32_e32 v6, 0x71, v6
	v_mov_b32_e32 v14, 0xffffff82
	v_cndmask_b32_e64 v6, 0, v6, s[28:29]
	v_cndmask_b32_e32 v20, v7, v14, vcc
	v_mov_b32_e32 v7, 0x70
	v_cndmask_b32_e32 v21, v6, v7, vcc
	v_add_u32_e32 v6, 21, v21
	v_or_b32_e32 v13, 0x800000, v50
	v_lshlrev_b64 v[6:7], v6, -1
	v_cndmask_b32_e32 v50, v13, v50, vcc
	v_not_b32_e32 v7, v7
	v_not_b32_e32 v6, v6
	v_add_u32_e32 v13, 20, v21
	v_and_b32_e32 v7, 0, v7
	v_and_b32_e32 v6, v50, v6
	v_lshlrev_b64 v[14:15], v13, 1
	v_cmp_eq_u64_e32 vcc, v[6:7], v[14:15]
	v_lshrrev_b64 v[6:7], v21, v[50:51]
	v_lshrrev_b32_e32 v13, 23, v6
	v_add3_u32 v15, v21, v20, v13
	v_bfe_u32 v13, v6, 21, 1
	v_add_u32_e32 v13, -1, v13
	v_cndmask_b32_e32 v13, 0, v13, vcc
	v_add_u32_e32 v13, v13, v6
	v_and_b32_e32 v13, 0x1fffff, v13
	v_add_co_u32_e32 v6, vcc, v13, v6
	v_add_u32_e32 v14, 14, v15
	v_addc_co_u32_e32 v7, vcc, 0, v7, vcc
	v_cmp_ne_u32_e32 vcc, 0, v14
                                        ; implicit-def: $vgpr13
	s_and_saveexec_b64 s[28:29], vcc
	s_xor_b64 s[28:29], exec, s[28:29]
; %bb.7495:                             ;   in Loop: Header=BB6_7023 Depth=3
	v_add_u32_e32 v13, 15, v15
	v_cmp_lt_u64_e32 vcc, s[56:57], v[6:7]
	v_cndmask_b32_e32 v13, v14, v13, vcc
	v_cndmask_b32_e64 v14, 0, 1, vcc
	v_lshrrev_b64 v[6:7], v14, v[6:7]
; %bb.7496:                             ;   in Loop: Header=BB6_7023 Depth=3
	s_andn2_saveexec_b64 s[28:29], s[28:29]
; %bb.7497:                             ;   in Loop: Header=BB6_7023 Depth=3
	v_bfe_u32 v13, v6, 23, 1
; %bb.7498:                             ;   in Loop: Header=BB6_7023 Depth=3
	s_or_b64 exec, exec, s[28:29]
	v_lshrrev_b64 v[6:7], 21, v[6:7]
	v_cmp_gt_i32_e32 vcc, 32, v13
	v_cndmask_b32_e32 v7, 0, v7, vcc
	v_cndmask_b32_e32 v6, 3, v6, vcc
	v_cmp_eq_u64_e64 s[28:29], 0, v[6:7]
	v_min_i32_e32 v7, 31, v13
	v_cmp_eq_u32_e32 vcc, 0, v13
	v_lshlrev_b32_e32 v7, 2, v7
	v_and_or_b32 v6, v6, 3, v7
	s_and_b64 s[28:29], vcc, s[28:29]
	v_cndmask_b32_e64 v6, v6, 0, s[28:29]
	v_or_b32_e32 v20, v6, v12
.LBB6_7499:                             ;   in Loop: Header=BB6_7023 Depth=3
	s_or_b64 exec, exec, s[70:71]
.LBB6_7500:                             ;   in Loop: Header=BB6_7023 Depth=3
	s_or_b64 exec, exec, s[68:69]
                                        ; implicit-def: $vgpr7
.LBB6_7501:                             ;   in Loop: Header=BB6_7023 Depth=3
	s_andn2_saveexec_b64 s[28:29], s[30:31]
; %bb.7502:                             ;   in Loop: Header=BB6_7023 Depth=3
	v_or_b32_sdwa v6, v7, s39 dst_sel:DWORD dst_unused:UNUSED_PAD src0_sel:BYTE_3 src1_sel:DWORD
	v_cmp_eq_u64_e32 vcc, 0, v[50:51]
	v_cndmask_b32_e32 v20, v6, v20, vcc
; %bb.7503:                             ;   in Loop: Header=BB6_7023 Depth=3
	s_or_b64 exec, exec, s[28:29]
	v_lshrrev_b32_e32 v12, 16, v22
	v_lshrrev_b32_e32 v6, 16, v18
	v_cmp_ne_u16_sdwa s[28:29], v12, v51 src0_sel:BYTE_0 src1_sel:DWORD
	s_and_b64 vcc, exec, s[66:67]
	s_cbranch_vccz .LBB6_7521
; %bb.7504:                             ;   in Loop: Header=BB6_7023 Depth=3
	v_mov_b32_e32 v13, 0
	v_mov_b32_e32 v7, 0
	s_and_saveexec_b64 s[30:31], s[28:29]
	s_cbranch_execz .LBB6_7512
; %bb.7505:                             ;   in Loop: Header=BB6_7023 Depth=3
	v_cmp_ne_u16_sdwa vcc, v12, s97 src0_sel:BYTE_0 src1_sel:DWORD
	v_bfrev_b32_e32 v7, 1
	s_and_saveexec_b64 s[68:69], vcc
	s_cbranch_execz .LBB6_7511
; %bb.7506:                             ;   in Loop: Header=BB6_7023 Depth=3
	v_and_b32_e32 v7, 0x7c0000, v22
	v_bfe_u32 v14, v22, 16, 2
	v_cmp_ne_u32_e32 vcc, s36, v7
                                        ; implicit-def: $vgpr7
	s_and_saveexec_b64 s[70:71], vcc
	s_xor_b64 s[70:71], exec, s[70:71]
	s_cbranch_execz .LBB6_7508
; %bb.7507:                             ;   in Loop: Header=BB6_7023 Depth=3
	v_ffbh_u32_e32 v15, v14
	v_min_u32_e32 v15, 32, v15
	v_subrev_u32_e32 v21, 29, v15
	v_bfe_u32 v7, v22, 18, 5
	v_lshlrev_b64 v[36:37], v21, v[12:13]
	v_sub_u32_e32 v15, 30, v15
	v_and_b32_e32 v21, 3, v36
	v_cmp_eq_u32_e32 vcc, 0, v7
	v_cndmask_b32_e32 v7, v7, v15, vcc
	v_cndmask_b32_e32 v14, v14, v21, vcc
	v_bfrev_b32_e32 v21, 28
	v_lshlrev_b32_e32 v15, 24, v12
	v_lshl_add_u32 v7, v7, 23, v21
	v_and_or_b32 v7, v15, s96, v7
	v_lshl_or_b32 v7, v14, 21, v7
                                        ; implicit-def: $vgpr14
.LBB6_7508:                             ;   in Loop: Header=BB6_7023 Depth=3
	s_andn2_saveexec_b64 s[70:71], s[70:71]
; %bb.7509:                             ;   in Loop: Header=BB6_7023 Depth=3
	v_mov_b32_e32 v7, -1
	v_cmp_gt_i16_sdwa vcc, sext(v12), v7 src0_sel:BYTE_0 src1_sel:DWORD
	v_mov_b32_e32 v7, 0xc7600000
	v_mov_b32_e32 v15, 0x47600000
	v_cndmask_b32_e32 v7, v7, v15, vcc
	v_cmp_eq_u32_e32 vcc, 0, v14
	v_mov_b32_e32 v14, 0x7f800001
	v_cndmask_b32_e32 v7, v14, v7, vcc
; %bb.7510:                             ;   in Loop: Header=BB6_7023 Depth=3
	s_or_b64 exec, exec, s[70:71]
.LBB6_7511:                             ;   in Loop: Header=BB6_7023 Depth=3
	s_or_b64 exec, exec, s[68:69]
.LBB6_7512:                             ;   in Loop: Header=BB6_7023 Depth=3
	s_or_b64 exec, exec, s[30:31]
	v_cmp_ne_u16_sdwa vcc, v6, v51 src0_sel:BYTE_0 src1_sel:DWORD
	s_and_saveexec_b64 s[30:31], vcc
	s_cbranch_execz .LBB6_7520
; %bb.7513:                             ;   in Loop: Header=BB6_7023 Depth=3
	v_cmp_ne_u16_sdwa vcc, v6, s97 src0_sel:BYTE_0 src1_sel:DWORD
	v_bfrev_b32_e32 v13, 1
	s_and_saveexec_b64 s[68:69], vcc
	s_cbranch_execz .LBB6_7519
; %bb.7514:                             ;   in Loop: Header=BB6_7023 Depth=3
	v_and_b32_e32 v13, 0x7c0000, v18
	v_bfe_u32 v14, v18, 16, 2
	v_cmp_ne_u32_e32 vcc, s36, v13
                                        ; implicit-def: $vgpr13
	s_and_saveexec_b64 s[70:71], vcc
	s_xor_b64 s[70:71], exec, s[70:71]
	s_cbranch_execz .LBB6_7516
; %bb.7515:                             ;   in Loop: Header=BB6_7023 Depth=3
	v_ffbh_u32_e32 v15, v14
	v_min_u32_e32 v15, 32, v15
	v_subrev_u32_e32 v21, 29, v15
	v_bfe_u32 v13, v18, 18, 5
	v_lshlrev_b64 v[36:37], v21, v[6:7]
	v_sub_u32_e32 v15, 30, v15
	v_and_b32_e32 v21, 3, v36
	v_cmp_eq_u32_e32 vcc, 0, v13
	v_cndmask_b32_e32 v13, v13, v15, vcc
	v_cndmask_b32_e32 v14, v14, v21, vcc
	v_bfrev_b32_e32 v21, 28
	v_lshlrev_b32_e32 v15, 24, v6
	v_lshl_add_u32 v13, v13, 23, v21
	v_and_or_b32 v13, v15, s96, v13
	v_lshl_or_b32 v13, v14, 21, v13
                                        ; implicit-def: $vgpr14
.LBB6_7516:                             ;   in Loop: Header=BB6_7023 Depth=3
	s_andn2_saveexec_b64 s[70:71], s[70:71]
; %bb.7517:                             ;   in Loop: Header=BB6_7023 Depth=3
	v_mov_b32_e32 v13, -1
	v_cmp_gt_i16_sdwa vcc, sext(v6), v13 src0_sel:BYTE_0 src1_sel:DWORD
	v_mov_b32_e32 v13, 0xc7600000
	v_mov_b32_e32 v15, 0x47600000
	v_cndmask_b32_e32 v13, v13, v15, vcc
	v_cmp_eq_u32_e32 vcc, 0, v14
	v_mov_b32_e32 v14, 0x7f800001
	v_cndmask_b32_e32 v13, v14, v13, vcc
; %bb.7518:                             ;   in Loop: Header=BB6_7023 Depth=3
	s_or_b64 exec, exec, s[70:71]
.LBB6_7519:                             ;   in Loop: Header=BB6_7023 Depth=3
	s_or_b64 exec, exec, s[68:69]
.LBB6_7520:                             ;   in Loop: Header=BB6_7023 Depth=3
	s_or_b64 exec, exec, s[30:31]
	v_max_f32_e32 v13, v13, v13
	v_max_f32_e32 v7, v7, v7
	;; [unrolled: 1-line block ×3, first 2 shown]
	s_branch .LBB6_7539
.LBB6_7521:                             ;   in Loop: Header=BB6_7023 Depth=3
                                        ; implicit-def: $vgpr7
	s_cbranch_execz .LBB6_7539
; %bb.7522:                             ;   in Loop: Header=BB6_7023 Depth=3
	v_mov_b32_e32 v13, 0
	v_mov_b32_e32 v7, 0
	s_and_saveexec_b64 s[30:31], s[28:29]
	s_cbranch_execz .LBB6_7530
; %bb.7523:                             ;   in Loop: Header=BB6_7023 Depth=3
	v_cmp_ne_u16_sdwa vcc, v12, s97 src0_sel:BYTE_0 src1_sel:DWORD
	v_bfrev_b32_e32 v7, 1
	s_and_saveexec_b64 s[28:29], vcc
	s_cbranch_execz .LBB6_7529
; %bb.7524:                             ;   in Loop: Header=BB6_7023 Depth=3
	v_and_b32_e32 v7, 0x7c0000, v22
	v_bfe_u32 v14, v22, 16, 2
	v_cmp_ne_u32_e32 vcc, s36, v7
                                        ; implicit-def: $vgpr7
	s_and_saveexec_b64 s[68:69], vcc
	s_xor_b64 s[68:69], exec, s[68:69]
	s_cbranch_execz .LBB6_7526
; %bb.7525:                             ;   in Loop: Header=BB6_7023 Depth=3
	v_ffbh_u32_e32 v15, v14
	v_bfe_u32 v7, v22, 18, 5
	v_min_u32_e32 v15, 32, v15
	v_subrev_u32_e32 v21, 29, v15
	v_sub_u32_e32 v15, 30, v15
	v_cmp_eq_u32_e32 vcc, 0, v7
	v_lshlrev_b64 v[36:37], v21, v[12:13]
	v_cndmask_b32_e32 v7, v7, v15, vcc
	v_bfrev_b32_e32 v15, 28
	v_and_b32_e32 v21, 3, v36
	v_lshlrev_b32_e32 v12, 24, v12
	v_lshl_add_u32 v7, v7, 23, v15
	v_cndmask_b32_e32 v14, v14, v21, vcc
	v_and_or_b32 v7, v12, s96, v7
	v_lshl_or_b32 v7, v14, 21, v7
                                        ; implicit-def: $vgpr14
                                        ; implicit-def: $vgpr12
.LBB6_7526:                             ;   in Loop: Header=BB6_7023 Depth=3
	s_andn2_saveexec_b64 s[68:69], s[68:69]
; %bb.7527:                             ;   in Loop: Header=BB6_7023 Depth=3
	v_mov_b32_e32 v7, -1
	v_cmp_gt_i16_sdwa vcc, sext(v12), v7 src0_sel:BYTE_0 src1_sel:DWORD
	v_mov_b32_e32 v7, 0xc7600000
	v_mov_b32_e32 v12, 0x47600000
	v_cndmask_b32_e32 v7, v7, v12, vcc
	v_cmp_eq_u32_e32 vcc, 0, v14
	v_mov_b32_e32 v12, 0x7f800001
	v_cndmask_b32_e32 v7, v12, v7, vcc
; %bb.7528:                             ;   in Loop: Header=BB6_7023 Depth=3
	s_or_b64 exec, exec, s[68:69]
.LBB6_7529:                             ;   in Loop: Header=BB6_7023 Depth=3
	s_or_b64 exec, exec, s[28:29]
.LBB6_7530:                             ;   in Loop: Header=BB6_7023 Depth=3
	s_or_b64 exec, exec, s[30:31]
	v_cmp_ne_u16_sdwa vcc, v6, v51 src0_sel:BYTE_0 src1_sel:DWORD
	s_and_saveexec_b64 s[28:29], vcc
	s_cbranch_execz .LBB6_7538
; %bb.7531:                             ;   in Loop: Header=BB6_7023 Depth=3
	v_cmp_ne_u16_sdwa vcc, v6, s97 src0_sel:BYTE_0 src1_sel:DWORD
	v_bfrev_b32_e32 v13, 1
	s_and_saveexec_b64 s[30:31], vcc
	s_cbranch_execz .LBB6_7537
; %bb.7532:                             ;   in Loop: Header=BB6_7023 Depth=3
	v_and_b32_e32 v13, 0x7c0000, v18
	v_bfe_u32 v12, v18, 16, 2
	v_cmp_ne_u32_e32 vcc, s36, v13
                                        ; implicit-def: $vgpr13
	s_and_saveexec_b64 s[68:69], vcc
	s_xor_b64 s[68:69], exec, s[68:69]
	s_cbranch_execz .LBB6_7534
; %bb.7533:                             ;   in Loop: Header=BB6_7023 Depth=3
	v_ffbh_u32_e32 v14, v12
	v_min_u32_e32 v21, 32, v14
	v_subrev_u32_e32 v14, 29, v21
	v_bfe_u32 v13, v18, 18, 5
	v_lshlrev_b64 v[14:15], v14, v[6:7]
	v_sub_u32_e32 v15, 30, v21
	v_and_b32_e32 v14, 3, v14
	v_cmp_eq_u32_e32 vcc, 0, v13
	v_cndmask_b32_e32 v13, v13, v15, vcc
	v_cndmask_b32_e32 v12, v12, v14, vcc
	v_bfrev_b32_e32 v14, 28
	v_lshlrev_b32_e32 v6, 24, v6
	v_lshl_add_u32 v13, v13, 23, v14
	v_and_or_b32 v6, v6, s96, v13
	v_lshl_or_b32 v13, v12, 21, v6
                                        ; implicit-def: $vgpr12
                                        ; implicit-def: $vgpr6
.LBB6_7534:                             ;   in Loop: Header=BB6_7023 Depth=3
	s_andn2_saveexec_b64 s[68:69], s[68:69]
; %bb.7535:                             ;   in Loop: Header=BB6_7023 Depth=3
	v_mov_b32_e32 v13, -1
	v_cmp_gt_i16_sdwa vcc, sext(v6), v13 src0_sel:BYTE_0 src1_sel:DWORD
	v_mov_b32_e32 v6, 0xc7600000
	v_mov_b32_e32 v13, 0x47600000
	v_cndmask_b32_e32 v6, v6, v13, vcc
	v_cmp_eq_u32_e32 vcc, 0, v12
	v_mov_b32_e32 v12, 0x7f800001
	v_cndmask_b32_e32 v13, v12, v6, vcc
; %bb.7536:                             ;   in Loop: Header=BB6_7023 Depth=3
	s_or_b64 exec, exec, s[68:69]
.LBB6_7537:                             ;   in Loop: Header=BB6_7023 Depth=3
	s_or_b64 exec, exec, s[30:31]
.LBB6_7538:                             ;   in Loop: Header=BB6_7023 Depth=3
	s_or_b64 exec, exec, s[28:29]
	v_max_f32_e32 v6, v13, v13
	v_max_f32_e32 v7, v7, v7
	v_min_f32_e32 v7, v7, v6
.LBB6_7539:                             ;   in Loop: Header=BB6_7023 Depth=3
	v_and_b32_sdwa v12, v7, s97 dst_sel:DWORD dst_unused:UNUSED_PAD src0_sel:BYTE_3 src1_sel:DWORD
	v_and_b32_e32 v14, 0x7f800000, v7
	v_mov_b32_e32 v15, v51
	v_and_b32_e32 v50, 0x7fffff, v7
	v_or_b32_e32 v21, 0x7b, v12
	v_cmp_ne_u64_e32 vcc, s[52:53], v[14:15]
	s_and_saveexec_b64 s[28:29], vcc
	s_xor_b64 s[30:31], exec, s[28:29]
	s_cbranch_execz .LBB6_7549
; %bb.7540:                             ;   in Loop: Header=BB6_7023 Depth=3
	v_and_b32_e32 v14, 0x7fffffff, v7
	v_mov_b32_e32 v15, v51
	v_cmp_gt_u64_e32 vcc, s[54:55], v[14:15]
	s_and_saveexec_b64 s[68:69], vcc
	s_cbranch_execz .LBB6_7548
; %bb.7541:                             ;   in Loop: Header=BB6_7023 Depth=3
	v_cmp_ne_u32_e32 vcc, 0, v7
	v_mov_b32_e32 v21, 0
	s_and_saveexec_b64 s[70:71], vcc
	s_cbranch_execz .LBB6_7547
; %bb.7542:                             ;   in Loop: Header=BB6_7023 Depth=3
	v_bfe_u32 v6, v7, 23, 8
	v_cmp_eq_u32_e32 vcc, 0, v6
	v_add_u32_e32 v7, 0xffffff81, v6
	v_cmp_gt_u32_e64 s[28:29], s38, v6
	v_sub_u32_e32 v6, 0x71, v6
	v_mov_b32_e32 v14, 0xffffff82
	v_cndmask_b32_e64 v6, 0, v6, s[28:29]
	v_cndmask_b32_e32 v21, v7, v14, vcc
	v_mov_b32_e32 v7, 0x70
	v_cndmask_b32_e32 v35, v6, v7, vcc
	v_add_u32_e32 v6, 21, v35
	v_or_b32_e32 v13, 0x800000, v50
	v_lshlrev_b64 v[6:7], v6, -1
	v_cndmask_b32_e32 v50, v13, v50, vcc
	v_not_b32_e32 v7, v7
	v_not_b32_e32 v6, v6
	v_add_u32_e32 v13, 20, v35
	v_and_b32_e32 v7, 0, v7
	v_and_b32_e32 v6, v50, v6
	v_lshlrev_b64 v[14:15], v13, 1
	v_cmp_eq_u64_e32 vcc, v[6:7], v[14:15]
	v_lshrrev_b64 v[6:7], v35, v[50:51]
	v_lshrrev_b32_e32 v13, 23, v6
	v_add3_u32 v15, v35, v21, v13
	v_bfe_u32 v13, v6, 21, 1
	v_add_u32_e32 v13, -1, v13
	v_cndmask_b32_e32 v13, 0, v13, vcc
	v_add_u32_e32 v13, v13, v6
	v_and_b32_e32 v13, 0x1fffff, v13
	v_add_co_u32_e32 v6, vcc, v13, v6
	v_add_u32_e32 v14, 14, v15
	v_addc_co_u32_e32 v7, vcc, 0, v7, vcc
	v_cmp_ne_u32_e32 vcc, 0, v14
                                        ; implicit-def: $vgpr13
	s_and_saveexec_b64 s[28:29], vcc
	s_xor_b64 s[28:29], exec, s[28:29]
; %bb.7543:                             ;   in Loop: Header=BB6_7023 Depth=3
	v_add_u32_e32 v13, 15, v15
	v_cmp_lt_u64_e32 vcc, s[56:57], v[6:7]
	v_cndmask_b32_e32 v13, v14, v13, vcc
	v_cndmask_b32_e64 v14, 0, 1, vcc
	v_lshrrev_b64 v[6:7], v14, v[6:7]
; %bb.7544:                             ;   in Loop: Header=BB6_7023 Depth=3
	s_andn2_saveexec_b64 s[28:29], s[28:29]
; %bb.7545:                             ;   in Loop: Header=BB6_7023 Depth=3
	v_bfe_u32 v13, v6, 23, 1
; %bb.7546:                             ;   in Loop: Header=BB6_7023 Depth=3
	s_or_b64 exec, exec, s[28:29]
	v_lshrrev_b64 v[6:7], 21, v[6:7]
	v_cmp_gt_i32_e32 vcc, 32, v13
	v_cndmask_b32_e32 v7, 0, v7, vcc
	v_cndmask_b32_e32 v6, 3, v6, vcc
	v_cmp_eq_u64_e64 s[28:29], 0, v[6:7]
	v_min_i32_e32 v7, 31, v13
	v_cmp_eq_u32_e32 vcc, 0, v13
	v_lshlrev_b32_e32 v7, 2, v7
	v_and_or_b32 v6, v6, 3, v7
	s_and_b64 s[28:29], vcc, s[28:29]
	v_cndmask_b32_e64 v6, v6, 0, s[28:29]
	v_or_b32_e32 v21, v6, v12
.LBB6_7547:                             ;   in Loop: Header=BB6_7023 Depth=3
	s_or_b64 exec, exec, s[70:71]
.LBB6_7548:                             ;   in Loop: Header=BB6_7023 Depth=3
	s_or_b64 exec, exec, s[68:69]
                                        ; implicit-def: $vgpr7
.LBB6_7549:                             ;   in Loop: Header=BB6_7023 Depth=3
	s_andn2_saveexec_b64 s[28:29], s[30:31]
; %bb.7550:                             ;   in Loop: Header=BB6_7023 Depth=3
	v_or_b32_sdwa v6, v7, s39 dst_sel:DWORD dst_unused:UNUSED_PAD src0_sel:BYTE_3 src1_sel:DWORD
	v_cmp_eq_u64_e32 vcc, 0, v[50:51]
	v_cndmask_b32_e32 v21, v6, v21, vcc
; %bb.7551:                             ;   in Loop: Header=BB6_7023 Depth=3
	s_or_b64 exec, exec, s[28:29]
	v_lshrrev_b32_e32 v12, 24, v22
	v_lshrrev_b32_e32 v6, 24, v18
	v_cmp_lt_u32_e64 s[28:29], s43, v22
	s_and_b64 vcc, exec, s[66:67]
	s_cbranch_vccz .LBB6_7569
; %bb.7552:                             ;   in Loop: Header=BB6_7023 Depth=3
	v_mov_b32_e32 v13, 0
	v_mov_b32_e32 v7, 0
	s_and_saveexec_b64 s[30:31], s[28:29]
	s_cbranch_execz .LBB6_7560
; %bb.7553:                             ;   in Loop: Header=BB6_7023 Depth=3
	v_cmp_ne_u32_e32 vcc, s97, v12
	v_bfrev_b32_e32 v7, 1
	s_and_saveexec_b64 s[68:69], vcc
	s_cbranch_execz .LBB6_7559
; %bb.7554:                             ;   in Loop: Header=BB6_7023 Depth=3
	v_and_b32_e32 v7, 0x7c000000, v22
	v_bfe_u32 v14, v22, 24, 2
	v_cmp_ne_u32_e32 vcc, s37, v7
                                        ; implicit-def: $vgpr7
	s_and_saveexec_b64 s[70:71], vcc
	s_xor_b64 s[70:71], exec, s[70:71]
	s_cbranch_execz .LBB6_7556
; %bb.7555:                             ;   in Loop: Header=BB6_7023 Depth=3
	v_ffbh_u32_e32 v15, v14
	v_bfe_u32 v7, v22, 26, 5
	v_min_u32_e32 v15, 32, v15
	v_subrev_u32_e32 v35, 29, v15
	v_sub_u32_e32 v15, 30, v15
	v_cmp_eq_u32_e32 vcc, 0, v7
	v_lshlrev_b64 v[36:37], v35, v[12:13]
	v_cndmask_b32_e32 v7, v7, v15, vcc
	v_bfrev_b32_e32 v15, 28
	v_and_b32_e32 v35, 3, v36
	v_lshl_add_u32 v7, v7, 23, v15
	v_cndmask_b32_e32 v14, v14, v35, vcc
	v_and_or_b32 v7, v22, s96, v7
	v_lshl_or_b32 v7, v14, 21, v7
                                        ; implicit-def: $vgpr14
.LBB6_7556:                             ;   in Loop: Header=BB6_7023 Depth=3
	s_andn2_saveexec_b64 s[70:71], s[70:71]
; %bb.7557:                             ;   in Loop: Header=BB6_7023 Depth=3
	v_cmp_lt_i32_e32 vcc, -1, v22
	v_mov_b32_e32 v7, 0xc7600000
	v_mov_b32_e32 v15, 0x47600000
	v_cndmask_b32_e32 v7, v7, v15, vcc
	v_cmp_eq_u32_e32 vcc, 0, v14
	v_mov_b32_e32 v14, 0x7f800001
	v_cndmask_b32_e32 v7, v14, v7, vcc
; %bb.7558:                             ;   in Loop: Header=BB6_7023 Depth=3
	s_or_b64 exec, exec, s[70:71]
.LBB6_7559:                             ;   in Loop: Header=BB6_7023 Depth=3
	s_or_b64 exec, exec, s[68:69]
.LBB6_7560:                             ;   in Loop: Header=BB6_7023 Depth=3
	s_or_b64 exec, exec, s[30:31]
	v_cmp_lt_u32_e32 vcc, s43, v18
	s_and_saveexec_b64 s[30:31], vcc
	s_cbranch_execz .LBB6_7568
; %bb.7561:                             ;   in Loop: Header=BB6_7023 Depth=3
	v_cmp_ne_u32_e32 vcc, s97, v6
	v_bfrev_b32_e32 v13, 1
	s_and_saveexec_b64 s[68:69], vcc
	s_cbranch_execz .LBB6_7567
; %bb.7562:                             ;   in Loop: Header=BB6_7023 Depth=3
	v_and_b32_e32 v13, 0x7c000000, v18
	v_bfe_u32 v14, v18, 24, 2
	v_cmp_ne_u32_e32 vcc, s37, v13
                                        ; implicit-def: $vgpr13
	s_and_saveexec_b64 s[70:71], vcc
	s_xor_b64 s[70:71], exec, s[70:71]
	s_cbranch_execz .LBB6_7564
; %bb.7563:                             ;   in Loop: Header=BB6_7023 Depth=3
	v_ffbh_u32_e32 v15, v14
	v_bfe_u32 v13, v18, 26, 5
	v_min_u32_e32 v15, 32, v15
	v_subrev_u32_e32 v35, 29, v15
	v_sub_u32_e32 v15, 30, v15
	v_cmp_eq_u32_e32 vcc, 0, v13
	v_lshlrev_b64 v[36:37], v35, v[6:7]
	v_cndmask_b32_e32 v13, v13, v15, vcc
	v_bfrev_b32_e32 v15, 28
	v_and_b32_e32 v35, 3, v36
	v_lshl_add_u32 v13, v13, 23, v15
	v_cndmask_b32_e32 v14, v14, v35, vcc
	v_and_or_b32 v13, v18, s96, v13
	v_lshl_or_b32 v13, v14, 21, v13
                                        ; implicit-def: $vgpr14
.LBB6_7564:                             ;   in Loop: Header=BB6_7023 Depth=3
	s_andn2_saveexec_b64 s[70:71], s[70:71]
; %bb.7565:                             ;   in Loop: Header=BB6_7023 Depth=3
	v_cmp_lt_i32_e32 vcc, -1, v18
	v_mov_b32_e32 v13, 0xc7600000
	v_mov_b32_e32 v15, 0x47600000
	v_cndmask_b32_e32 v13, v13, v15, vcc
	v_cmp_eq_u32_e32 vcc, 0, v14
	v_mov_b32_e32 v14, 0x7f800001
	v_cndmask_b32_e32 v13, v14, v13, vcc
; %bb.7566:                             ;   in Loop: Header=BB6_7023 Depth=3
	s_or_b64 exec, exec, s[70:71]
.LBB6_7567:                             ;   in Loop: Header=BB6_7023 Depth=3
	s_or_b64 exec, exec, s[68:69]
.LBB6_7568:                             ;   in Loop: Header=BB6_7023 Depth=3
	s_or_b64 exec, exec, s[30:31]
	v_max_f32_e32 v13, v13, v13
	v_max_f32_e32 v7, v7, v7
	;; [unrolled: 1-line block ×3, first 2 shown]
	s_branch .LBB6_7587
.LBB6_7569:                             ;   in Loop: Header=BB6_7023 Depth=3
                                        ; implicit-def: $vgpr7
	s_cbranch_execz .LBB6_7587
; %bb.7570:                             ;   in Loop: Header=BB6_7023 Depth=3
	v_mov_b32_e32 v13, 0
	v_mov_b32_e32 v7, 0
	s_and_saveexec_b64 s[30:31], s[28:29]
	s_cbranch_execz .LBB6_7578
; %bb.7571:                             ;   in Loop: Header=BB6_7023 Depth=3
	v_cmp_ne_u32_e32 vcc, s97, v12
	v_bfrev_b32_e32 v7, 1
	s_and_saveexec_b64 s[28:29], vcc
	s_cbranch_execz .LBB6_7577
; %bb.7572:                             ;   in Loop: Header=BB6_7023 Depth=3
	v_and_b32_e32 v7, 0x7c000000, v22
	v_bfe_u32 v14, v22, 24, 2
	v_cmp_ne_u32_e32 vcc, s37, v7
                                        ; implicit-def: $vgpr7
	s_and_saveexec_b64 s[68:69], vcc
	s_xor_b64 s[68:69], exec, s[68:69]
	s_cbranch_execz .LBB6_7574
; %bb.7573:                             ;   in Loop: Header=BB6_7023 Depth=3
	v_ffbh_u32_e32 v15, v14
	v_min_u32_e32 v15, 32, v15
	v_subrev_u32_e32 v35, 29, v15
	v_bfe_u32 v7, v22, 26, 5
	v_lshlrev_b64 v[36:37], v35, v[12:13]
	v_sub_u32_e32 v12, 30, v15
	v_and_b32_e32 v15, 3, v36
	v_cmp_eq_u32_e32 vcc, 0, v7
	v_cndmask_b32_e32 v7, v7, v12, vcc
	v_cndmask_b32_e32 v12, v14, v15, vcc
	v_bfrev_b32_e32 v14, 28
	v_lshl_add_u32 v7, v7, 23, v14
	v_and_or_b32 v7, v22, s96, v7
	v_lshl_or_b32 v7, v12, 21, v7
                                        ; implicit-def: $vgpr14
.LBB6_7574:                             ;   in Loop: Header=BB6_7023 Depth=3
	s_andn2_saveexec_b64 s[68:69], s[68:69]
; %bb.7575:                             ;   in Loop: Header=BB6_7023 Depth=3
	v_cmp_lt_i32_e32 vcc, -1, v22
	v_mov_b32_e32 v7, 0xc7600000
	v_mov_b32_e32 v12, 0x47600000
	v_cndmask_b32_e32 v7, v7, v12, vcc
	v_cmp_eq_u32_e32 vcc, 0, v14
	v_mov_b32_e32 v12, 0x7f800001
	v_cndmask_b32_e32 v7, v12, v7, vcc
; %bb.7576:                             ;   in Loop: Header=BB6_7023 Depth=3
	s_or_b64 exec, exec, s[68:69]
.LBB6_7577:                             ;   in Loop: Header=BB6_7023 Depth=3
	s_or_b64 exec, exec, s[28:29]
.LBB6_7578:                             ;   in Loop: Header=BB6_7023 Depth=3
	s_or_b64 exec, exec, s[30:31]
	v_cmp_lt_u32_e32 vcc, s43, v18
	s_and_saveexec_b64 s[28:29], vcc
	s_cbranch_execz .LBB6_7586
; %bb.7579:                             ;   in Loop: Header=BB6_7023 Depth=3
	v_cmp_ne_u32_e32 vcc, s97, v6
	v_bfrev_b32_e32 v13, 1
	s_and_saveexec_b64 s[30:31], vcc
	s_cbranch_execz .LBB6_7585
; %bb.7580:                             ;   in Loop: Header=BB6_7023 Depth=3
	v_and_b32_e32 v13, 0x7c000000, v18
	v_bfe_u32 v12, v18, 24, 2
	v_cmp_ne_u32_e32 vcc, s37, v13
                                        ; implicit-def: $vgpr13
	s_and_saveexec_b64 s[68:69], vcc
	s_xor_b64 s[68:69], exec, s[68:69]
	s_cbranch_execz .LBB6_7582
; %bb.7581:                             ;   in Loop: Header=BB6_7023 Depth=3
	v_ffbh_u32_e32 v14, v12
	v_min_u32_e32 v35, 32, v14
	v_bfe_u32 v13, v18, 26, 5
	v_subrev_u32_e32 v14, 29, v35
	v_lshlrev_b64 v[14:15], v14, v[6:7]
	v_sub_u32_e32 v6, 30, v35
	v_cmp_eq_u32_e32 vcc, 0, v13
	v_cndmask_b32_e32 v6, v13, v6, vcc
	v_bfrev_b32_e32 v13, 28
	v_and_b32_e32 v14, 3, v14
	v_lshl_add_u32 v6, v6, 23, v13
	v_cndmask_b32_e32 v12, v12, v14, vcc
	v_and_or_b32 v6, v18, s96, v6
	v_lshl_or_b32 v13, v12, 21, v6
                                        ; implicit-def: $vgpr12
.LBB6_7582:                             ;   in Loop: Header=BB6_7023 Depth=3
	s_andn2_saveexec_b64 s[68:69], s[68:69]
; %bb.7583:                             ;   in Loop: Header=BB6_7023 Depth=3
	v_cmp_lt_i32_e32 vcc, -1, v18
	v_mov_b32_e32 v6, 0xc7600000
	v_mov_b32_e32 v13, 0x47600000
	v_cndmask_b32_e32 v6, v6, v13, vcc
	v_cmp_eq_u32_e32 vcc, 0, v12
	v_mov_b32_e32 v12, 0x7f800001
	v_cndmask_b32_e32 v13, v12, v6, vcc
; %bb.7584:                             ;   in Loop: Header=BB6_7023 Depth=3
	s_or_b64 exec, exec, s[68:69]
.LBB6_7585:                             ;   in Loop: Header=BB6_7023 Depth=3
	s_or_b64 exec, exec, s[30:31]
.LBB6_7586:                             ;   in Loop: Header=BB6_7023 Depth=3
	s_or_b64 exec, exec, s[28:29]
	v_max_f32_e32 v6, v13, v13
	v_max_f32_e32 v7, v7, v7
	v_min_f32_e32 v7, v7, v6
.LBB6_7587:                             ;   in Loop: Header=BB6_7023 Depth=3
	v_and_b32_sdwa v12, v7, s97 dst_sel:DWORD dst_unused:UNUSED_PAD src0_sel:BYTE_3 src1_sel:DWORD
	v_and_b32_e32 v14, 0x7f800000, v7
	v_mov_b32_e32 v15, v51
	v_and_b32_e32 v50, 0x7fffff, v7
	v_or_b32_e32 v35, 0x7b, v12
	v_cmp_ne_u64_e32 vcc, s[52:53], v[14:15]
	s_and_saveexec_b64 s[28:29], vcc
	s_xor_b64 s[30:31], exec, s[28:29]
	s_cbranch_execz .LBB6_7597
; %bb.7588:                             ;   in Loop: Header=BB6_7023 Depth=3
	v_and_b32_e32 v14, 0x7fffffff, v7
	v_mov_b32_e32 v15, v51
	v_cmp_gt_u64_e32 vcc, s[54:55], v[14:15]
	s_and_saveexec_b64 s[68:69], vcc
	s_cbranch_execz .LBB6_7596
; %bb.7589:                             ;   in Loop: Header=BB6_7023 Depth=3
	v_cmp_ne_u32_e32 vcc, 0, v7
	v_mov_b32_e32 v35, 0
	s_and_saveexec_b64 s[70:71], vcc
	s_cbranch_execz .LBB6_7595
; %bb.7590:                             ;   in Loop: Header=BB6_7023 Depth=3
	v_bfe_u32 v6, v7, 23, 8
	v_cmp_eq_u32_e32 vcc, 0, v6
	v_add_u32_e32 v7, 0xffffff81, v6
	v_cmp_gt_u32_e64 s[28:29], s38, v6
	v_sub_u32_e32 v6, 0x71, v6
	v_mov_b32_e32 v14, 0xffffff82
	v_cndmask_b32_e64 v6, 0, v6, s[28:29]
	v_cndmask_b32_e32 v35, v7, v14, vcc
	v_mov_b32_e32 v7, 0x70
	v_cndmask_b32_e32 v36, v6, v7, vcc
	v_add_u32_e32 v6, 21, v36
	v_or_b32_e32 v13, 0x800000, v50
	v_lshlrev_b64 v[6:7], v6, -1
	v_cndmask_b32_e32 v50, v13, v50, vcc
	v_not_b32_e32 v7, v7
	v_not_b32_e32 v6, v6
	v_add_u32_e32 v13, 20, v36
	v_and_b32_e32 v7, 0, v7
	v_and_b32_e32 v6, v50, v6
	v_lshlrev_b64 v[14:15], v13, 1
	v_cmp_eq_u64_e32 vcc, v[6:7], v[14:15]
	v_lshrrev_b64 v[6:7], v36, v[50:51]
	v_lshrrev_b32_e32 v13, 23, v6
	v_add3_u32 v15, v36, v35, v13
	v_bfe_u32 v13, v6, 21, 1
	v_add_u32_e32 v13, -1, v13
	v_cndmask_b32_e32 v13, 0, v13, vcc
	v_add_u32_e32 v13, v13, v6
	v_and_b32_e32 v13, 0x1fffff, v13
	v_add_co_u32_e32 v6, vcc, v13, v6
	v_add_u32_e32 v14, 14, v15
	v_addc_co_u32_e32 v7, vcc, 0, v7, vcc
	v_cmp_ne_u32_e32 vcc, 0, v14
                                        ; implicit-def: $vgpr13
	s_and_saveexec_b64 s[28:29], vcc
	s_xor_b64 s[28:29], exec, s[28:29]
; %bb.7591:                             ;   in Loop: Header=BB6_7023 Depth=3
	v_add_u32_e32 v13, 15, v15
	v_cmp_lt_u64_e32 vcc, s[56:57], v[6:7]
	v_cndmask_b32_e32 v13, v14, v13, vcc
	v_cndmask_b32_e64 v14, 0, 1, vcc
	v_lshrrev_b64 v[6:7], v14, v[6:7]
; %bb.7592:                             ;   in Loop: Header=BB6_7023 Depth=3
	s_andn2_saveexec_b64 s[28:29], s[28:29]
; %bb.7593:                             ;   in Loop: Header=BB6_7023 Depth=3
	v_bfe_u32 v13, v6, 23, 1
; %bb.7594:                             ;   in Loop: Header=BB6_7023 Depth=3
	s_or_b64 exec, exec, s[28:29]
	v_lshrrev_b64 v[6:7], 21, v[6:7]
	v_cmp_gt_i32_e32 vcc, 32, v13
	v_cndmask_b32_e32 v7, 0, v7, vcc
	v_cndmask_b32_e32 v6, 3, v6, vcc
	v_cmp_eq_u64_e64 s[28:29], 0, v[6:7]
	v_min_i32_e32 v7, 31, v13
	v_cmp_eq_u32_e32 vcc, 0, v13
	v_lshlrev_b32_e32 v7, 2, v7
	v_and_or_b32 v6, v6, 3, v7
	s_and_b64 s[28:29], vcc, s[28:29]
	v_cndmask_b32_e64 v6, v6, 0, s[28:29]
	v_or_b32_e32 v35, v6, v12
.LBB6_7595:                             ;   in Loop: Header=BB6_7023 Depth=3
	s_or_b64 exec, exec, s[70:71]
.LBB6_7596:                             ;   in Loop: Header=BB6_7023 Depth=3
	s_or_b64 exec, exec, s[68:69]
                                        ; implicit-def: $vgpr7
.LBB6_7597:                             ;   in Loop: Header=BB6_7023 Depth=3
	s_andn2_saveexec_b64 s[28:29], s[30:31]
; %bb.7598:                             ;   in Loop: Header=BB6_7023 Depth=3
	v_or_b32_sdwa v6, v7, s39 dst_sel:DWORD dst_unused:UNUSED_PAD src0_sel:BYTE_3 src1_sel:DWORD
	v_cmp_eq_u64_e32 vcc, 0, v[50:51]
	v_cndmask_b32_e32 v35, v6, v35, vcc
; %bb.7599:                             ;   in Loop: Header=BB6_7023 Depth=3
	s_or_b64 exec, exec, s[28:29]
	v_mov_b32_e32 v50, v23
	v_mov_b32_e32 v6, v19
	v_mov_b32_e32 v7, v51
	v_cmp_ne_u16_sdwa s[28:29], v23, v51 src0_sel:BYTE_0 src1_sel:DWORD
	s_and_b64 vcc, exec, s[66:67]
	s_cbranch_vccz .LBB6_7617
; %bb.7600:                             ;   in Loop: Header=BB6_7023 Depth=3
	v_mov_b32_e32 v13, 0
	v_mov_b32_e32 v12, 0
	s_and_saveexec_b64 s[30:31], s[28:29]
	s_cbranch_execz .LBB6_7608
; %bb.7601:                             ;   in Loop: Header=BB6_7023 Depth=3
	v_cmp_ne_u16_sdwa vcc, v23, s97 src0_sel:BYTE_0 src1_sel:DWORD
	v_bfrev_b32_e32 v12, 1
	s_and_saveexec_b64 s[68:69], vcc
	s_cbranch_execz .LBB6_7607
; %bb.7602:                             ;   in Loop: Header=BB6_7023 Depth=3
	v_and_b32_e32 v12, 0x7c, v23
	v_and_b32_e32 v14, 3, v23
	v_cmp_ne_u32_e32 vcc, s95, v12
                                        ; implicit-def: $vgpr12
	s_and_saveexec_b64 s[70:71], vcc
	s_xor_b64 s[70:71], exec, s[70:71]
	s_cbranch_execz .LBB6_7604
; %bb.7603:                             ;   in Loop: Header=BB6_7023 Depth=3
	v_ffbh_u32_e32 v15, v14
	v_min_u32_e32 v15, 32, v15
	v_subrev_u32_e32 v36, 29, v15
	v_bfe_u32 v12, v23, 2, 5
	v_lshlrev_b64 v[36:37], v36, v[50:51]
	v_sub_u32_e32 v15, 30, v15
	v_and_b32_e32 v36, 3, v36
	v_cmp_eq_u32_e32 vcc, 0, v12
	v_cndmask_b32_e32 v12, v12, v15, vcc
	v_cndmask_b32_e32 v14, v14, v36, vcc
	v_bfrev_b32_e32 v36, 28
	v_lshlrev_b32_e32 v15, 24, v23
	v_lshl_add_u32 v12, v12, 23, v36
	v_and_or_b32 v12, v15, s96, v12
	v_lshl_or_b32 v12, v14, 21, v12
                                        ; implicit-def: $vgpr14
.LBB6_7604:                             ;   in Loop: Header=BB6_7023 Depth=3
	s_andn2_saveexec_b64 s[70:71], s[70:71]
; %bb.7605:                             ;   in Loop: Header=BB6_7023 Depth=3
	v_mov_b32_e32 v12, -1
	v_cmp_gt_i16_sdwa vcc, sext(v23), v12 src0_sel:BYTE_0 src1_sel:DWORD
	v_mov_b32_e32 v12, 0xc7600000
	v_mov_b32_e32 v15, 0x47600000
	v_cndmask_b32_e32 v12, v12, v15, vcc
	v_cmp_eq_u32_e32 vcc, 0, v14
	v_mov_b32_e32 v14, 0x7f800001
	v_cndmask_b32_e32 v12, v14, v12, vcc
; %bb.7606:                             ;   in Loop: Header=BB6_7023 Depth=3
	s_or_b64 exec, exec, s[70:71]
.LBB6_7607:                             ;   in Loop: Header=BB6_7023 Depth=3
	s_or_b64 exec, exec, s[68:69]
.LBB6_7608:                             ;   in Loop: Header=BB6_7023 Depth=3
	s_or_b64 exec, exec, s[30:31]
	v_cmp_ne_u16_sdwa vcc, v19, v51 src0_sel:BYTE_0 src1_sel:DWORD
	s_and_saveexec_b64 s[30:31], vcc
	s_cbranch_execz .LBB6_7616
; %bb.7609:                             ;   in Loop: Header=BB6_7023 Depth=3
	v_cmp_ne_u16_sdwa vcc, v19, s97 src0_sel:BYTE_0 src1_sel:DWORD
	v_bfrev_b32_e32 v13, 1
	s_and_saveexec_b64 s[68:69], vcc
	s_cbranch_execz .LBB6_7615
; %bb.7610:                             ;   in Loop: Header=BB6_7023 Depth=3
	v_and_b32_e32 v13, 0x7c, v19
	v_and_b32_e32 v14, 3, v19
	v_cmp_ne_u32_e32 vcc, s95, v13
                                        ; implicit-def: $vgpr13
	s_and_saveexec_b64 s[70:71], vcc
	s_xor_b64 s[70:71], exec, s[70:71]
	s_cbranch_execz .LBB6_7612
; %bb.7611:                             ;   in Loop: Header=BB6_7023 Depth=3
	v_ffbh_u32_e32 v15, v14
	v_min_u32_e32 v15, 32, v15
	v_subrev_u32_e32 v36, 29, v15
	v_bfe_u32 v13, v19, 2, 5
	v_lshlrev_b64 v[36:37], v36, v[6:7]
	v_sub_u32_e32 v15, 30, v15
	v_and_b32_e32 v36, 3, v36
	v_cmp_eq_u32_e32 vcc, 0, v13
	v_cndmask_b32_e32 v13, v13, v15, vcc
	v_cndmask_b32_e32 v14, v14, v36, vcc
	v_bfrev_b32_e32 v36, 28
	v_lshlrev_b32_e32 v15, 24, v19
	v_lshl_add_u32 v13, v13, 23, v36
	v_and_or_b32 v13, v15, s96, v13
	v_lshl_or_b32 v13, v14, 21, v13
                                        ; implicit-def: $vgpr14
.LBB6_7612:                             ;   in Loop: Header=BB6_7023 Depth=3
	s_andn2_saveexec_b64 s[70:71], s[70:71]
; %bb.7613:                             ;   in Loop: Header=BB6_7023 Depth=3
	v_mov_b32_e32 v13, -1
	v_cmp_gt_i16_sdwa vcc, sext(v19), v13 src0_sel:BYTE_0 src1_sel:DWORD
	v_mov_b32_e32 v13, 0xc7600000
	v_mov_b32_e32 v15, 0x47600000
	v_cndmask_b32_e32 v13, v13, v15, vcc
	v_cmp_eq_u32_e32 vcc, 0, v14
	v_mov_b32_e32 v14, 0x7f800001
	v_cndmask_b32_e32 v13, v14, v13, vcc
; %bb.7614:                             ;   in Loop: Header=BB6_7023 Depth=3
	s_or_b64 exec, exec, s[70:71]
.LBB6_7615:                             ;   in Loop: Header=BB6_7023 Depth=3
	s_or_b64 exec, exec, s[68:69]
.LBB6_7616:                             ;   in Loop: Header=BB6_7023 Depth=3
	s_or_b64 exec, exec, s[30:31]
	v_max_f32_e32 v13, v13, v13
	v_max_f32_e32 v12, v12, v12
	;; [unrolled: 1-line block ×3, first 2 shown]
	s_branch .LBB6_7635
.LBB6_7617:                             ;   in Loop: Header=BB6_7023 Depth=3
                                        ; implicit-def: $vgpr14
	s_cbranch_execz .LBB6_7635
; %bb.7618:                             ;   in Loop: Header=BB6_7023 Depth=3
	v_mov_b32_e32 v13, 0
	v_mov_b32_e32 v12, 0
	s_and_saveexec_b64 s[30:31], s[28:29]
	s_cbranch_execz .LBB6_7626
; %bb.7619:                             ;   in Loop: Header=BB6_7023 Depth=3
	v_cmp_ne_u16_sdwa vcc, v23, s97 src0_sel:BYTE_0 src1_sel:DWORD
	v_bfrev_b32_e32 v12, 1
	s_and_saveexec_b64 s[28:29], vcc
	s_cbranch_execz .LBB6_7625
; %bb.7620:                             ;   in Loop: Header=BB6_7023 Depth=3
	v_and_b32_e32 v12, 0x7c, v23
	v_and_b32_e32 v14, 3, v23
	v_cmp_ne_u32_e32 vcc, s95, v12
                                        ; implicit-def: $vgpr12
	s_and_saveexec_b64 s[68:69], vcc
	s_xor_b64 s[68:69], exec, s[68:69]
	s_cbranch_execz .LBB6_7622
; %bb.7621:                             ;   in Loop: Header=BB6_7023 Depth=3
	v_ffbh_u32_e32 v15, v14
	v_min_u32_e32 v15, 32, v15
	v_subrev_u32_e32 v36, 29, v15
	v_bfe_u32 v12, v23, 2, 5
	v_lshlrev_b64 v[36:37], v36, v[50:51]
	v_sub_u32_e32 v15, 30, v15
	v_and_b32_e32 v36, 3, v36
	v_cmp_eq_u32_e32 vcc, 0, v12
	v_cndmask_b32_e32 v12, v12, v15, vcc
	v_cndmask_b32_e32 v14, v14, v36, vcc
	v_bfrev_b32_e32 v36, 28
	v_lshlrev_b32_e32 v15, 24, v23
	v_lshl_add_u32 v12, v12, 23, v36
	v_and_or_b32 v12, v15, s96, v12
	v_lshl_or_b32 v12, v14, 21, v12
                                        ; implicit-def: $vgpr14
.LBB6_7622:                             ;   in Loop: Header=BB6_7023 Depth=3
	s_andn2_saveexec_b64 s[68:69], s[68:69]
; %bb.7623:                             ;   in Loop: Header=BB6_7023 Depth=3
	v_mov_b32_e32 v12, -1
	v_cmp_gt_i16_sdwa vcc, sext(v23), v12 src0_sel:BYTE_0 src1_sel:DWORD
	v_mov_b32_e32 v12, 0xc7600000
	v_mov_b32_e32 v15, 0x47600000
	v_cndmask_b32_e32 v12, v12, v15, vcc
	v_cmp_eq_u32_e32 vcc, 0, v14
	v_mov_b32_e32 v14, 0x7f800001
	v_cndmask_b32_e32 v12, v14, v12, vcc
; %bb.7624:                             ;   in Loop: Header=BB6_7023 Depth=3
	s_or_b64 exec, exec, s[68:69]
.LBB6_7625:                             ;   in Loop: Header=BB6_7023 Depth=3
	s_or_b64 exec, exec, s[28:29]
.LBB6_7626:                             ;   in Loop: Header=BB6_7023 Depth=3
	s_or_b64 exec, exec, s[30:31]
	v_cmp_ne_u16_sdwa vcc, v19, v51 src0_sel:BYTE_0 src1_sel:DWORD
	s_and_saveexec_b64 s[28:29], vcc
	s_cbranch_execz .LBB6_7634
; %bb.7627:                             ;   in Loop: Header=BB6_7023 Depth=3
	v_cmp_ne_u16_sdwa vcc, v19, s97 src0_sel:BYTE_0 src1_sel:DWORD
	v_bfrev_b32_e32 v13, 1
	s_and_saveexec_b64 s[30:31], vcc
	s_cbranch_execz .LBB6_7633
; %bb.7628:                             ;   in Loop: Header=BB6_7023 Depth=3
	v_and_b32_e32 v13, 0x7c, v19
	v_and_b32_e32 v14, 3, v19
	v_cmp_ne_u32_e32 vcc, s95, v13
                                        ; implicit-def: $vgpr13
	s_and_saveexec_b64 s[68:69], vcc
	s_xor_b64 s[68:69], exec, s[68:69]
	s_cbranch_execz .LBB6_7630
; %bb.7629:                             ;   in Loop: Header=BB6_7023 Depth=3
	v_ffbh_u32_e32 v15, v14
	v_min_u32_e32 v15, 32, v15
	v_subrev_u32_e32 v36, 29, v15
	v_bfe_u32 v13, v19, 2, 5
	v_lshlrev_b64 v[36:37], v36, v[6:7]
	v_sub_u32_e32 v7, 30, v15
	v_and_b32_e32 v15, 3, v36
	v_cmp_eq_u32_e32 vcc, 0, v13
	v_cndmask_b32_e32 v7, v13, v7, vcc
	v_cndmask_b32_e32 v13, v14, v15, vcc
	v_bfrev_b32_e32 v15, 28
	v_lshlrev_b32_e32 v14, 24, v19
	v_lshl_add_u32 v7, v7, 23, v15
	v_and_or_b32 v7, v14, s96, v7
	v_lshl_or_b32 v13, v13, 21, v7
                                        ; implicit-def: $vgpr14
.LBB6_7630:                             ;   in Loop: Header=BB6_7023 Depth=3
	s_andn2_saveexec_b64 s[68:69], s[68:69]
; %bb.7631:                             ;   in Loop: Header=BB6_7023 Depth=3
	v_mov_b32_e32 v7, -1
	v_cmp_gt_i16_sdwa vcc, sext(v19), v7 src0_sel:BYTE_0 src1_sel:DWORD
	v_mov_b32_e32 v7, 0xc7600000
	v_mov_b32_e32 v13, 0x47600000
	v_cndmask_b32_e32 v7, v7, v13, vcc
	v_cmp_eq_u32_e32 vcc, 0, v14
	v_mov_b32_e32 v13, 0x7f800001
	v_cndmask_b32_e32 v13, v13, v7, vcc
; %bb.7632:                             ;   in Loop: Header=BB6_7023 Depth=3
	s_or_b64 exec, exec, s[68:69]
.LBB6_7633:                             ;   in Loop: Header=BB6_7023 Depth=3
	s_or_b64 exec, exec, s[30:31]
.LBB6_7634:                             ;   in Loop: Header=BB6_7023 Depth=3
	s_or_b64 exec, exec, s[28:29]
	v_max_f32_e32 v7, v13, v13
	v_max_f32_e32 v12, v12, v12
	v_min_f32_e32 v14, v12, v7
.LBB6_7635:                             ;   in Loop: Header=BB6_7023 Depth=3
	v_and_b32_sdwa v7, v14, s97 dst_sel:DWORD dst_unused:UNUSED_PAD src0_sel:BYTE_3 src1_sel:DWORD
	v_and_b32_e32 v38, 0x7f800000, v14
	v_mov_b32_e32 v39, v51
	v_and_b32_e32 v12, 0x7fffff, v14
	v_mov_b32_e32 v13, v51
	v_or_b32_e32 v36, 0x7b, v7
	v_cmp_ne_u64_e32 vcc, s[52:53], v[38:39]
	s_and_saveexec_b64 s[28:29], vcc
	s_xor_b64 s[30:31], exec, s[28:29]
	s_cbranch_execz .LBB6_7645
; %bb.7636:                             ;   in Loop: Header=BB6_7023 Depth=3
	v_and_b32_e32 v38, 0x7fffffff, v14
	v_mov_b32_e32 v39, v51
	v_cmp_gt_u64_e32 vcc, s[54:55], v[38:39]
	s_and_saveexec_b64 s[68:69], vcc
	s_cbranch_execz .LBB6_7644
; %bb.7637:                             ;   in Loop: Header=BB6_7023 Depth=3
	v_cmp_ne_u32_e32 vcc, 0, v14
	v_mov_b32_e32 v36, 0
	s_and_saveexec_b64 s[70:71], vcc
	s_cbranch_execz .LBB6_7643
; %bb.7638:                             ;   in Loop: Header=BB6_7023 Depth=3
	v_bfe_u32 v14, v14, 23, 8
	v_cmp_eq_u32_e32 vcc, 0, v14
	v_add_u32_e32 v15, 0xffffff81, v14
	v_cmp_gt_u32_e64 s[28:29], s38, v14
	v_sub_u32_e32 v14, 0x71, v14
	v_mov_b32_e32 v37, 0xffffff82
	v_cndmask_b32_e64 v14, 0, v14, s[28:29]
	v_cndmask_b32_e32 v38, v15, v37, vcc
	v_mov_b32_e32 v15, 0x70
	v_cndmask_b32_e32 v39, v14, v15, vcc
	v_add_u32_e32 v14, 21, v39
	v_or_b32_e32 v36, 0x800000, v12
	v_lshlrev_b64 v[14:15], v14, -1
	v_cndmask_b32_e32 v12, v36, v12, vcc
	v_not_b32_e32 v15, v15
	v_not_b32_e32 v14, v14
	v_add_u32_e32 v36, 20, v39
	v_and_b32_e32 v15, 0, v15
	v_and_b32_e32 v14, v12, v14
	v_lshlrev_b64 v[36:37], v36, 1
	v_lshrrev_b64 v[12:13], v39, v[12:13]
	v_cmp_eq_u64_e32 vcc, v[14:15], v[36:37]
	v_lshrrev_b32_e32 v14, 23, v12
	v_add3_u32 v36, v39, v38, v14
	v_bfe_u32 v14, v12, 21, 1
	v_add_u32_e32 v14, -1, v14
	v_cndmask_b32_e32 v14, 0, v14, vcc
	v_add_u32_e32 v14, v14, v12
	v_and_b32_e32 v14, 0x1fffff, v14
	v_add_co_u32_e32 v12, vcc, v14, v12
	v_add_u32_e32 v15, 14, v36
	v_addc_co_u32_e32 v13, vcc, 0, v13, vcc
	v_cmp_ne_u32_e32 vcc, 0, v15
                                        ; implicit-def: $vgpr14
	s_and_saveexec_b64 s[28:29], vcc
	s_xor_b64 s[28:29], exec, s[28:29]
; %bb.7639:                             ;   in Loop: Header=BB6_7023 Depth=3
	v_add_u32_e32 v14, 15, v36
	v_cmp_lt_u64_e32 vcc, s[56:57], v[12:13]
	v_cndmask_b32_e32 v14, v15, v14, vcc
	v_cndmask_b32_e64 v15, 0, 1, vcc
	v_lshrrev_b64 v[12:13], v15, v[12:13]
; %bb.7640:                             ;   in Loop: Header=BB6_7023 Depth=3
	s_andn2_saveexec_b64 s[28:29], s[28:29]
; %bb.7641:                             ;   in Loop: Header=BB6_7023 Depth=3
	v_bfe_u32 v14, v12, 23, 1
; %bb.7642:                             ;   in Loop: Header=BB6_7023 Depth=3
	s_or_b64 exec, exec, s[28:29]
	v_lshrrev_b64 v[12:13], 21, v[12:13]
	v_cmp_gt_i32_e32 vcc, 32, v14
	v_cndmask_b32_e32 v13, 0, v13, vcc
	v_cndmask_b32_e32 v12, 3, v12, vcc
	v_cmp_eq_u64_e64 s[28:29], 0, v[12:13]
	v_min_i32_e32 v13, 31, v14
	v_cmp_eq_u32_e32 vcc, 0, v14
	v_lshlrev_b32_e32 v13, 2, v13
	v_and_or_b32 v12, v12, 3, v13
	s_and_b64 s[28:29], vcc, s[28:29]
	v_cndmask_b32_e64 v12, v12, 0, s[28:29]
	v_or_b32_e32 v36, v12, v7
.LBB6_7643:                             ;   in Loop: Header=BB6_7023 Depth=3
	s_or_b64 exec, exec, s[70:71]
.LBB6_7644:                             ;   in Loop: Header=BB6_7023 Depth=3
	s_or_b64 exec, exec, s[68:69]
                                        ; implicit-def: $vgpr14
                                        ; implicit-def: $vgpr12_vgpr13
.LBB6_7645:                             ;   in Loop: Header=BB6_7023 Depth=3
	s_andn2_saveexec_b64 s[28:29], s[30:31]
; %bb.7646:                             ;   in Loop: Header=BB6_7023 Depth=3
	v_or_b32_sdwa v7, v14, s39 dst_sel:DWORD dst_unused:UNUSED_PAD src0_sel:BYTE_3 src1_sel:DWORD
	v_cmp_eq_u64_e32 vcc, 0, v[12:13]
	v_cndmask_b32_e32 v36, v7, v36, vcc
; %bb.7647:                             ;   in Loop: Header=BB6_7023 Depth=3
	s_or_b64 exec, exec, s[28:29]
	v_lshrrev_b16_e32 v14, 8, v50
	v_lshrrev_b16_e32 v12, 8, v6
	v_cmp_ne_u16_e64 s[28:29], 0, v14
	s_and_b64 vcc, exec, s[66:67]
	s_cbranch_vccz .LBB6_7665
; %bb.7648:                             ;   in Loop: Header=BB6_7023 Depth=3
	v_mov_b32_e32 v13, 0
	v_mov_b32_e32 v7, 0
	s_and_saveexec_b64 s[30:31], s[28:29]
	s_cbranch_execz .LBB6_7656
; %bb.7649:                             ;   in Loop: Header=BB6_7023 Depth=3
	v_cmp_ne_u16_e32 vcc, s97, v14
	v_bfrev_b32_e32 v7, 1
	s_and_saveexec_b64 s[68:69], vcc
	s_cbranch_execz .LBB6_7655
; %bb.7650:                             ;   in Loop: Header=BB6_7023 Depth=3
	v_and_b32_e32 v7, 0x7c, v14
	v_and_b32_e32 v37, 3, v14
	v_cmp_ne_u32_e32 vcc, s95, v7
                                        ; implicit-def: $vgpr7
	s_and_saveexec_b64 s[70:71], vcc
	s_xor_b64 s[70:71], exec, s[70:71]
	s_cbranch_execz .LBB6_7652
; %bb.7651:                             ;   in Loop: Header=BB6_7023 Depth=3
	v_ffbh_u32_e32 v38, v37
	v_min_u32_e32 v48, 32, v38
	v_mov_b32_e32 v15, v51
	v_subrev_u32_e32 v38, 29, v48
	v_bfe_u32 v7, v14, 2, 5
	v_lshlrev_b64 v[38:39], v38, v[14:15]
	v_sub_u32_e32 v15, 30, v48
	v_and_b32_e32 v38, 3, v38
	v_cmp_eq_u32_e32 vcc, 0, v7
	v_cndmask_b32_e32 v7, v7, v15, vcc
	v_cndmask_b32_e32 v15, v37, v38, vcc
	v_bfrev_b32_e32 v38, 28
	v_lshlrev_b32_e32 v37, 16, v50
	v_lshl_add_u32 v7, v7, 23, v38
	v_and_or_b32 v7, v37, s96, v7
	v_lshl_or_b32 v7, v15, 21, v7
                                        ; implicit-def: $vgpr37
.LBB6_7652:                             ;   in Loop: Header=BB6_7023 Depth=3
	s_andn2_saveexec_b64 s[70:71], s[70:71]
; %bb.7653:                             ;   in Loop: Header=BB6_7023 Depth=3
	v_cmp_lt_i16_e32 vcc, -1, v50
	v_mov_b32_e32 v7, 0xc7600000
	v_mov_b32_e32 v15, 0x47600000
	v_cndmask_b32_e32 v7, v7, v15, vcc
	v_cmp_eq_u32_e32 vcc, 0, v37
	v_mov_b32_e32 v15, 0x7f800001
	v_cndmask_b32_e32 v7, v15, v7, vcc
; %bb.7654:                             ;   in Loop: Header=BB6_7023 Depth=3
	s_or_b64 exec, exec, s[70:71]
.LBB6_7655:                             ;   in Loop: Header=BB6_7023 Depth=3
	s_or_b64 exec, exec, s[68:69]
.LBB6_7656:                             ;   in Loop: Header=BB6_7023 Depth=3
	s_or_b64 exec, exec, s[30:31]
	v_cmp_ne_u16_e32 vcc, 0, v12
	s_and_saveexec_b64 s[30:31], vcc
	s_cbranch_execz .LBB6_7664
; %bb.7657:                             ;   in Loop: Header=BB6_7023 Depth=3
	v_cmp_ne_u16_e32 vcc, s97, v12
	v_bfrev_b32_e32 v13, 1
	s_and_saveexec_b64 s[68:69], vcc
	s_cbranch_execz .LBB6_7663
; %bb.7658:                             ;   in Loop: Header=BB6_7023 Depth=3
	v_and_b32_e32 v13, 0x7c, v12
	v_and_b32_e32 v15, 3, v12
	v_cmp_ne_u32_e32 vcc, s95, v13
                                        ; implicit-def: $vgpr13
	s_and_saveexec_b64 s[70:71], vcc
	s_xor_b64 s[70:71], exec, s[70:71]
	s_cbranch_execz .LBB6_7660
; %bb.7659:                             ;   in Loop: Header=BB6_7023 Depth=3
	v_ffbh_u32_e32 v38, v15
	v_min_u32_e32 v48, 32, v38
	v_mov_b32_e32 v13, v51
	v_subrev_u32_e32 v38, 29, v48
	v_bfe_u32 v37, v12, 2, 5
	v_lshlrev_b64 v[38:39], v38, v[12:13]
	v_sub_u32_e32 v13, 30, v48
	v_and_b32_e32 v38, 3, v38
	v_cmp_eq_u32_e32 vcc, 0, v37
	v_cndmask_b32_e32 v13, v37, v13, vcc
	v_cndmask_b32_e32 v15, v15, v38, vcc
	v_bfrev_b32_e32 v38, 28
	v_lshlrev_b32_e32 v37, 16, v6
	v_lshl_add_u32 v13, v13, 23, v38
	v_and_or_b32 v13, v37, s96, v13
	v_lshl_or_b32 v13, v15, 21, v13
                                        ; implicit-def: $vgpr15
.LBB6_7660:                             ;   in Loop: Header=BB6_7023 Depth=3
	s_andn2_saveexec_b64 s[70:71], s[70:71]
; %bb.7661:                             ;   in Loop: Header=BB6_7023 Depth=3
	v_cmp_lt_i16_e32 vcc, -1, v6
	v_mov_b32_e32 v13, 0xc7600000
	v_mov_b32_e32 v37, 0x47600000
	v_cndmask_b32_e32 v13, v13, v37, vcc
	v_cmp_eq_u32_e32 vcc, 0, v15
	v_mov_b32_e32 v15, 0x7f800001
	v_cndmask_b32_e32 v13, v15, v13, vcc
; %bb.7662:                             ;   in Loop: Header=BB6_7023 Depth=3
	s_or_b64 exec, exec, s[70:71]
.LBB6_7663:                             ;   in Loop: Header=BB6_7023 Depth=3
	s_or_b64 exec, exec, s[68:69]
.LBB6_7664:                             ;   in Loop: Header=BB6_7023 Depth=3
	s_or_b64 exec, exec, s[30:31]
	v_max_f32_e32 v13, v13, v13
	v_max_f32_e32 v7, v7, v7
	;; [unrolled: 1-line block ×3, first 2 shown]
	s_branch .LBB6_7683
.LBB6_7665:                             ;   in Loop: Header=BB6_7023 Depth=3
                                        ; implicit-def: $vgpr7
	s_cbranch_execz .LBB6_7683
; %bb.7666:                             ;   in Loop: Header=BB6_7023 Depth=3
	v_mov_b32_e32 v13, 0
	v_mov_b32_e32 v15, 0
	s_and_saveexec_b64 s[30:31], s[28:29]
	s_cbranch_execz .LBB6_7674
; %bb.7667:                             ;   in Loop: Header=BB6_7023 Depth=3
	v_cmp_ne_u16_e32 vcc, s97, v14
	v_bfrev_b32_e32 v15, 1
	s_and_saveexec_b64 s[28:29], vcc
	s_cbranch_execz .LBB6_7673
; %bb.7668:                             ;   in Loop: Header=BB6_7023 Depth=3
	v_and_b32_e32 v15, 0x7c, v14
	v_and_b32_e32 v7, 3, v14
	v_cmp_ne_u32_e32 vcc, s95, v15
                                        ; implicit-def: $vgpr15
	s_and_saveexec_b64 s[68:69], vcc
	s_xor_b64 s[68:69], exec, s[68:69]
	s_cbranch_execz .LBB6_7670
; %bb.7669:                             ;   in Loop: Header=BB6_7023 Depth=3
	v_ffbh_u32_e32 v38, v7
	v_min_u32_e32 v38, 32, v38
	v_mov_b32_e32 v15, v51
	v_subrev_u32_e32 v39, 29, v38
	v_bfe_u32 v37, v14, 2, 5
	v_lshlrev_b64 v[14:15], v39, v[14:15]
	v_sub_u32_e32 v15, 30, v38
	v_cmp_eq_u32_e32 vcc, 0, v37
	v_and_b32_e32 v14, 3, v14
	v_cndmask_b32_e32 v15, v37, v15, vcc
	v_bfrev_b32_e32 v37, 28
	v_cndmask_b32_e32 v7, v7, v14, vcc
	v_lshlrev_b32_e32 v14, 16, v50
	v_lshl_add_u32 v15, v15, 23, v37
	v_and_or_b32 v14, v14, s96, v15
	v_lshl_or_b32 v15, v7, 21, v14
                                        ; implicit-def: $vgpr7
.LBB6_7670:                             ;   in Loop: Header=BB6_7023 Depth=3
	s_andn2_saveexec_b64 s[68:69], s[68:69]
; %bb.7671:                             ;   in Loop: Header=BB6_7023 Depth=3
	v_cmp_lt_i16_e32 vcc, -1, v50
	v_mov_b32_e32 v14, 0xc7600000
	v_mov_b32_e32 v15, 0x47600000
	v_cndmask_b32_e32 v14, v14, v15, vcc
	v_cmp_eq_u32_e32 vcc, 0, v7
	v_mov_b32_e32 v7, 0x7f800001
	v_cndmask_b32_e32 v15, v7, v14, vcc
; %bb.7672:                             ;   in Loop: Header=BB6_7023 Depth=3
	s_or_b64 exec, exec, s[68:69]
.LBB6_7673:                             ;   in Loop: Header=BB6_7023 Depth=3
	s_or_b64 exec, exec, s[28:29]
.LBB6_7674:                             ;   in Loop: Header=BB6_7023 Depth=3
	s_or_b64 exec, exec, s[30:31]
	v_cmp_ne_u16_e32 vcc, 0, v12
	s_and_saveexec_b64 s[28:29], vcc
	s_cbranch_execz .LBB6_7682
; %bb.7675:                             ;   in Loop: Header=BB6_7023 Depth=3
	v_cmp_ne_u16_e32 vcc, s97, v12
	v_bfrev_b32_e32 v13, 1
	s_and_saveexec_b64 s[30:31], vcc
	s_cbranch_execz .LBB6_7681
; %bb.7676:                             ;   in Loop: Header=BB6_7023 Depth=3
	v_and_b32_e32 v7, 0x7c, v12
	v_and_b32_e32 v14, 3, v12
	v_cmp_ne_u32_e32 vcc, s95, v7
                                        ; implicit-def: $vgpr13
	s_and_saveexec_b64 s[68:69], vcc
	s_xor_b64 s[68:69], exec, s[68:69]
	s_cbranch_execz .LBB6_7678
; %bb.7677:                             ;   in Loop: Header=BB6_7023 Depth=3
	v_ffbh_u32_e32 v37, v14
	v_min_u32_e32 v37, 32, v37
	v_mov_b32_e32 v13, v51
	v_subrev_u32_e32 v38, 29, v37
	v_bfe_u32 v7, v12, 2, 5
	v_lshlrev_b64 v[12:13], v38, v[12:13]
	v_sub_u32_e32 v13, 30, v37
	v_cmp_eq_u32_e32 vcc, 0, v7
	v_cndmask_b32_e32 v7, v7, v13, vcc
	v_bfrev_b32_e32 v13, 28
	v_and_b32_e32 v12, 3, v12
	v_lshlrev_b32_e32 v6, 16, v6
	v_lshl_add_u32 v7, v7, 23, v13
	v_cndmask_b32_e32 v12, v14, v12, vcc
	v_and_or_b32 v6, v6, s96, v7
	v_lshl_or_b32 v13, v12, 21, v6
                                        ; implicit-def: $vgpr14
                                        ; implicit-def: $vgpr6_vgpr7
.LBB6_7678:                             ;   in Loop: Header=BB6_7023 Depth=3
	s_andn2_saveexec_b64 s[68:69], s[68:69]
; %bb.7679:                             ;   in Loop: Header=BB6_7023 Depth=3
	v_cmp_lt_i16_e32 vcc, -1, v6
	v_mov_b32_e32 v6, 0xc7600000
	v_mov_b32_e32 v7, 0x47600000
	v_cndmask_b32_e32 v6, v6, v7, vcc
	v_cmp_eq_u32_e32 vcc, 0, v14
	v_mov_b32_e32 v7, 0x7f800001
	v_cndmask_b32_e32 v13, v7, v6, vcc
; %bb.7680:                             ;   in Loop: Header=BB6_7023 Depth=3
	s_or_b64 exec, exec, s[68:69]
.LBB6_7681:                             ;   in Loop: Header=BB6_7023 Depth=3
	s_or_b64 exec, exec, s[30:31]
.LBB6_7682:                             ;   in Loop: Header=BB6_7023 Depth=3
	s_or_b64 exec, exec, s[28:29]
	v_max_f32_e32 v6, v13, v13
	v_max_f32_e32 v7, v15, v15
	v_min_f32_e32 v7, v7, v6
.LBB6_7683:                             ;   in Loop: Header=BB6_7023 Depth=3
	v_and_b32_sdwa v12, v7, s97 dst_sel:DWORD dst_unused:UNUSED_PAD src0_sel:BYTE_3 src1_sel:DWORD
	v_and_b32_e32 v14, 0x7f800000, v7
	v_mov_b32_e32 v15, v51
	v_and_b32_e32 v50, 0x7fffff, v7
	v_or_b32_e32 v37, 0x7b, v12
	v_cmp_ne_u64_e32 vcc, s[52:53], v[14:15]
	s_and_saveexec_b64 s[28:29], vcc
	s_xor_b64 s[30:31], exec, s[28:29]
	s_cbranch_execz .LBB6_7693
; %bb.7684:                             ;   in Loop: Header=BB6_7023 Depth=3
	v_and_b32_e32 v14, 0x7fffffff, v7
	v_mov_b32_e32 v15, v51
	v_cmp_gt_u64_e32 vcc, s[54:55], v[14:15]
	s_and_saveexec_b64 s[68:69], vcc
	s_cbranch_execz .LBB6_7692
; %bb.7685:                             ;   in Loop: Header=BB6_7023 Depth=3
	v_cmp_ne_u32_e32 vcc, 0, v7
	v_mov_b32_e32 v37, 0
	s_and_saveexec_b64 s[70:71], vcc
	s_cbranch_execz .LBB6_7691
; %bb.7686:                             ;   in Loop: Header=BB6_7023 Depth=3
	v_bfe_u32 v6, v7, 23, 8
	v_cmp_eq_u32_e32 vcc, 0, v6
	v_add_u32_e32 v7, 0xffffff81, v6
	v_cmp_gt_u32_e64 s[28:29], s38, v6
	v_sub_u32_e32 v6, 0x71, v6
	v_mov_b32_e32 v14, 0xffffff82
	v_cndmask_b32_e64 v6, 0, v6, s[28:29]
	v_cndmask_b32_e32 v37, v7, v14, vcc
	v_mov_b32_e32 v7, 0x70
	v_cndmask_b32_e32 v38, v6, v7, vcc
	v_add_u32_e32 v6, 21, v38
	v_or_b32_e32 v13, 0x800000, v50
	v_lshlrev_b64 v[6:7], v6, -1
	v_cndmask_b32_e32 v50, v13, v50, vcc
	v_not_b32_e32 v7, v7
	v_not_b32_e32 v6, v6
	v_add_u32_e32 v13, 20, v38
	v_and_b32_e32 v7, 0, v7
	v_and_b32_e32 v6, v50, v6
	v_lshlrev_b64 v[14:15], v13, 1
	v_cmp_eq_u64_e32 vcc, v[6:7], v[14:15]
	v_lshrrev_b64 v[6:7], v38, v[50:51]
	v_lshrrev_b32_e32 v13, 23, v6
	v_add3_u32 v15, v38, v37, v13
	v_bfe_u32 v13, v6, 21, 1
	v_add_u32_e32 v13, -1, v13
	v_cndmask_b32_e32 v13, 0, v13, vcc
	v_add_u32_e32 v13, v13, v6
	v_and_b32_e32 v13, 0x1fffff, v13
	v_add_co_u32_e32 v6, vcc, v13, v6
	v_add_u32_e32 v14, 14, v15
	v_addc_co_u32_e32 v7, vcc, 0, v7, vcc
	v_cmp_ne_u32_e32 vcc, 0, v14
                                        ; implicit-def: $vgpr13
	s_and_saveexec_b64 s[28:29], vcc
	s_xor_b64 s[28:29], exec, s[28:29]
; %bb.7687:                             ;   in Loop: Header=BB6_7023 Depth=3
	v_add_u32_e32 v13, 15, v15
	v_cmp_lt_u64_e32 vcc, s[56:57], v[6:7]
	v_cndmask_b32_e32 v13, v14, v13, vcc
	v_cndmask_b32_e64 v14, 0, 1, vcc
	v_lshrrev_b64 v[6:7], v14, v[6:7]
; %bb.7688:                             ;   in Loop: Header=BB6_7023 Depth=3
	s_andn2_saveexec_b64 s[28:29], s[28:29]
; %bb.7689:                             ;   in Loop: Header=BB6_7023 Depth=3
	v_bfe_u32 v13, v6, 23, 1
; %bb.7690:                             ;   in Loop: Header=BB6_7023 Depth=3
	s_or_b64 exec, exec, s[28:29]
	v_lshrrev_b64 v[6:7], 21, v[6:7]
	v_cmp_gt_i32_e32 vcc, 32, v13
	v_cndmask_b32_e32 v7, 0, v7, vcc
	v_cndmask_b32_e32 v6, 3, v6, vcc
	v_cmp_eq_u64_e64 s[28:29], 0, v[6:7]
	v_min_i32_e32 v7, 31, v13
	v_cmp_eq_u32_e32 vcc, 0, v13
	v_lshlrev_b32_e32 v7, 2, v7
	v_and_or_b32 v6, v6, 3, v7
	s_and_b64 s[28:29], vcc, s[28:29]
	v_cndmask_b32_e64 v6, v6, 0, s[28:29]
	v_or_b32_e32 v37, v6, v12
.LBB6_7691:                             ;   in Loop: Header=BB6_7023 Depth=3
	s_or_b64 exec, exec, s[70:71]
.LBB6_7692:                             ;   in Loop: Header=BB6_7023 Depth=3
	s_or_b64 exec, exec, s[68:69]
                                        ; implicit-def: $vgpr7
.LBB6_7693:                             ;   in Loop: Header=BB6_7023 Depth=3
	s_andn2_saveexec_b64 s[28:29], s[30:31]
; %bb.7694:                             ;   in Loop: Header=BB6_7023 Depth=3
	v_or_b32_sdwa v6, v7, s39 dst_sel:DWORD dst_unused:UNUSED_PAD src0_sel:BYTE_3 src1_sel:DWORD
	v_cmp_eq_u64_e32 vcc, 0, v[50:51]
	v_cndmask_b32_e32 v37, v6, v37, vcc
; %bb.7695:                             ;   in Loop: Header=BB6_7023 Depth=3
	s_or_b64 exec, exec, s[28:29]
	v_lshrrev_b32_e32 v12, 16, v23
	v_lshrrev_b32_e32 v6, 16, v19
	v_cmp_ne_u16_sdwa s[28:29], v12, v51 src0_sel:BYTE_0 src1_sel:DWORD
	s_and_b64 vcc, exec, s[66:67]
	s_cbranch_vccz .LBB6_7713
; %bb.7696:                             ;   in Loop: Header=BB6_7023 Depth=3
	v_mov_b32_e32 v13, 0
	v_mov_b32_e32 v7, 0
	s_and_saveexec_b64 s[30:31], s[28:29]
	s_cbranch_execz .LBB6_7704
; %bb.7697:                             ;   in Loop: Header=BB6_7023 Depth=3
	v_cmp_ne_u16_sdwa vcc, v12, s97 src0_sel:BYTE_0 src1_sel:DWORD
	v_bfrev_b32_e32 v7, 1
	s_and_saveexec_b64 s[68:69], vcc
	s_cbranch_execz .LBB6_7703
; %bb.7698:                             ;   in Loop: Header=BB6_7023 Depth=3
	v_and_b32_e32 v7, 0x7c0000, v23
	v_bfe_u32 v14, v23, 16, 2
	v_cmp_ne_u32_e32 vcc, s36, v7
                                        ; implicit-def: $vgpr7
	s_and_saveexec_b64 s[70:71], vcc
	s_xor_b64 s[70:71], exec, s[70:71]
	s_cbranch_execz .LBB6_7700
; %bb.7699:                             ;   in Loop: Header=BB6_7023 Depth=3
	v_ffbh_u32_e32 v15, v14
	v_min_u32_e32 v15, 32, v15
	v_subrev_u32_e32 v38, 29, v15
	v_bfe_u32 v7, v23, 18, 5
	v_lshlrev_b64 v[38:39], v38, v[12:13]
	v_sub_u32_e32 v15, 30, v15
	v_and_b32_e32 v38, 3, v38
	v_cmp_eq_u32_e32 vcc, 0, v7
	v_cndmask_b32_e32 v7, v7, v15, vcc
	v_cndmask_b32_e32 v14, v14, v38, vcc
	v_bfrev_b32_e32 v38, 28
	v_lshlrev_b32_e32 v15, 24, v12
	v_lshl_add_u32 v7, v7, 23, v38
	v_and_or_b32 v7, v15, s96, v7
	v_lshl_or_b32 v7, v14, 21, v7
                                        ; implicit-def: $vgpr14
.LBB6_7700:                             ;   in Loop: Header=BB6_7023 Depth=3
	s_andn2_saveexec_b64 s[70:71], s[70:71]
; %bb.7701:                             ;   in Loop: Header=BB6_7023 Depth=3
	v_mov_b32_e32 v7, -1
	v_cmp_gt_i16_sdwa vcc, sext(v12), v7 src0_sel:BYTE_0 src1_sel:DWORD
	v_mov_b32_e32 v7, 0xc7600000
	v_mov_b32_e32 v15, 0x47600000
	v_cndmask_b32_e32 v7, v7, v15, vcc
	v_cmp_eq_u32_e32 vcc, 0, v14
	v_mov_b32_e32 v14, 0x7f800001
	v_cndmask_b32_e32 v7, v14, v7, vcc
; %bb.7702:                             ;   in Loop: Header=BB6_7023 Depth=3
	s_or_b64 exec, exec, s[70:71]
.LBB6_7703:                             ;   in Loop: Header=BB6_7023 Depth=3
	s_or_b64 exec, exec, s[68:69]
.LBB6_7704:                             ;   in Loop: Header=BB6_7023 Depth=3
	s_or_b64 exec, exec, s[30:31]
	v_cmp_ne_u16_sdwa vcc, v6, v51 src0_sel:BYTE_0 src1_sel:DWORD
	s_and_saveexec_b64 s[30:31], vcc
	s_cbranch_execz .LBB6_7712
; %bb.7705:                             ;   in Loop: Header=BB6_7023 Depth=3
	v_cmp_ne_u16_sdwa vcc, v6, s97 src0_sel:BYTE_0 src1_sel:DWORD
	v_bfrev_b32_e32 v13, 1
	s_and_saveexec_b64 s[68:69], vcc
	s_cbranch_execz .LBB6_7711
; %bb.7706:                             ;   in Loop: Header=BB6_7023 Depth=3
	v_and_b32_e32 v13, 0x7c0000, v19
	v_bfe_u32 v14, v19, 16, 2
	v_cmp_ne_u32_e32 vcc, s36, v13
                                        ; implicit-def: $vgpr13
	s_and_saveexec_b64 s[70:71], vcc
	s_xor_b64 s[70:71], exec, s[70:71]
	s_cbranch_execz .LBB6_7708
; %bb.7707:                             ;   in Loop: Header=BB6_7023 Depth=3
	v_ffbh_u32_e32 v15, v14
	v_min_u32_e32 v15, 32, v15
	v_subrev_u32_e32 v38, 29, v15
	v_bfe_u32 v13, v19, 18, 5
	v_lshlrev_b64 v[38:39], v38, v[6:7]
	v_sub_u32_e32 v15, 30, v15
	v_and_b32_e32 v38, 3, v38
	v_cmp_eq_u32_e32 vcc, 0, v13
	v_cndmask_b32_e32 v13, v13, v15, vcc
	v_cndmask_b32_e32 v14, v14, v38, vcc
	v_bfrev_b32_e32 v38, 28
	v_lshlrev_b32_e32 v15, 24, v6
	v_lshl_add_u32 v13, v13, 23, v38
	v_and_or_b32 v13, v15, s96, v13
	v_lshl_or_b32 v13, v14, 21, v13
                                        ; implicit-def: $vgpr14
.LBB6_7708:                             ;   in Loop: Header=BB6_7023 Depth=3
	s_andn2_saveexec_b64 s[70:71], s[70:71]
; %bb.7709:                             ;   in Loop: Header=BB6_7023 Depth=3
	v_mov_b32_e32 v13, -1
	v_cmp_gt_i16_sdwa vcc, sext(v6), v13 src0_sel:BYTE_0 src1_sel:DWORD
	v_mov_b32_e32 v13, 0xc7600000
	v_mov_b32_e32 v15, 0x47600000
	v_cndmask_b32_e32 v13, v13, v15, vcc
	v_cmp_eq_u32_e32 vcc, 0, v14
	v_mov_b32_e32 v14, 0x7f800001
	v_cndmask_b32_e32 v13, v14, v13, vcc
; %bb.7710:                             ;   in Loop: Header=BB6_7023 Depth=3
	s_or_b64 exec, exec, s[70:71]
.LBB6_7711:                             ;   in Loop: Header=BB6_7023 Depth=3
	s_or_b64 exec, exec, s[68:69]
.LBB6_7712:                             ;   in Loop: Header=BB6_7023 Depth=3
	s_or_b64 exec, exec, s[30:31]
	v_max_f32_e32 v13, v13, v13
	v_max_f32_e32 v7, v7, v7
	v_max_f32_e32 v7, v7, v13
	s_branch .LBB6_7731
.LBB6_7713:                             ;   in Loop: Header=BB6_7023 Depth=3
                                        ; implicit-def: $vgpr7
	s_cbranch_execz .LBB6_7731
; %bb.7714:                             ;   in Loop: Header=BB6_7023 Depth=3
	v_mov_b32_e32 v13, 0
	v_mov_b32_e32 v7, 0
	s_and_saveexec_b64 s[30:31], s[28:29]
	s_cbranch_execz .LBB6_7722
; %bb.7715:                             ;   in Loop: Header=BB6_7023 Depth=3
	v_cmp_ne_u16_sdwa vcc, v12, s97 src0_sel:BYTE_0 src1_sel:DWORD
	v_bfrev_b32_e32 v7, 1
	s_and_saveexec_b64 s[28:29], vcc
	s_cbranch_execz .LBB6_7721
; %bb.7716:                             ;   in Loop: Header=BB6_7023 Depth=3
	v_and_b32_e32 v7, 0x7c0000, v23
	v_bfe_u32 v14, v23, 16, 2
	v_cmp_ne_u32_e32 vcc, s36, v7
                                        ; implicit-def: $vgpr7
	s_and_saveexec_b64 s[68:69], vcc
	s_xor_b64 s[68:69], exec, s[68:69]
	s_cbranch_execz .LBB6_7718
; %bb.7717:                             ;   in Loop: Header=BB6_7023 Depth=3
	v_ffbh_u32_e32 v15, v14
	v_bfe_u32 v7, v23, 18, 5
	v_min_u32_e32 v15, 32, v15
	v_subrev_u32_e32 v38, 29, v15
	v_sub_u32_e32 v15, 30, v15
	v_cmp_eq_u32_e32 vcc, 0, v7
	v_lshlrev_b64 v[38:39], v38, v[12:13]
	v_cndmask_b32_e32 v7, v7, v15, vcc
	v_bfrev_b32_e32 v15, 28
	v_and_b32_e32 v38, 3, v38
	v_lshlrev_b32_e32 v12, 24, v12
	v_lshl_add_u32 v7, v7, 23, v15
	v_cndmask_b32_e32 v14, v14, v38, vcc
	v_and_or_b32 v7, v12, s96, v7
	v_lshl_or_b32 v7, v14, 21, v7
                                        ; implicit-def: $vgpr14
                                        ; implicit-def: $vgpr12
.LBB6_7718:                             ;   in Loop: Header=BB6_7023 Depth=3
	s_andn2_saveexec_b64 s[68:69], s[68:69]
; %bb.7719:                             ;   in Loop: Header=BB6_7023 Depth=3
	v_mov_b32_e32 v7, -1
	v_cmp_gt_i16_sdwa vcc, sext(v12), v7 src0_sel:BYTE_0 src1_sel:DWORD
	v_mov_b32_e32 v7, 0xc7600000
	v_mov_b32_e32 v12, 0x47600000
	v_cndmask_b32_e32 v7, v7, v12, vcc
	v_cmp_eq_u32_e32 vcc, 0, v14
	v_mov_b32_e32 v12, 0x7f800001
	v_cndmask_b32_e32 v7, v12, v7, vcc
; %bb.7720:                             ;   in Loop: Header=BB6_7023 Depth=3
	s_or_b64 exec, exec, s[68:69]
.LBB6_7721:                             ;   in Loop: Header=BB6_7023 Depth=3
	s_or_b64 exec, exec, s[28:29]
.LBB6_7722:                             ;   in Loop: Header=BB6_7023 Depth=3
	s_or_b64 exec, exec, s[30:31]
	v_cmp_ne_u16_sdwa vcc, v6, v51 src0_sel:BYTE_0 src1_sel:DWORD
	s_and_saveexec_b64 s[28:29], vcc
	s_cbranch_execz .LBB6_7730
; %bb.7723:                             ;   in Loop: Header=BB6_7023 Depth=3
	v_cmp_ne_u16_sdwa vcc, v6, s97 src0_sel:BYTE_0 src1_sel:DWORD
	v_bfrev_b32_e32 v13, 1
	s_and_saveexec_b64 s[30:31], vcc
	s_cbranch_execz .LBB6_7729
; %bb.7724:                             ;   in Loop: Header=BB6_7023 Depth=3
	v_and_b32_e32 v13, 0x7c0000, v19
	v_bfe_u32 v12, v19, 16, 2
	v_cmp_ne_u32_e32 vcc, s36, v13
                                        ; implicit-def: $vgpr13
	s_and_saveexec_b64 s[68:69], vcc
	s_xor_b64 s[68:69], exec, s[68:69]
	s_cbranch_execz .LBB6_7726
; %bb.7725:                             ;   in Loop: Header=BB6_7023 Depth=3
	v_ffbh_u32_e32 v14, v12
	v_min_u32_e32 v38, 32, v14
	v_subrev_u32_e32 v14, 29, v38
	v_bfe_u32 v13, v19, 18, 5
	v_lshlrev_b64 v[14:15], v14, v[6:7]
	v_sub_u32_e32 v15, 30, v38
	v_and_b32_e32 v14, 3, v14
	v_cmp_eq_u32_e32 vcc, 0, v13
	v_cndmask_b32_e32 v13, v13, v15, vcc
	v_cndmask_b32_e32 v12, v12, v14, vcc
	v_bfrev_b32_e32 v14, 28
	v_lshlrev_b32_e32 v6, 24, v6
	v_lshl_add_u32 v13, v13, 23, v14
	v_and_or_b32 v6, v6, s96, v13
	v_lshl_or_b32 v13, v12, 21, v6
                                        ; implicit-def: $vgpr12
                                        ; implicit-def: $vgpr6
.LBB6_7726:                             ;   in Loop: Header=BB6_7023 Depth=3
	s_andn2_saveexec_b64 s[68:69], s[68:69]
; %bb.7727:                             ;   in Loop: Header=BB6_7023 Depth=3
	v_mov_b32_e32 v13, -1
	v_cmp_gt_i16_sdwa vcc, sext(v6), v13 src0_sel:BYTE_0 src1_sel:DWORD
	v_mov_b32_e32 v6, 0xc7600000
	v_mov_b32_e32 v13, 0x47600000
	v_cndmask_b32_e32 v6, v6, v13, vcc
	v_cmp_eq_u32_e32 vcc, 0, v12
	v_mov_b32_e32 v12, 0x7f800001
	v_cndmask_b32_e32 v13, v12, v6, vcc
; %bb.7728:                             ;   in Loop: Header=BB6_7023 Depth=3
	s_or_b64 exec, exec, s[68:69]
.LBB6_7729:                             ;   in Loop: Header=BB6_7023 Depth=3
	s_or_b64 exec, exec, s[30:31]
.LBB6_7730:                             ;   in Loop: Header=BB6_7023 Depth=3
	s_or_b64 exec, exec, s[28:29]
	v_max_f32_e32 v6, v13, v13
	v_max_f32_e32 v7, v7, v7
	v_min_f32_e32 v7, v7, v6
.LBB6_7731:                             ;   in Loop: Header=BB6_7023 Depth=3
	v_and_b32_sdwa v12, v7, s97 dst_sel:DWORD dst_unused:UNUSED_PAD src0_sel:BYTE_3 src1_sel:DWORD
	v_and_b32_e32 v14, 0x7f800000, v7
	v_mov_b32_e32 v15, v51
	v_and_b32_e32 v50, 0x7fffff, v7
	v_or_b32_e32 v38, 0x7b, v12
	v_cmp_ne_u64_e32 vcc, s[52:53], v[14:15]
	s_and_saveexec_b64 s[28:29], vcc
	s_xor_b64 s[30:31], exec, s[28:29]
	s_cbranch_execz .LBB6_7741
; %bb.7732:                             ;   in Loop: Header=BB6_7023 Depth=3
	v_and_b32_e32 v14, 0x7fffffff, v7
	v_mov_b32_e32 v15, v51
	v_cmp_gt_u64_e32 vcc, s[54:55], v[14:15]
	s_and_saveexec_b64 s[68:69], vcc
	s_cbranch_execz .LBB6_7740
; %bb.7733:                             ;   in Loop: Header=BB6_7023 Depth=3
	v_cmp_ne_u32_e32 vcc, 0, v7
	v_mov_b32_e32 v38, 0
	s_and_saveexec_b64 s[70:71], vcc
	s_cbranch_execz .LBB6_7739
; %bb.7734:                             ;   in Loop: Header=BB6_7023 Depth=3
	v_bfe_u32 v6, v7, 23, 8
	v_cmp_eq_u32_e32 vcc, 0, v6
	v_add_u32_e32 v7, 0xffffff81, v6
	v_cmp_gt_u32_e64 s[28:29], s38, v6
	v_sub_u32_e32 v6, 0x71, v6
	v_mov_b32_e32 v14, 0xffffff82
	v_cndmask_b32_e64 v6, 0, v6, s[28:29]
	v_cndmask_b32_e32 v38, v7, v14, vcc
	v_mov_b32_e32 v7, 0x70
	v_cndmask_b32_e32 v39, v6, v7, vcc
	v_add_u32_e32 v6, 21, v39
	v_or_b32_e32 v13, 0x800000, v50
	v_lshlrev_b64 v[6:7], v6, -1
	v_cndmask_b32_e32 v50, v13, v50, vcc
	v_not_b32_e32 v7, v7
	v_not_b32_e32 v6, v6
	v_add_u32_e32 v13, 20, v39
	v_and_b32_e32 v7, 0, v7
	v_and_b32_e32 v6, v50, v6
	v_lshlrev_b64 v[14:15], v13, 1
	v_cmp_eq_u64_e32 vcc, v[6:7], v[14:15]
	v_lshrrev_b64 v[6:7], v39, v[50:51]
	v_lshrrev_b32_e32 v13, 23, v6
	v_add3_u32 v15, v39, v38, v13
	v_bfe_u32 v13, v6, 21, 1
	v_add_u32_e32 v13, -1, v13
	v_cndmask_b32_e32 v13, 0, v13, vcc
	v_add_u32_e32 v13, v13, v6
	v_and_b32_e32 v13, 0x1fffff, v13
	v_add_co_u32_e32 v6, vcc, v13, v6
	v_add_u32_e32 v14, 14, v15
	v_addc_co_u32_e32 v7, vcc, 0, v7, vcc
	v_cmp_ne_u32_e32 vcc, 0, v14
                                        ; implicit-def: $vgpr13
	s_and_saveexec_b64 s[28:29], vcc
	s_xor_b64 s[28:29], exec, s[28:29]
; %bb.7735:                             ;   in Loop: Header=BB6_7023 Depth=3
	v_add_u32_e32 v13, 15, v15
	v_cmp_lt_u64_e32 vcc, s[56:57], v[6:7]
	v_cndmask_b32_e32 v13, v14, v13, vcc
	v_cndmask_b32_e64 v14, 0, 1, vcc
	v_lshrrev_b64 v[6:7], v14, v[6:7]
; %bb.7736:                             ;   in Loop: Header=BB6_7023 Depth=3
	s_andn2_saveexec_b64 s[28:29], s[28:29]
; %bb.7737:                             ;   in Loop: Header=BB6_7023 Depth=3
	v_bfe_u32 v13, v6, 23, 1
; %bb.7738:                             ;   in Loop: Header=BB6_7023 Depth=3
	s_or_b64 exec, exec, s[28:29]
	v_lshrrev_b64 v[6:7], 21, v[6:7]
	v_cmp_gt_i32_e32 vcc, 32, v13
	v_cndmask_b32_e32 v7, 0, v7, vcc
	v_cndmask_b32_e32 v6, 3, v6, vcc
	v_cmp_eq_u64_e64 s[28:29], 0, v[6:7]
	v_min_i32_e32 v7, 31, v13
	v_cmp_eq_u32_e32 vcc, 0, v13
	v_lshlrev_b32_e32 v7, 2, v7
	v_and_or_b32 v6, v6, 3, v7
	s_and_b64 s[28:29], vcc, s[28:29]
	v_cndmask_b32_e64 v6, v6, 0, s[28:29]
	v_or_b32_e32 v38, v6, v12
.LBB6_7739:                             ;   in Loop: Header=BB6_7023 Depth=3
	s_or_b64 exec, exec, s[70:71]
.LBB6_7740:                             ;   in Loop: Header=BB6_7023 Depth=3
	s_or_b64 exec, exec, s[68:69]
                                        ; implicit-def: $vgpr7
.LBB6_7741:                             ;   in Loop: Header=BB6_7023 Depth=3
	s_andn2_saveexec_b64 s[28:29], s[30:31]
; %bb.7742:                             ;   in Loop: Header=BB6_7023 Depth=3
	v_or_b32_sdwa v6, v7, s39 dst_sel:DWORD dst_unused:UNUSED_PAD src0_sel:BYTE_3 src1_sel:DWORD
	v_cmp_eq_u64_e32 vcc, 0, v[50:51]
	v_cndmask_b32_e32 v38, v6, v38, vcc
; %bb.7743:                             ;   in Loop: Header=BB6_7023 Depth=3
	s_or_b64 exec, exec, s[28:29]
	v_lshrrev_b32_e32 v12, 24, v23
	v_lshrrev_b32_e32 v6, 24, v19
	v_cmp_lt_u64_e64 s[28:29], s[42:43], v[22:23]
	s_and_b64 vcc, exec, s[66:67]
	s_cbranch_vccz .LBB6_7761
; %bb.7744:                             ;   in Loop: Header=BB6_7023 Depth=3
	v_mov_b32_e32 v13, 0
	v_mov_b32_e32 v7, 0
	s_and_saveexec_b64 s[30:31], s[28:29]
	s_cbranch_execz .LBB6_7752
; %bb.7745:                             ;   in Loop: Header=BB6_7023 Depth=3
	v_cmp_ne_u32_e32 vcc, s97, v12
	v_bfrev_b32_e32 v7, 1
	s_and_saveexec_b64 s[68:69], vcc
	s_cbranch_execz .LBB6_7751
; %bb.7746:                             ;   in Loop: Header=BB6_7023 Depth=3
	v_and_b32_e32 v7, 0x7c000000, v23
	v_bfe_u32 v14, v23, 24, 2
	v_cmp_ne_u32_e32 vcc, s37, v7
                                        ; implicit-def: $vgpr7
	s_and_saveexec_b64 s[70:71], vcc
	s_xor_b64 s[70:71], exec, s[70:71]
	s_cbranch_execz .LBB6_7748
; %bb.7747:                             ;   in Loop: Header=BB6_7023 Depth=3
	v_ffbh_u32_e32 v15, v14
	v_bfe_u32 v7, v23, 26, 5
	v_min_u32_e32 v15, 32, v15
	v_subrev_u32_e32 v39, 29, v15
	v_sub_u32_e32 v15, 30, v15
	v_cmp_eq_u32_e32 vcc, 0, v7
	v_lshlrev_b64 v[48:49], v39, v[12:13]
	v_cndmask_b32_e32 v7, v7, v15, vcc
	v_bfrev_b32_e32 v15, 28
	v_and_b32_e32 v39, 3, v48
	v_lshl_add_u32 v7, v7, 23, v15
	v_cndmask_b32_e32 v14, v14, v39, vcc
	v_and_or_b32 v7, v23, s96, v7
	v_lshl_or_b32 v7, v14, 21, v7
                                        ; implicit-def: $vgpr14
.LBB6_7748:                             ;   in Loop: Header=BB6_7023 Depth=3
	s_andn2_saveexec_b64 s[70:71], s[70:71]
; %bb.7749:                             ;   in Loop: Header=BB6_7023 Depth=3
	v_cmp_lt_i64_e32 vcc, -1, v[22:23]
	v_mov_b32_e32 v7, 0xc7600000
	v_mov_b32_e32 v15, 0x47600000
	v_cndmask_b32_e32 v7, v7, v15, vcc
	v_cmp_eq_u32_e32 vcc, 0, v14
	v_mov_b32_e32 v14, 0x7f800001
	v_cndmask_b32_e32 v7, v14, v7, vcc
; %bb.7750:                             ;   in Loop: Header=BB6_7023 Depth=3
	s_or_b64 exec, exec, s[70:71]
.LBB6_7751:                             ;   in Loop: Header=BB6_7023 Depth=3
	s_or_b64 exec, exec, s[68:69]
.LBB6_7752:                             ;   in Loop: Header=BB6_7023 Depth=3
	s_or_b64 exec, exec, s[30:31]
	v_cmp_lt_u64_e32 vcc, s[42:43], v[18:19]
	s_and_saveexec_b64 s[30:31], vcc
	s_cbranch_execz .LBB6_7760
; %bb.7753:                             ;   in Loop: Header=BB6_7023 Depth=3
	v_cmp_ne_u32_e32 vcc, s97, v6
	v_bfrev_b32_e32 v13, 1
	s_and_saveexec_b64 s[68:69], vcc
	s_cbranch_execz .LBB6_7759
; %bb.7754:                             ;   in Loop: Header=BB6_7023 Depth=3
	v_and_b32_e32 v13, 0x7c000000, v19
	v_bfe_u32 v14, v19, 24, 2
	v_cmp_ne_u32_e32 vcc, s37, v13
                                        ; implicit-def: $vgpr13
	s_and_saveexec_b64 s[70:71], vcc
	s_xor_b64 s[70:71], exec, s[70:71]
	s_cbranch_execz .LBB6_7756
; %bb.7755:                             ;   in Loop: Header=BB6_7023 Depth=3
	v_ffbh_u32_e32 v15, v14
	v_bfe_u32 v13, v19, 26, 5
	v_min_u32_e32 v15, 32, v15
	v_subrev_u32_e32 v39, 29, v15
	v_sub_u32_e32 v15, 30, v15
	v_cmp_eq_u32_e32 vcc, 0, v13
	v_lshlrev_b64 v[48:49], v39, v[6:7]
	v_cndmask_b32_e32 v13, v13, v15, vcc
	v_bfrev_b32_e32 v15, 28
	v_and_b32_e32 v39, 3, v48
	v_lshl_add_u32 v13, v13, 23, v15
	v_cndmask_b32_e32 v14, v14, v39, vcc
	v_and_or_b32 v13, v19, s96, v13
	v_lshl_or_b32 v13, v14, 21, v13
                                        ; implicit-def: $vgpr14
.LBB6_7756:                             ;   in Loop: Header=BB6_7023 Depth=3
	s_andn2_saveexec_b64 s[70:71], s[70:71]
; %bb.7757:                             ;   in Loop: Header=BB6_7023 Depth=3
	v_cmp_lt_i64_e32 vcc, -1, v[18:19]
	v_mov_b32_e32 v13, 0xc7600000
	v_mov_b32_e32 v15, 0x47600000
	v_cndmask_b32_e32 v13, v13, v15, vcc
	v_cmp_eq_u32_e32 vcc, 0, v14
	v_mov_b32_e32 v14, 0x7f800001
	v_cndmask_b32_e32 v13, v14, v13, vcc
; %bb.7758:                             ;   in Loop: Header=BB6_7023 Depth=3
	s_or_b64 exec, exec, s[70:71]
.LBB6_7759:                             ;   in Loop: Header=BB6_7023 Depth=3
	s_or_b64 exec, exec, s[68:69]
.LBB6_7760:                             ;   in Loop: Header=BB6_7023 Depth=3
	s_or_b64 exec, exec, s[30:31]
	v_max_f32_e32 v13, v13, v13
	v_max_f32_e32 v7, v7, v7
	;; [unrolled: 1-line block ×3, first 2 shown]
	s_branch .LBB6_7779
.LBB6_7761:                             ;   in Loop: Header=BB6_7023 Depth=3
                                        ; implicit-def: $vgpr7
	s_cbranch_execz .LBB6_7779
; %bb.7762:                             ;   in Loop: Header=BB6_7023 Depth=3
	v_mov_b32_e32 v13, 0
	v_mov_b32_e32 v7, 0
	s_and_saveexec_b64 s[30:31], s[28:29]
	s_cbranch_execz .LBB6_7770
; %bb.7763:                             ;   in Loop: Header=BB6_7023 Depth=3
	v_cmp_ne_u32_e32 vcc, s97, v12
	v_bfrev_b32_e32 v7, 1
	s_and_saveexec_b64 s[28:29], vcc
	s_cbranch_execz .LBB6_7769
; %bb.7764:                             ;   in Loop: Header=BB6_7023 Depth=3
	v_and_b32_e32 v7, 0x7c000000, v23
	v_bfe_u32 v14, v23, 24, 2
	v_cmp_ne_u32_e32 vcc, s37, v7
                                        ; implicit-def: $vgpr7
	s_and_saveexec_b64 s[68:69], vcc
	s_xor_b64 s[68:69], exec, s[68:69]
	s_cbranch_execz .LBB6_7766
; %bb.7765:                             ;   in Loop: Header=BB6_7023 Depth=3
	v_ffbh_u32_e32 v15, v14
	v_min_u32_e32 v15, 32, v15
	v_subrev_u32_e32 v22, 29, v15
	v_bfe_u32 v7, v23, 26, 5
	v_lshlrev_b64 v[48:49], v22, v[12:13]
	v_sub_u32_e32 v12, 30, v15
	v_and_b32_e32 v15, 3, v48
	v_cmp_eq_u32_e32 vcc, 0, v7
	v_cndmask_b32_e32 v7, v7, v12, vcc
	v_cndmask_b32_e32 v12, v14, v15, vcc
	v_bfrev_b32_e32 v14, 28
	v_lshl_add_u32 v7, v7, 23, v14
	v_and_or_b32 v7, v23, s96, v7
	v_lshl_or_b32 v7, v12, 21, v7
                                        ; implicit-def: $vgpr14
                                        ; implicit-def: $vgpr22_vgpr23
.LBB6_7766:                             ;   in Loop: Header=BB6_7023 Depth=3
	s_andn2_saveexec_b64 s[68:69], s[68:69]
; %bb.7767:                             ;   in Loop: Header=BB6_7023 Depth=3
	v_cmp_lt_i64_e32 vcc, -1, v[22:23]
	v_mov_b32_e32 v7, 0xc7600000
	v_mov_b32_e32 v12, 0x47600000
	v_cndmask_b32_e32 v7, v7, v12, vcc
	v_cmp_eq_u32_e32 vcc, 0, v14
	v_mov_b32_e32 v12, 0x7f800001
	v_cndmask_b32_e32 v7, v12, v7, vcc
; %bb.7768:                             ;   in Loop: Header=BB6_7023 Depth=3
	s_or_b64 exec, exec, s[68:69]
.LBB6_7769:                             ;   in Loop: Header=BB6_7023 Depth=3
	s_or_b64 exec, exec, s[28:29]
.LBB6_7770:                             ;   in Loop: Header=BB6_7023 Depth=3
	s_or_b64 exec, exec, s[30:31]
	v_cmp_lt_u64_e32 vcc, s[42:43], v[18:19]
	s_and_saveexec_b64 s[28:29], vcc
	s_cbranch_execz .LBB6_7778
; %bb.7771:                             ;   in Loop: Header=BB6_7023 Depth=3
	v_cmp_ne_u32_e32 vcc, s97, v6
	v_bfrev_b32_e32 v13, 1
	s_and_saveexec_b64 s[30:31], vcc
	s_cbranch_execz .LBB6_7777
; %bb.7772:                             ;   in Loop: Header=BB6_7023 Depth=3
	v_and_b32_e32 v13, 0x7c000000, v19
	v_bfe_u32 v12, v19, 24, 2
	v_cmp_ne_u32_e32 vcc, s37, v13
                                        ; implicit-def: $vgpr13
	s_and_saveexec_b64 s[68:69], vcc
	s_xor_b64 s[68:69], exec, s[68:69]
	s_cbranch_execz .LBB6_7774
; %bb.7773:                             ;   in Loop: Header=BB6_7023 Depth=3
	v_ffbh_u32_e32 v14, v12
	v_min_u32_e32 v18, 32, v14
	v_bfe_u32 v13, v19, 26, 5
	v_subrev_u32_e32 v14, 29, v18
	v_lshlrev_b64 v[14:15], v14, v[6:7]
	v_sub_u32_e32 v6, 30, v18
	v_cmp_eq_u32_e32 vcc, 0, v13
	v_cndmask_b32_e32 v6, v13, v6, vcc
	v_bfrev_b32_e32 v13, 28
	v_and_b32_e32 v14, 3, v14
	v_lshl_add_u32 v6, v6, 23, v13
	v_cndmask_b32_e32 v12, v12, v14, vcc
	v_and_or_b32 v6, v19, s96, v6
	v_lshl_or_b32 v13, v12, 21, v6
                                        ; implicit-def: $vgpr12
                                        ; implicit-def: $vgpr18_vgpr19
.LBB6_7774:                             ;   in Loop: Header=BB6_7023 Depth=3
	s_andn2_saveexec_b64 s[68:69], s[68:69]
; %bb.7775:                             ;   in Loop: Header=BB6_7023 Depth=3
	v_cmp_lt_i64_e32 vcc, -1, v[18:19]
	v_mov_b32_e32 v6, 0xc7600000
	v_mov_b32_e32 v13, 0x47600000
	v_cndmask_b32_e32 v6, v6, v13, vcc
	v_cmp_eq_u32_e32 vcc, 0, v12
	v_mov_b32_e32 v12, 0x7f800001
	v_cndmask_b32_e32 v13, v12, v6, vcc
; %bb.7776:                             ;   in Loop: Header=BB6_7023 Depth=3
	s_or_b64 exec, exec, s[68:69]
.LBB6_7777:                             ;   in Loop: Header=BB6_7023 Depth=3
	s_or_b64 exec, exec, s[30:31]
.LBB6_7778:                             ;   in Loop: Header=BB6_7023 Depth=3
	s_or_b64 exec, exec, s[28:29]
	v_max_f32_e32 v6, v13, v13
	v_max_f32_e32 v7, v7, v7
	v_min_f32_e32 v7, v7, v6
.LBB6_7779:                             ;   in Loop: Header=BB6_7023 Depth=3
	v_and_b32_sdwa v12, v7, s97 dst_sel:DWORD dst_unused:UNUSED_PAD src0_sel:BYTE_3 src1_sel:DWORD
	v_and_b32_e32 v14, 0x7f800000, v7
	v_mov_b32_e32 v15, v51
	v_and_b32_e32 v50, 0x7fffff, v7
	v_or_b32_e32 v18, 0x7b, v12
	v_cmp_ne_u64_e32 vcc, s[52:53], v[14:15]
	s_and_saveexec_b64 s[28:29], vcc
	s_xor_b64 s[30:31], exec, s[28:29]
	s_cbranch_execz .LBB6_7789
; %bb.7780:                             ;   in Loop: Header=BB6_7023 Depth=3
	v_and_b32_e32 v14, 0x7fffffff, v7
	v_mov_b32_e32 v15, v51
	v_cmp_gt_u64_e32 vcc, s[54:55], v[14:15]
	s_and_saveexec_b64 s[68:69], vcc
	s_cbranch_execz .LBB6_7788
; %bb.7781:                             ;   in Loop: Header=BB6_7023 Depth=3
	v_cmp_ne_u32_e32 vcc, 0, v7
	v_mov_b32_e32 v18, 0
	s_and_saveexec_b64 s[70:71], vcc
	s_cbranch_execz .LBB6_7787
; %bb.7782:                             ;   in Loop: Header=BB6_7023 Depth=3
	v_bfe_u32 v6, v7, 23, 8
	v_cmp_eq_u32_e32 vcc, 0, v6
	v_add_u32_e32 v7, 0xffffff81, v6
	v_cmp_gt_u32_e64 s[28:29], s38, v6
	v_sub_u32_e32 v6, 0x71, v6
	v_mov_b32_e32 v14, 0xffffff82
	v_cndmask_b32_e64 v6, 0, v6, s[28:29]
	v_cndmask_b32_e32 v18, v7, v14, vcc
	v_mov_b32_e32 v7, 0x70
	v_cndmask_b32_e32 v19, v6, v7, vcc
	v_add_u32_e32 v6, 21, v19
	v_or_b32_e32 v13, 0x800000, v50
	v_lshlrev_b64 v[6:7], v6, -1
	v_cndmask_b32_e32 v50, v13, v50, vcc
	v_not_b32_e32 v7, v7
	v_not_b32_e32 v6, v6
	v_add_u32_e32 v13, 20, v19
	v_and_b32_e32 v7, 0, v7
	v_and_b32_e32 v6, v50, v6
	v_lshlrev_b64 v[14:15], v13, 1
	v_cmp_eq_u64_e32 vcc, v[6:7], v[14:15]
	v_lshrrev_b64 v[6:7], v19, v[50:51]
	v_lshrrev_b32_e32 v13, 23, v6
	v_add3_u32 v15, v19, v18, v13
	v_bfe_u32 v13, v6, 21, 1
	v_add_u32_e32 v13, -1, v13
	v_cndmask_b32_e32 v13, 0, v13, vcc
	v_add_u32_e32 v13, v13, v6
	v_and_b32_e32 v13, 0x1fffff, v13
	v_add_co_u32_e32 v6, vcc, v13, v6
	v_add_u32_e32 v14, 14, v15
	v_addc_co_u32_e32 v7, vcc, 0, v7, vcc
	v_cmp_ne_u32_e32 vcc, 0, v14
                                        ; implicit-def: $vgpr13
	s_and_saveexec_b64 s[28:29], vcc
	s_xor_b64 s[28:29], exec, s[28:29]
; %bb.7783:                             ;   in Loop: Header=BB6_7023 Depth=3
	v_add_u32_e32 v13, 15, v15
	v_cmp_lt_u64_e32 vcc, s[56:57], v[6:7]
	v_cndmask_b32_e32 v13, v14, v13, vcc
	v_cndmask_b32_e64 v14, 0, 1, vcc
	v_lshrrev_b64 v[6:7], v14, v[6:7]
; %bb.7784:                             ;   in Loop: Header=BB6_7023 Depth=3
	s_andn2_saveexec_b64 s[28:29], s[28:29]
; %bb.7785:                             ;   in Loop: Header=BB6_7023 Depth=3
	v_bfe_u32 v13, v6, 23, 1
; %bb.7786:                             ;   in Loop: Header=BB6_7023 Depth=3
	s_or_b64 exec, exec, s[28:29]
	v_lshrrev_b64 v[6:7], 21, v[6:7]
	v_cmp_gt_i32_e32 vcc, 32, v13
	v_cndmask_b32_e32 v7, 0, v7, vcc
	v_cndmask_b32_e32 v6, 3, v6, vcc
	v_cmp_eq_u64_e64 s[28:29], 0, v[6:7]
	v_min_i32_e32 v7, 31, v13
	v_lshlrev_b32_e32 v7, 2, v7
	v_cmp_eq_u32_e32 vcc, 0, v13
	v_and_b32_e32 v7, 0xfc, v7
	v_and_or_b32 v6, v6, 3, v7
	s_and_b64 s[28:29], vcc, s[28:29]
	v_cndmask_b32_e64 v6, v6, 0, s[28:29]
	v_or_b32_e32 v18, v6, v12
.LBB6_7787:                             ;   in Loop: Header=BB6_7023 Depth=3
	s_or_b64 exec, exec, s[70:71]
.LBB6_7788:                             ;   in Loop: Header=BB6_7023 Depth=3
	s_or_b64 exec, exec, s[68:69]
                                        ; implicit-def: $vgpr7
.LBB6_7789:                             ;   in Loop: Header=BB6_7023 Depth=3
	s_andn2_saveexec_b64 s[28:29], s[30:31]
; %bb.7790:                             ;   in Loop: Header=BB6_7023 Depth=3
	v_or_b32_sdwa v6, v7, s39 dst_sel:DWORD dst_unused:UNUSED_PAD src0_sel:BYTE_3 src1_sel:DWORD
	v_cmp_eq_u64_e32 vcc, 0, v[50:51]
	v_cndmask_b32_e32 v18, v6, v18, vcc
; %bb.7791:                             ;   in Loop: Header=BB6_7023 Depth=3
	s_or_b64 exec, exec, s[28:29]
	v_cndmask_b32_e64 v6, 0, 1, s[66:67]
	v_cmp_ne_u32_e64 s[28:29], 1, v6
	s_andn2_b64 vcc, exec, s[66:67]
	v_cmp_ne_u16_sdwa s[30:31], v0, v51 src0_sel:BYTE_0 src1_sel:DWORD
	s_cbranch_vccnz .LBB6_7809
; %bb.7792:                             ;   in Loop: Header=BB6_7023 Depth=3
	v_mov_b32_e32 v7, 0
	v_mov_b32_e32 v6, 0
	s_and_saveexec_b64 s[68:69], s[30:31]
	s_cbranch_execz .LBB6_7800
; %bb.7793:                             ;   in Loop: Header=BB6_7023 Depth=3
	v_cmp_ne_u16_sdwa vcc, sext(v0), s94 src0_sel:BYTE_0 src1_sel:DWORD
	v_bfrev_b32_e32 v6, 1
	s_and_saveexec_b64 s[70:71], vcc
	s_cbranch_execz .LBB6_7799
; %bb.7794:                             ;   in Loop: Header=BB6_7023 Depth=3
	v_and_b32_e32 v6, 0x7c, v0
	v_and_b32_e32 v12, 3, v0
	v_cmp_ne_u32_e32 vcc, s95, v6
                                        ; implicit-def: $vgpr6
	s_and_saveexec_b64 s[72:73], vcc
	s_xor_b64 s[72:73], exec, s[72:73]
	s_cbranch_execz .LBB6_7796
; %bb.7795:                             ;   in Loop: Header=BB6_7023 Depth=3
	v_ffbh_u32_e32 v13, v12
	v_min_u32_e32 v13, 32, v13
	v_subrev_u32_e32 v14, 29, v13
	v_bfe_u32 v6, v0, 2, 5
	v_lshlrev_b64 v[14:15], v14, v[0:1]
	v_sub_u32_e32 v13, 30, v13
	v_and_b32_e32 v14, 3, v14
	v_cmp_eq_u32_e32 vcc, 0, v6
	v_cndmask_b32_e32 v6, v6, v13, vcc
	v_cndmask_b32_e32 v12, v12, v14, vcc
	v_bfrev_b32_e32 v14, 28
	v_lshlrev_b32_e32 v13, 24, v0
	v_lshl_add_u32 v6, v6, 23, v14
	v_and_or_b32 v6, v13, s96, v6
	v_lshl_or_b32 v6, v12, 21, v6
                                        ; implicit-def: $vgpr12
.LBB6_7796:                             ;   in Loop: Header=BB6_7023 Depth=3
	s_andn2_saveexec_b64 s[72:73], s[72:73]
; %bb.7797:                             ;   in Loop: Header=BB6_7023 Depth=3
	v_mov_b32_e32 v6, -1
	v_cmp_gt_i16_sdwa vcc, sext(v0), v6 src0_sel:BYTE_0 src1_sel:DWORD
	v_mov_b32_e32 v6, 0xc7600000
	v_mov_b32_e32 v13, 0x47600000
	v_cndmask_b32_e32 v6, v6, v13, vcc
	v_cmp_eq_u32_e32 vcc, 0, v12
	v_mov_b32_e32 v12, 0x7f800001
	v_cndmask_b32_e32 v6, v12, v6, vcc
; %bb.7798:                             ;   in Loop: Header=BB6_7023 Depth=3
	s_or_b64 exec, exec, s[72:73]
.LBB6_7799:                             ;   in Loop: Header=BB6_7023 Depth=3
	s_or_b64 exec, exec, s[70:71]
.LBB6_7800:                             ;   in Loop: Header=BB6_7023 Depth=3
	s_or_b64 exec, exec, s[68:69]
	v_cmp_ne_u16_sdwa vcc, sext(v8), v51 src0_sel:BYTE_0 src1_sel:DWORD
	s_and_saveexec_b64 s[68:69], vcc
	s_cbranch_execz .LBB6_7808
; %bb.7801:                             ;   in Loop: Header=BB6_7023 Depth=3
	v_cmp_ne_u16_sdwa vcc, sext(v8), s94 src0_sel:BYTE_0 src1_sel:DWORD
	v_bfrev_b32_e32 v7, 1
	s_and_saveexec_b64 s[70:71], vcc
	s_cbranch_execz .LBB6_7807
; %bb.7802:                             ;   in Loop: Header=BB6_7023 Depth=3
	v_and_b32_e32 v7, 0x7c, v8
	v_and_b32_e32 v12, 3, v8
	v_cmp_ne_u32_e32 vcc, s95, v7
                                        ; implicit-def: $vgpr7
	s_and_saveexec_b64 s[72:73], vcc
	s_xor_b64 s[72:73], exec, s[72:73]
	s_cbranch_execz .LBB6_7804
; %bb.7803:                             ;   in Loop: Header=BB6_7023 Depth=3
	v_ffbh_u32_e32 v13, v12
	v_min_u32_e32 v13, 32, v13
	v_subrev_u32_e32 v14, 29, v13
	v_bfe_u32 v7, v8, 2, 5
	v_lshlrev_b64 v[14:15], v14, v[8:9]
	v_sub_u32_e32 v13, 30, v13
	v_and_b32_e32 v14, 3, v14
	v_cmp_eq_u32_e32 vcc, 0, v7
	v_cndmask_b32_e32 v7, v7, v13, vcc
	v_cndmask_b32_e32 v12, v12, v14, vcc
	v_bfrev_b32_e32 v14, 28
	v_lshlrev_b32_e32 v13, 24, v8
	v_lshl_add_u32 v7, v7, 23, v14
	v_and_or_b32 v7, v13, s96, v7
	v_lshl_or_b32 v7, v12, 21, v7
                                        ; implicit-def: $vgpr12
.LBB6_7804:                             ;   in Loop: Header=BB6_7023 Depth=3
	s_andn2_saveexec_b64 s[72:73], s[72:73]
; %bb.7805:                             ;   in Loop: Header=BB6_7023 Depth=3
	v_mov_b32_e32 v7, -1
	v_cmp_gt_i16_sdwa vcc, sext(v8), v7 src0_sel:BYTE_0 src1_sel:DWORD
	v_mov_b32_e32 v7, 0xc7600000
	v_mov_b32_e32 v13, 0x47600000
	v_cndmask_b32_e32 v7, v7, v13, vcc
	v_cmp_eq_u32_e32 vcc, 0, v12
	v_mov_b32_e32 v12, 0x7f800001
	v_cndmask_b32_e32 v7, v12, v7, vcc
; %bb.7806:                             ;   in Loop: Header=BB6_7023 Depth=3
	s_or_b64 exec, exec, s[72:73]
.LBB6_7807:                             ;   in Loop: Header=BB6_7023 Depth=3
	s_or_b64 exec, exec, s[70:71]
.LBB6_7808:                             ;   in Loop: Header=BB6_7023 Depth=3
	s_or_b64 exec, exec, s[68:69]
	v_max_f32_e32 v7, v7, v7
	v_max_f32_e32 v6, v6, v6
	v_max_f32_e32 v6, v6, v7
	s_branch .LBB6_7827
.LBB6_7809:                             ;   in Loop: Header=BB6_7023 Depth=3
                                        ; implicit-def: $vgpr6
	s_cbranch_execz .LBB6_7827
; %bb.7810:                             ;   in Loop: Header=BB6_7023 Depth=3
	v_mov_b32_e32 v7, 0
	v_mov_b32_e32 v6, 0
	s_and_saveexec_b64 s[68:69], s[30:31]
	s_cbranch_execz .LBB6_7818
; %bb.7811:                             ;   in Loop: Header=BB6_7023 Depth=3
	v_cmp_ne_u16_sdwa vcc, sext(v0), s94 src0_sel:BYTE_0 src1_sel:DWORD
	v_bfrev_b32_e32 v6, 1
	s_and_saveexec_b64 s[30:31], vcc
	s_cbranch_execz .LBB6_7817
; %bb.7812:                             ;   in Loop: Header=BB6_7023 Depth=3
	v_and_b32_e32 v6, 0x7c, v0
	v_and_b32_e32 v12, 3, v0
	v_cmp_ne_u32_e32 vcc, s95, v6
                                        ; implicit-def: $vgpr6
	s_and_saveexec_b64 s[70:71], vcc
	s_xor_b64 s[70:71], exec, s[70:71]
	s_cbranch_execz .LBB6_7814
; %bb.7813:                             ;   in Loop: Header=BB6_7023 Depth=3
	v_ffbh_u32_e32 v13, v12
	v_min_u32_e32 v13, 32, v13
	v_subrev_u32_e32 v14, 29, v13
	v_bfe_u32 v6, v0, 2, 5
	v_lshlrev_b64 v[14:15], v14, v[0:1]
	v_sub_u32_e32 v13, 30, v13
	v_and_b32_e32 v14, 3, v14
	v_cmp_eq_u32_e32 vcc, 0, v6
	v_cndmask_b32_e32 v6, v6, v13, vcc
	v_cndmask_b32_e32 v12, v12, v14, vcc
	v_bfrev_b32_e32 v14, 28
	v_lshlrev_b32_e32 v13, 24, v0
	v_lshl_add_u32 v6, v6, 23, v14
	v_and_or_b32 v6, v13, s96, v6
	v_lshl_or_b32 v6, v12, 21, v6
                                        ; implicit-def: $vgpr12
.LBB6_7814:                             ;   in Loop: Header=BB6_7023 Depth=3
	s_andn2_saveexec_b64 s[70:71], s[70:71]
; %bb.7815:                             ;   in Loop: Header=BB6_7023 Depth=3
	v_mov_b32_e32 v6, -1
	v_cmp_gt_i16_sdwa vcc, sext(v0), v6 src0_sel:BYTE_0 src1_sel:DWORD
	v_mov_b32_e32 v6, 0xc7600000
	v_mov_b32_e32 v13, 0x47600000
	v_cndmask_b32_e32 v6, v6, v13, vcc
	v_cmp_eq_u32_e32 vcc, 0, v12
	v_mov_b32_e32 v12, 0x7f800001
	v_cndmask_b32_e32 v6, v12, v6, vcc
; %bb.7816:                             ;   in Loop: Header=BB6_7023 Depth=3
	s_or_b64 exec, exec, s[70:71]
.LBB6_7817:                             ;   in Loop: Header=BB6_7023 Depth=3
	s_or_b64 exec, exec, s[30:31]
.LBB6_7818:                             ;   in Loop: Header=BB6_7023 Depth=3
	s_or_b64 exec, exec, s[68:69]
	v_cmp_ne_u16_sdwa vcc, sext(v8), v51 src0_sel:BYTE_0 src1_sel:DWORD
	s_and_saveexec_b64 s[30:31], vcc
	s_cbranch_execz .LBB6_7826
; %bb.7819:                             ;   in Loop: Header=BB6_7023 Depth=3
	v_cmp_ne_u16_sdwa vcc, sext(v8), s94 src0_sel:BYTE_0 src1_sel:DWORD
	v_bfrev_b32_e32 v7, 1
	s_and_saveexec_b64 s[68:69], vcc
	s_cbranch_execz .LBB6_7825
; %bb.7820:                             ;   in Loop: Header=BB6_7023 Depth=3
	v_and_b32_e32 v7, 0x7c, v8
	v_and_b32_e32 v12, 3, v8
	v_cmp_ne_u32_e32 vcc, s95, v7
                                        ; implicit-def: $vgpr7
	s_and_saveexec_b64 s[70:71], vcc
	s_xor_b64 s[70:71], exec, s[70:71]
	s_cbranch_execz .LBB6_7822
; %bb.7821:                             ;   in Loop: Header=BB6_7023 Depth=3
	v_ffbh_u32_e32 v13, v12
	v_min_u32_e32 v13, 32, v13
	v_subrev_u32_e32 v14, 29, v13
	v_bfe_u32 v7, v8, 2, 5
	v_lshlrev_b64 v[14:15], v14, v[8:9]
	v_sub_u32_e32 v13, 30, v13
	v_and_b32_e32 v14, 3, v14
	v_cmp_eq_u32_e32 vcc, 0, v7
	v_cndmask_b32_e32 v7, v7, v13, vcc
	v_cndmask_b32_e32 v12, v12, v14, vcc
	v_bfrev_b32_e32 v14, 28
	v_lshlrev_b32_e32 v13, 24, v8
	v_lshl_add_u32 v7, v7, 23, v14
	v_and_or_b32 v7, v13, s96, v7
	v_lshl_or_b32 v7, v12, 21, v7
                                        ; implicit-def: $vgpr12
.LBB6_7822:                             ;   in Loop: Header=BB6_7023 Depth=3
	s_andn2_saveexec_b64 s[70:71], s[70:71]
; %bb.7823:                             ;   in Loop: Header=BB6_7023 Depth=3
	v_mov_b32_e32 v7, -1
	v_cmp_gt_i16_sdwa vcc, sext(v8), v7 src0_sel:BYTE_0 src1_sel:DWORD
	v_mov_b32_e32 v7, 0xc7600000
	v_mov_b32_e32 v13, 0x47600000
	v_cndmask_b32_e32 v7, v7, v13, vcc
	v_cmp_eq_u32_e32 vcc, 0, v12
	v_mov_b32_e32 v12, 0x7f800001
	v_cndmask_b32_e32 v7, v12, v7, vcc
; %bb.7824:                             ;   in Loop: Header=BB6_7023 Depth=3
	s_or_b64 exec, exec, s[70:71]
.LBB6_7825:                             ;   in Loop: Header=BB6_7023 Depth=3
	s_or_b64 exec, exec, s[68:69]
.LBB6_7826:                             ;   in Loop: Header=BB6_7023 Depth=3
	s_or_b64 exec, exec, s[30:31]
	v_max_f32_e32 v7, v7, v7
	v_max_f32_e32 v6, v6, v6
	v_min_f32_e32 v6, v6, v7
.LBB6_7827:                             ;   in Loop: Header=BB6_7023 Depth=3
	v_and_b32_sdwa v12, v6, s97 dst_sel:DWORD dst_unused:UNUSED_PAD src0_sel:BYTE_3 src1_sel:DWORD
	v_and_b32_e32 v14, 0x7f800000, v6
	v_mov_b32_e32 v15, v51
	v_and_b32_e32 v50, 0x7fffff, v6
	v_or_b32_e32 v19, 0x7b, v12
	v_cmp_ne_u64_e32 vcc, s[52:53], v[14:15]
	s_and_saveexec_b64 s[30:31], vcc
	s_xor_b64 s[68:69], exec, s[30:31]
	s_cbranch_execz .LBB6_7837
; %bb.7828:                             ;   in Loop: Header=BB6_7023 Depth=3
	v_and_b32_e32 v14, 0x7fffffff, v6
	v_mov_b32_e32 v15, v51
	v_cmp_gt_u64_e32 vcc, s[54:55], v[14:15]
	s_and_saveexec_b64 s[70:71], vcc
	s_cbranch_execz .LBB6_7836
; %bb.7829:                             ;   in Loop: Header=BB6_7023 Depth=3
	v_cmp_ne_u32_e32 vcc, 0, v6
	v_mov_b32_e32 v19, 0
	s_and_saveexec_b64 s[72:73], vcc
	s_cbranch_execz .LBB6_7835
; %bb.7830:                             ;   in Loop: Header=BB6_7023 Depth=3
	v_bfe_u32 v6, v6, 23, 8
	v_cmp_eq_u32_e32 vcc, 0, v6
	v_add_u32_e32 v7, 0xffffff81, v6
	v_cmp_gt_u32_e64 s[30:31], s38, v6
	v_sub_u32_e32 v6, 0x71, v6
	v_mov_b32_e32 v14, 0xffffff82
	v_cndmask_b32_e64 v6, 0, v6, s[30:31]
	v_cndmask_b32_e32 v19, v7, v14, vcc
	v_mov_b32_e32 v7, 0x70
	v_cndmask_b32_e32 v22, v6, v7, vcc
	v_add_u32_e32 v6, 21, v22
	v_or_b32_e32 v13, 0x800000, v50
	v_lshlrev_b64 v[6:7], v6, -1
	v_cndmask_b32_e32 v50, v13, v50, vcc
	v_not_b32_e32 v7, v7
	v_not_b32_e32 v6, v6
	v_add_u32_e32 v13, 20, v22
	v_and_b32_e32 v7, 0, v7
	v_and_b32_e32 v6, v50, v6
	v_lshlrev_b64 v[14:15], v13, 1
	v_cmp_eq_u64_e32 vcc, v[6:7], v[14:15]
	v_lshrrev_b64 v[6:7], v22, v[50:51]
	v_lshrrev_b32_e32 v13, 23, v6
	v_add3_u32 v15, v22, v19, v13
	v_bfe_u32 v13, v6, 21, 1
	v_add_u32_e32 v13, -1, v13
	v_cndmask_b32_e32 v13, 0, v13, vcc
	v_add_u32_e32 v13, v13, v6
	v_and_b32_e32 v13, 0x1fffff, v13
	v_add_co_u32_e32 v6, vcc, v13, v6
	v_add_u32_e32 v14, 14, v15
	v_addc_co_u32_e32 v7, vcc, 0, v7, vcc
	v_cmp_ne_u32_e32 vcc, 0, v14
                                        ; implicit-def: $vgpr13
	s_and_saveexec_b64 s[30:31], vcc
	s_xor_b64 s[30:31], exec, s[30:31]
; %bb.7831:                             ;   in Loop: Header=BB6_7023 Depth=3
	v_add_u32_e32 v13, 15, v15
	v_cmp_lt_u64_e32 vcc, s[56:57], v[6:7]
	v_cndmask_b32_e32 v13, v14, v13, vcc
	v_cndmask_b32_e64 v14, 0, 1, vcc
	v_lshrrev_b64 v[6:7], v14, v[6:7]
; %bb.7832:                             ;   in Loop: Header=BB6_7023 Depth=3
	s_andn2_saveexec_b64 vcc, s[30:31]
; %bb.7833:                             ;   in Loop: Header=BB6_7023 Depth=3
	v_bfe_u32 v13, v6, 23, 1
; %bb.7834:                             ;   in Loop: Header=BB6_7023 Depth=3
	s_or_b64 exec, exec, vcc
	v_lshrrev_b64 v[6:7], 21, v[6:7]
	v_cmp_gt_i32_e32 vcc, 32, v13
	v_cndmask_b32_e32 v7, 0, v7, vcc
	v_cndmask_b32_e32 v6, 3, v6, vcc
	v_cmp_eq_u64_e64 s[30:31], 0, v[6:7]
	v_min_i32_e32 v7, 31, v13
	v_cmp_eq_u32_e32 vcc, 0, v13
	v_lshlrev_b32_e32 v7, 2, v7
	v_and_or_b32 v6, v6, 3, v7
	s_and_b64 vcc, vcc, s[30:31]
	v_cndmask_b32_e64 v6, v6, 0, vcc
	v_or_b32_e32 v19, v6, v12
.LBB6_7835:                             ;   in Loop: Header=BB6_7023 Depth=3
	s_or_b64 exec, exec, s[72:73]
.LBB6_7836:                             ;   in Loop: Header=BB6_7023 Depth=3
	s_or_b64 exec, exec, s[70:71]
                                        ; implicit-def: $vgpr6
.LBB6_7837:                             ;   in Loop: Header=BB6_7023 Depth=3
	s_andn2_saveexec_b64 s[30:31], s[68:69]
; %bb.7838:                             ;   in Loop: Header=BB6_7023 Depth=3
	v_or_b32_sdwa v6, v6, s39 dst_sel:DWORD dst_unused:UNUSED_PAD src0_sel:BYTE_3 src1_sel:DWORD
	v_cmp_eq_u64_e32 vcc, 0, v[50:51]
	v_cndmask_b32_e32 v19, v6, v19, vcc
; %bb.7839:                             ;   in Loop: Header=BB6_7023 Depth=3
	s_or_b64 exec, exec, s[30:31]
	v_lshrrev_b16_e32 v50, 8, v0
	v_lshrrev_b16_e32 v6, 8, v8
	s_and_b64 vcc, exec, s[28:29]
	v_cmp_ne_u16_e64 s[30:31], 0, v50
	s_cbranch_vccnz .LBB6_7857
; %bb.7840:                             ;   in Loop: Header=BB6_7023 Depth=3
	v_mov_b32_e32 v7, 0
	v_mov_b32_e32 v12, 0
	s_and_saveexec_b64 s[68:69], s[30:31]
	s_cbranch_execz .LBB6_7848
; %bb.7841:                             ;   in Loop: Header=BB6_7023 Depth=3
	v_cmp_ne_u16_e32 vcc, s97, v50
	v_bfrev_b32_e32 v12, 1
	s_and_saveexec_b64 s[70:71], vcc
	s_cbranch_execz .LBB6_7847
; %bb.7842:                             ;   in Loop: Header=BB6_7023 Depth=3
	v_and_b32_e32 v12, 0x7c, v50
	v_and_b32_e32 v13, 3, v50
	v_cmp_ne_u32_e32 vcc, s95, v12
                                        ; implicit-def: $vgpr12
	s_and_saveexec_b64 s[72:73], vcc
	s_xor_b64 s[72:73], exec, s[72:73]
	s_cbranch_execz .LBB6_7844
; %bb.7843:                             ;   in Loop: Header=BB6_7023 Depth=3
	v_ffbh_u32_e32 v14, v13
	v_min_u32_e32 v22, 32, v14
	v_subrev_u32_e32 v14, 29, v22
	v_bfe_u32 v12, v50, 2, 5
	v_lshlrev_b64 v[14:15], v14, v[50:51]
	v_sub_u32_e32 v15, 30, v22
	v_cmp_eq_u32_e32 vcc, 0, v12
	v_and_b32_e32 v14, 3, v14
	v_cndmask_b32_e32 v12, v12, v15, vcc
	v_bfrev_b32_e32 v15, 28
	v_cndmask_b32_e32 v13, v13, v14, vcc
	v_lshlrev_b32_e32 v14, 16, v0
	v_lshl_add_u32 v12, v12, 23, v15
	v_and_or_b32 v12, v14, s96, v12
	v_lshl_or_b32 v12, v13, 21, v12
                                        ; implicit-def: $vgpr13
.LBB6_7844:                             ;   in Loop: Header=BB6_7023 Depth=3
	s_andn2_saveexec_b64 s[72:73], s[72:73]
; %bb.7845:                             ;   in Loop: Header=BB6_7023 Depth=3
	v_cmp_lt_i16_e32 vcc, -1, v0
	v_mov_b32_e32 v12, 0xc7600000
	v_mov_b32_e32 v14, 0x47600000
	v_cndmask_b32_e32 v12, v12, v14, vcc
	v_cmp_eq_u32_e32 vcc, 0, v13
	v_mov_b32_e32 v13, 0x7f800001
	v_cndmask_b32_e32 v12, v13, v12, vcc
; %bb.7846:                             ;   in Loop: Header=BB6_7023 Depth=3
	s_or_b64 exec, exec, s[72:73]
.LBB6_7847:                             ;   in Loop: Header=BB6_7023 Depth=3
	s_or_b64 exec, exec, s[70:71]
.LBB6_7848:                             ;   in Loop: Header=BB6_7023 Depth=3
	s_or_b64 exec, exec, s[68:69]
	v_cmp_ne_u16_e32 vcc, 0, v6
	s_and_saveexec_b64 s[68:69], vcc
	s_cbranch_execz .LBB6_7856
; %bb.7849:                             ;   in Loop: Header=BB6_7023 Depth=3
	v_cmp_ne_u16_e32 vcc, s97, v6
	v_bfrev_b32_e32 v7, 1
	s_and_saveexec_b64 s[70:71], vcc
	s_cbranch_execz .LBB6_7855
; %bb.7850:                             ;   in Loop: Header=BB6_7023 Depth=3
	v_and_b32_e32 v7, 0x7c, v6
	v_and_b32_e32 v13, 3, v6
	v_cmp_ne_u32_e32 vcc, s95, v7
                                        ; implicit-def: $vgpr7
	s_and_saveexec_b64 s[72:73], vcc
	s_xor_b64 s[72:73], exec, s[72:73]
	s_cbranch_execz .LBB6_7852
; %bb.7851:                             ;   in Loop: Header=BB6_7023 Depth=3
	v_ffbh_u32_e32 v14, v13
	v_min_u32_e32 v23, 32, v14
	v_mov_b32_e32 v7, v51
	v_bfe_u32 v22, v6, 2, 5
	v_subrev_u32_e32 v14, 29, v23
	v_lshlrev_b64 v[14:15], v14, v[6:7]
	v_sub_u32_e32 v7, 30, v23
	v_cmp_eq_u32_e32 vcc, 0, v22
	v_and_b32_e32 v14, 3, v14
	v_cndmask_b32_e32 v7, v22, v7, vcc
	v_bfrev_b32_e32 v15, 28
	v_cndmask_b32_e32 v13, v13, v14, vcc
	v_lshlrev_b32_e32 v14, 16, v8
	v_lshl_add_u32 v7, v7, 23, v15
	v_and_or_b32 v7, v14, s96, v7
	v_lshl_or_b32 v7, v13, 21, v7
                                        ; implicit-def: $vgpr13
.LBB6_7852:                             ;   in Loop: Header=BB6_7023 Depth=3
	s_andn2_saveexec_b64 s[72:73], s[72:73]
; %bb.7853:                             ;   in Loop: Header=BB6_7023 Depth=3
	v_cmp_lt_i16_e32 vcc, -1, v8
	v_mov_b32_e32 v7, 0xc7600000
	v_mov_b32_e32 v14, 0x47600000
	v_cndmask_b32_e32 v7, v7, v14, vcc
	v_cmp_eq_u32_e32 vcc, 0, v13
	v_mov_b32_e32 v13, 0x7f800001
	v_cndmask_b32_e32 v7, v13, v7, vcc
; %bb.7854:                             ;   in Loop: Header=BB6_7023 Depth=3
	s_or_b64 exec, exec, s[72:73]
.LBB6_7855:                             ;   in Loop: Header=BB6_7023 Depth=3
	s_or_b64 exec, exec, s[70:71]
.LBB6_7856:                             ;   in Loop: Header=BB6_7023 Depth=3
	s_or_b64 exec, exec, s[68:69]
	v_max_f32_e32 v7, v7, v7
	v_max_f32_e32 v12, v12, v12
	;; [unrolled: 1-line block ×3, first 2 shown]
	s_branch .LBB6_7875
.LBB6_7857:                             ;   in Loop: Header=BB6_7023 Depth=3
                                        ; implicit-def: $vgpr7
	s_cbranch_execz .LBB6_7875
; %bb.7858:                             ;   in Loop: Header=BB6_7023 Depth=3
	v_mov_b32_e32 v7, 0
	v_mov_b32_e32 v12, 0
	s_and_saveexec_b64 s[68:69], s[30:31]
	s_cbranch_execz .LBB6_7866
; %bb.7859:                             ;   in Loop: Header=BB6_7023 Depth=3
	v_cmp_ne_u16_e32 vcc, s97, v50
	v_bfrev_b32_e32 v12, 1
	s_and_saveexec_b64 s[30:31], vcc
	s_cbranch_execz .LBB6_7865
; %bb.7860:                             ;   in Loop: Header=BB6_7023 Depth=3
	v_and_b32_e32 v12, 0x7c, v50
	v_and_b32_e32 v13, 3, v50
	v_cmp_ne_u32_e32 vcc, s95, v12
                                        ; implicit-def: $vgpr12
	s_and_saveexec_b64 s[70:71], vcc
	s_xor_b64 s[70:71], exec, s[70:71]
	s_cbranch_execz .LBB6_7862
; %bb.7861:                             ;   in Loop: Header=BB6_7023 Depth=3
	v_ffbh_u32_e32 v14, v13
	v_min_u32_e32 v22, 32, v14
	v_subrev_u32_e32 v14, 29, v22
	v_bfe_u32 v12, v50, 2, 5
	v_lshlrev_b64 v[14:15], v14, v[50:51]
	v_sub_u32_e32 v15, 30, v22
	v_cmp_eq_u32_e32 vcc, 0, v12
	v_and_b32_e32 v14, 3, v14
	v_cndmask_b32_e32 v12, v12, v15, vcc
	v_bfrev_b32_e32 v15, 28
	v_cndmask_b32_e32 v13, v13, v14, vcc
	v_lshlrev_b32_e32 v14, 16, v0
	v_lshl_add_u32 v12, v12, 23, v15
	v_and_or_b32 v12, v14, s96, v12
	v_lshl_or_b32 v12, v13, 21, v12
                                        ; implicit-def: $vgpr13
.LBB6_7862:                             ;   in Loop: Header=BB6_7023 Depth=3
	s_andn2_saveexec_b64 s[70:71], s[70:71]
; %bb.7863:                             ;   in Loop: Header=BB6_7023 Depth=3
	v_cmp_lt_i16_e32 vcc, -1, v0
	v_mov_b32_e32 v12, 0xc7600000
	v_mov_b32_e32 v14, 0x47600000
	v_cndmask_b32_e32 v12, v12, v14, vcc
	v_cmp_eq_u32_e32 vcc, 0, v13
	v_mov_b32_e32 v13, 0x7f800001
	v_cndmask_b32_e32 v12, v13, v12, vcc
; %bb.7864:                             ;   in Loop: Header=BB6_7023 Depth=3
	s_or_b64 exec, exec, s[70:71]
.LBB6_7865:                             ;   in Loop: Header=BB6_7023 Depth=3
	s_or_b64 exec, exec, s[30:31]
.LBB6_7866:                             ;   in Loop: Header=BB6_7023 Depth=3
	s_or_b64 exec, exec, s[68:69]
	v_cmp_ne_u16_e32 vcc, 0, v6
	s_and_saveexec_b64 s[30:31], vcc
	s_cbranch_execz .LBB6_7874
; %bb.7867:                             ;   in Loop: Header=BB6_7023 Depth=3
	v_cmp_ne_u16_e32 vcc, s97, v6
	v_bfrev_b32_e32 v7, 1
	s_and_saveexec_b64 s[68:69], vcc
	s_cbranch_execz .LBB6_7873
; %bb.7868:                             ;   in Loop: Header=BB6_7023 Depth=3
	v_and_b32_e32 v7, 0x7c, v6
	v_and_b32_e32 v13, 3, v6
	v_cmp_ne_u32_e32 vcc, s95, v7
                                        ; implicit-def: $vgpr7
	s_and_saveexec_b64 s[70:71], vcc
	s_xor_b64 s[70:71], exec, s[70:71]
	s_cbranch_execz .LBB6_7870
; %bb.7869:                             ;   in Loop: Header=BB6_7023 Depth=3
	v_ffbh_u32_e32 v15, v13
	v_min_u32_e32 v15, 32, v15
	v_mov_b32_e32 v7, v51
	v_subrev_u32_e32 v22, 29, v15
	v_bfe_u32 v14, v6, 2, 5
	v_lshlrev_b64 v[6:7], v22, v[6:7]
	v_sub_u32_e32 v7, 30, v15
	v_cmp_eq_u32_e32 vcc, 0, v14
	v_and_b32_e32 v6, 3, v6
	v_cndmask_b32_e32 v7, v14, v7, vcc
	v_bfrev_b32_e32 v14, 28
	v_cndmask_b32_e32 v6, v13, v6, vcc
	v_lshlrev_b32_e32 v13, 16, v8
	v_lshl_add_u32 v7, v7, 23, v14
	v_and_or_b32 v7, v13, s96, v7
	v_lshl_or_b32 v7, v6, 21, v7
                                        ; implicit-def: $vgpr13
.LBB6_7870:                             ;   in Loop: Header=BB6_7023 Depth=3
	s_andn2_saveexec_b64 s[70:71], s[70:71]
; %bb.7871:                             ;   in Loop: Header=BB6_7023 Depth=3
	v_cmp_lt_i16_e32 vcc, -1, v8
	v_mov_b32_e32 v6, 0xc7600000
	v_mov_b32_e32 v7, 0x47600000
	v_cndmask_b32_e32 v6, v6, v7, vcc
	v_cmp_eq_u32_e32 vcc, 0, v13
	v_mov_b32_e32 v7, 0x7f800001
	v_cndmask_b32_e32 v7, v7, v6, vcc
; %bb.7872:                             ;   in Loop: Header=BB6_7023 Depth=3
	s_or_b64 exec, exec, s[70:71]
.LBB6_7873:                             ;   in Loop: Header=BB6_7023 Depth=3
	s_or_b64 exec, exec, s[68:69]
.LBB6_7874:                             ;   in Loop: Header=BB6_7023 Depth=3
	s_or_b64 exec, exec, s[30:31]
	v_max_f32_e32 v6, v7, v7
	v_max_f32_e32 v7, v12, v12
	v_min_f32_e32 v7, v7, v6
.LBB6_7875:                             ;   in Loop: Header=BB6_7023 Depth=3
	v_and_b32_sdwa v12, v7, s97 dst_sel:DWORD dst_unused:UNUSED_PAD src0_sel:BYTE_3 src1_sel:DWORD
	v_and_b32_e32 v14, 0x7f800000, v7
	v_mov_b32_e32 v15, v51
	v_and_b32_e32 v50, 0x7fffff, v7
	v_or_b32_e32 v22, 0x7b, v12
	v_cmp_ne_u64_e32 vcc, s[52:53], v[14:15]
	s_and_saveexec_b64 s[30:31], vcc
	s_xor_b64 s[68:69], exec, s[30:31]
	s_cbranch_execz .LBB6_7885
; %bb.7876:                             ;   in Loop: Header=BB6_7023 Depth=3
	v_and_b32_e32 v14, 0x7fffffff, v7
	v_mov_b32_e32 v15, v51
	v_cmp_gt_u64_e32 vcc, s[54:55], v[14:15]
	s_and_saveexec_b64 s[70:71], vcc
	s_cbranch_execz .LBB6_7884
; %bb.7877:                             ;   in Loop: Header=BB6_7023 Depth=3
	v_cmp_ne_u32_e32 vcc, 0, v7
	v_mov_b32_e32 v22, 0
	s_and_saveexec_b64 s[72:73], vcc
	s_cbranch_execz .LBB6_7883
; %bb.7878:                             ;   in Loop: Header=BB6_7023 Depth=3
	v_bfe_u32 v6, v7, 23, 8
	v_cmp_eq_u32_e32 vcc, 0, v6
	v_add_u32_e32 v7, 0xffffff81, v6
	v_cmp_gt_u32_e64 s[30:31], s38, v6
	v_sub_u32_e32 v6, 0x71, v6
	v_mov_b32_e32 v14, 0xffffff82
	v_cndmask_b32_e64 v6, 0, v6, s[30:31]
	v_cndmask_b32_e32 v22, v7, v14, vcc
	v_mov_b32_e32 v7, 0x70
	v_cndmask_b32_e32 v23, v6, v7, vcc
	v_add_u32_e32 v6, 21, v23
	v_or_b32_e32 v13, 0x800000, v50
	v_lshlrev_b64 v[6:7], v6, -1
	v_cndmask_b32_e32 v50, v13, v50, vcc
	v_not_b32_e32 v7, v7
	v_not_b32_e32 v6, v6
	v_add_u32_e32 v13, 20, v23
	v_and_b32_e32 v7, 0, v7
	v_and_b32_e32 v6, v50, v6
	v_lshlrev_b64 v[14:15], v13, 1
	v_cmp_eq_u64_e32 vcc, v[6:7], v[14:15]
	v_lshrrev_b64 v[6:7], v23, v[50:51]
	v_lshrrev_b32_e32 v13, 23, v6
	v_add3_u32 v15, v23, v22, v13
	v_bfe_u32 v13, v6, 21, 1
	v_add_u32_e32 v13, -1, v13
	v_cndmask_b32_e32 v13, 0, v13, vcc
	v_add_u32_e32 v13, v13, v6
	v_and_b32_e32 v13, 0x1fffff, v13
	v_add_co_u32_e32 v6, vcc, v13, v6
	v_add_u32_e32 v14, 14, v15
	v_addc_co_u32_e32 v7, vcc, 0, v7, vcc
	v_cmp_ne_u32_e32 vcc, 0, v14
                                        ; implicit-def: $vgpr13
	s_and_saveexec_b64 s[30:31], vcc
	s_xor_b64 s[30:31], exec, s[30:31]
; %bb.7879:                             ;   in Loop: Header=BB6_7023 Depth=3
	v_add_u32_e32 v13, 15, v15
	v_cmp_lt_u64_e32 vcc, s[56:57], v[6:7]
	v_cndmask_b32_e32 v13, v14, v13, vcc
	v_cndmask_b32_e64 v14, 0, 1, vcc
	v_lshrrev_b64 v[6:7], v14, v[6:7]
; %bb.7880:                             ;   in Loop: Header=BB6_7023 Depth=3
	s_andn2_saveexec_b64 vcc, s[30:31]
; %bb.7881:                             ;   in Loop: Header=BB6_7023 Depth=3
	v_bfe_u32 v13, v6, 23, 1
; %bb.7882:                             ;   in Loop: Header=BB6_7023 Depth=3
	s_or_b64 exec, exec, vcc
	v_lshrrev_b64 v[6:7], 21, v[6:7]
	v_cmp_gt_i32_e32 vcc, 32, v13
	v_cndmask_b32_e32 v7, 0, v7, vcc
	v_cndmask_b32_e32 v6, 3, v6, vcc
	v_cmp_eq_u64_e64 s[30:31], 0, v[6:7]
	v_min_i32_e32 v7, 31, v13
	v_cmp_eq_u32_e32 vcc, 0, v13
	v_lshlrev_b32_e32 v7, 2, v7
	v_and_or_b32 v6, v6, 3, v7
	s_and_b64 vcc, vcc, s[30:31]
	v_cndmask_b32_e64 v6, v6, 0, vcc
	v_or_b32_e32 v22, v6, v12
.LBB6_7883:                             ;   in Loop: Header=BB6_7023 Depth=3
	s_or_b64 exec, exec, s[72:73]
.LBB6_7884:                             ;   in Loop: Header=BB6_7023 Depth=3
	s_or_b64 exec, exec, s[70:71]
                                        ; implicit-def: $vgpr7
.LBB6_7885:                             ;   in Loop: Header=BB6_7023 Depth=3
	s_andn2_saveexec_b64 s[30:31], s[68:69]
; %bb.7886:                             ;   in Loop: Header=BB6_7023 Depth=3
	v_or_b32_sdwa v6, v7, s39 dst_sel:DWORD dst_unused:UNUSED_PAD src0_sel:BYTE_3 src1_sel:DWORD
	v_cmp_eq_u64_e32 vcc, 0, v[50:51]
	v_cndmask_b32_e32 v22, v6, v22, vcc
; %bb.7887:                             ;   in Loop: Header=BB6_7023 Depth=3
	s_or_b64 exec, exec, s[30:31]
	v_lshrrev_b32_e32 v12, 16, v0
	v_lshrrev_b32_e32 v6, 16, v8
	s_and_b64 vcc, exec, s[28:29]
	v_cmp_ne_u16_sdwa s[30:31], v12, v51 src0_sel:BYTE_0 src1_sel:DWORD
	s_cbranch_vccnz .LBB6_7905
; %bb.7888:                             ;   in Loop: Header=BB6_7023 Depth=3
	v_mov_b32_e32 v13, 0
	v_mov_b32_e32 v7, 0
	s_and_saveexec_b64 s[68:69], s[30:31]
	s_cbranch_execz .LBB6_7896
; %bb.7889:                             ;   in Loop: Header=BB6_7023 Depth=3
	v_cmp_ne_u16_sdwa vcc, v12, s97 src0_sel:BYTE_0 src1_sel:DWORD
	v_bfrev_b32_e32 v7, 1
	s_and_saveexec_b64 s[70:71], vcc
	s_cbranch_execz .LBB6_7895
; %bb.7890:                             ;   in Loop: Header=BB6_7023 Depth=3
	v_and_b32_e32 v7, 0x7c0000, v0
	v_bfe_u32 v14, v0, 16, 2
	v_cmp_ne_u32_e32 vcc, s36, v7
                                        ; implicit-def: $vgpr7
	s_and_saveexec_b64 s[72:73], vcc
	s_xor_b64 s[72:73], exec, s[72:73]
	s_cbranch_execz .LBB6_7892
; %bb.7891:                             ;   in Loop: Header=BB6_7023 Depth=3
	v_ffbh_u32_e32 v15, v14
	v_min_u32_e32 v15, 32, v15
	v_subrev_u32_e32 v23, 29, v15
	v_bfe_u32 v7, v0, 18, 5
	v_lshlrev_b64 v[48:49], v23, v[12:13]
	v_sub_u32_e32 v15, 30, v15
	v_and_b32_e32 v23, 3, v48
	v_cmp_eq_u32_e32 vcc, 0, v7
	v_cndmask_b32_e32 v7, v7, v15, vcc
	v_cndmask_b32_e32 v14, v14, v23, vcc
	v_bfrev_b32_e32 v23, 28
	v_lshlrev_b32_e32 v15, 24, v12
	v_lshl_add_u32 v7, v7, 23, v23
	v_and_or_b32 v7, v15, s96, v7
	v_lshl_or_b32 v7, v14, 21, v7
                                        ; implicit-def: $vgpr14
.LBB6_7892:                             ;   in Loop: Header=BB6_7023 Depth=3
	s_andn2_saveexec_b64 s[72:73], s[72:73]
; %bb.7893:                             ;   in Loop: Header=BB6_7023 Depth=3
	v_mov_b32_e32 v7, -1
	v_cmp_gt_i16_sdwa vcc, sext(v12), v7 src0_sel:BYTE_0 src1_sel:DWORD
	v_mov_b32_e32 v7, 0xc7600000
	v_mov_b32_e32 v15, 0x47600000
	v_cndmask_b32_e32 v7, v7, v15, vcc
	v_cmp_eq_u32_e32 vcc, 0, v14
	v_mov_b32_e32 v14, 0x7f800001
	v_cndmask_b32_e32 v7, v14, v7, vcc
; %bb.7894:                             ;   in Loop: Header=BB6_7023 Depth=3
	s_or_b64 exec, exec, s[72:73]
.LBB6_7895:                             ;   in Loop: Header=BB6_7023 Depth=3
	s_or_b64 exec, exec, s[70:71]
.LBB6_7896:                             ;   in Loop: Header=BB6_7023 Depth=3
	s_or_b64 exec, exec, s[68:69]
	v_cmp_ne_u16_sdwa vcc, v6, v51 src0_sel:BYTE_0 src1_sel:DWORD
	s_and_saveexec_b64 s[68:69], vcc
	s_cbranch_execz .LBB6_7904
; %bb.7897:                             ;   in Loop: Header=BB6_7023 Depth=3
	v_cmp_ne_u16_sdwa vcc, v6, s97 src0_sel:BYTE_0 src1_sel:DWORD
	v_bfrev_b32_e32 v13, 1
	s_and_saveexec_b64 s[70:71], vcc
	s_cbranch_execz .LBB6_7903
; %bb.7898:                             ;   in Loop: Header=BB6_7023 Depth=3
	v_and_b32_e32 v13, 0x7c0000, v8
	v_bfe_u32 v14, v8, 16, 2
	v_cmp_ne_u32_e32 vcc, s36, v13
                                        ; implicit-def: $vgpr13
	s_and_saveexec_b64 s[72:73], vcc
	s_xor_b64 s[72:73], exec, s[72:73]
	s_cbranch_execz .LBB6_7900
; %bb.7899:                             ;   in Loop: Header=BB6_7023 Depth=3
	v_ffbh_u32_e32 v15, v14
	v_min_u32_e32 v15, 32, v15
	v_subrev_u32_e32 v23, 29, v15
	v_bfe_u32 v13, v8, 18, 5
	v_lshlrev_b64 v[48:49], v23, v[6:7]
	v_sub_u32_e32 v15, 30, v15
	v_and_b32_e32 v23, 3, v48
	v_cmp_eq_u32_e32 vcc, 0, v13
	v_cndmask_b32_e32 v13, v13, v15, vcc
	v_cndmask_b32_e32 v14, v14, v23, vcc
	v_bfrev_b32_e32 v23, 28
	v_lshlrev_b32_e32 v15, 24, v6
	v_lshl_add_u32 v13, v13, 23, v23
	v_and_or_b32 v13, v15, s96, v13
	v_lshl_or_b32 v13, v14, 21, v13
                                        ; implicit-def: $vgpr14
.LBB6_7900:                             ;   in Loop: Header=BB6_7023 Depth=3
	s_andn2_saveexec_b64 s[72:73], s[72:73]
; %bb.7901:                             ;   in Loop: Header=BB6_7023 Depth=3
	v_mov_b32_e32 v13, -1
	v_cmp_gt_i16_sdwa vcc, sext(v6), v13 src0_sel:BYTE_0 src1_sel:DWORD
	v_mov_b32_e32 v13, 0xc7600000
	v_mov_b32_e32 v15, 0x47600000
	v_cndmask_b32_e32 v13, v13, v15, vcc
	v_cmp_eq_u32_e32 vcc, 0, v14
	v_mov_b32_e32 v14, 0x7f800001
	v_cndmask_b32_e32 v13, v14, v13, vcc
; %bb.7902:                             ;   in Loop: Header=BB6_7023 Depth=3
	s_or_b64 exec, exec, s[72:73]
.LBB6_7903:                             ;   in Loop: Header=BB6_7023 Depth=3
	s_or_b64 exec, exec, s[70:71]
.LBB6_7904:                             ;   in Loop: Header=BB6_7023 Depth=3
	s_or_b64 exec, exec, s[68:69]
	v_max_f32_e32 v13, v13, v13
	v_max_f32_e32 v7, v7, v7
	v_max_f32_e32 v7, v7, v13
	s_branch .LBB6_7923
.LBB6_7905:                             ;   in Loop: Header=BB6_7023 Depth=3
                                        ; implicit-def: $vgpr7
	s_cbranch_execz .LBB6_7923
; %bb.7906:                             ;   in Loop: Header=BB6_7023 Depth=3
	v_mov_b32_e32 v13, 0
	v_mov_b32_e32 v7, 0
	s_and_saveexec_b64 s[68:69], s[30:31]
	s_cbranch_execz .LBB6_7914
; %bb.7907:                             ;   in Loop: Header=BB6_7023 Depth=3
	v_cmp_ne_u16_sdwa vcc, v12, s97 src0_sel:BYTE_0 src1_sel:DWORD
	v_bfrev_b32_e32 v7, 1
	s_and_saveexec_b64 s[30:31], vcc
	s_cbranch_execz .LBB6_7913
; %bb.7908:                             ;   in Loop: Header=BB6_7023 Depth=3
	v_and_b32_e32 v7, 0x7c0000, v0
	v_bfe_u32 v14, v0, 16, 2
	v_cmp_ne_u32_e32 vcc, s36, v7
                                        ; implicit-def: $vgpr7
	s_and_saveexec_b64 s[70:71], vcc
	s_xor_b64 s[70:71], exec, s[70:71]
	s_cbranch_execz .LBB6_7910
; %bb.7909:                             ;   in Loop: Header=BB6_7023 Depth=3
	v_ffbh_u32_e32 v15, v14
	v_bfe_u32 v7, v0, 18, 5
	v_min_u32_e32 v15, 32, v15
	v_subrev_u32_e32 v23, 29, v15
	v_sub_u32_e32 v15, 30, v15
	v_cmp_eq_u32_e32 vcc, 0, v7
	v_lshlrev_b64 v[48:49], v23, v[12:13]
	v_cndmask_b32_e32 v7, v7, v15, vcc
	v_bfrev_b32_e32 v15, 28
	v_and_b32_e32 v23, 3, v48
	v_lshlrev_b32_e32 v12, 24, v12
	v_lshl_add_u32 v7, v7, 23, v15
	v_cndmask_b32_e32 v14, v14, v23, vcc
	v_and_or_b32 v7, v12, s96, v7
	v_lshl_or_b32 v7, v14, 21, v7
                                        ; implicit-def: $vgpr14
                                        ; implicit-def: $vgpr12
.LBB6_7910:                             ;   in Loop: Header=BB6_7023 Depth=3
	s_andn2_saveexec_b64 s[70:71], s[70:71]
; %bb.7911:                             ;   in Loop: Header=BB6_7023 Depth=3
	v_mov_b32_e32 v7, -1
	v_cmp_gt_i16_sdwa vcc, sext(v12), v7 src0_sel:BYTE_0 src1_sel:DWORD
	v_mov_b32_e32 v7, 0xc7600000
	v_mov_b32_e32 v12, 0x47600000
	v_cndmask_b32_e32 v7, v7, v12, vcc
	v_cmp_eq_u32_e32 vcc, 0, v14
	v_mov_b32_e32 v12, 0x7f800001
	v_cndmask_b32_e32 v7, v12, v7, vcc
; %bb.7912:                             ;   in Loop: Header=BB6_7023 Depth=3
	s_or_b64 exec, exec, s[70:71]
.LBB6_7913:                             ;   in Loop: Header=BB6_7023 Depth=3
	s_or_b64 exec, exec, s[30:31]
.LBB6_7914:                             ;   in Loop: Header=BB6_7023 Depth=3
	s_or_b64 exec, exec, s[68:69]
	v_cmp_ne_u16_sdwa vcc, v6, v51 src0_sel:BYTE_0 src1_sel:DWORD
	s_and_saveexec_b64 s[30:31], vcc
	s_cbranch_execz .LBB6_7922
; %bb.7915:                             ;   in Loop: Header=BB6_7023 Depth=3
	v_cmp_ne_u16_sdwa vcc, v6, s97 src0_sel:BYTE_0 src1_sel:DWORD
	v_bfrev_b32_e32 v13, 1
	s_and_saveexec_b64 s[68:69], vcc
	s_cbranch_execz .LBB6_7921
; %bb.7916:                             ;   in Loop: Header=BB6_7023 Depth=3
	v_and_b32_e32 v13, 0x7c0000, v8
	v_bfe_u32 v12, v8, 16, 2
	v_cmp_ne_u32_e32 vcc, s36, v13
                                        ; implicit-def: $vgpr13
	s_and_saveexec_b64 s[70:71], vcc
	s_xor_b64 s[70:71], exec, s[70:71]
	s_cbranch_execz .LBB6_7918
; %bb.7917:                             ;   in Loop: Header=BB6_7023 Depth=3
	v_ffbh_u32_e32 v14, v12
	v_min_u32_e32 v23, 32, v14
	v_subrev_u32_e32 v14, 29, v23
	v_bfe_u32 v13, v8, 18, 5
	v_lshlrev_b64 v[14:15], v14, v[6:7]
	v_sub_u32_e32 v15, 30, v23
	v_and_b32_e32 v14, 3, v14
	v_cmp_eq_u32_e32 vcc, 0, v13
	v_cndmask_b32_e32 v13, v13, v15, vcc
	v_cndmask_b32_e32 v12, v12, v14, vcc
	v_bfrev_b32_e32 v14, 28
	v_lshlrev_b32_e32 v6, 24, v6
	v_lshl_add_u32 v13, v13, 23, v14
	v_and_or_b32 v6, v6, s96, v13
	v_lshl_or_b32 v13, v12, 21, v6
                                        ; implicit-def: $vgpr12
                                        ; implicit-def: $vgpr6
.LBB6_7918:                             ;   in Loop: Header=BB6_7023 Depth=3
	s_andn2_saveexec_b64 s[70:71], s[70:71]
; %bb.7919:                             ;   in Loop: Header=BB6_7023 Depth=3
	v_mov_b32_e32 v13, -1
	v_cmp_gt_i16_sdwa vcc, sext(v6), v13 src0_sel:BYTE_0 src1_sel:DWORD
	v_mov_b32_e32 v6, 0xc7600000
	v_mov_b32_e32 v13, 0x47600000
	v_cndmask_b32_e32 v6, v6, v13, vcc
	v_cmp_eq_u32_e32 vcc, 0, v12
	v_mov_b32_e32 v12, 0x7f800001
	v_cndmask_b32_e32 v13, v12, v6, vcc
; %bb.7920:                             ;   in Loop: Header=BB6_7023 Depth=3
	s_or_b64 exec, exec, s[70:71]
.LBB6_7921:                             ;   in Loop: Header=BB6_7023 Depth=3
	s_or_b64 exec, exec, s[68:69]
.LBB6_7922:                             ;   in Loop: Header=BB6_7023 Depth=3
	s_or_b64 exec, exec, s[30:31]
	v_max_f32_e32 v6, v13, v13
	v_max_f32_e32 v7, v7, v7
	v_min_f32_e32 v7, v7, v6
.LBB6_7923:                             ;   in Loop: Header=BB6_7023 Depth=3
	v_and_b32_sdwa v12, v7, s97 dst_sel:DWORD dst_unused:UNUSED_PAD src0_sel:BYTE_3 src1_sel:DWORD
	v_and_b32_e32 v14, 0x7f800000, v7
	v_mov_b32_e32 v15, v51
	v_and_b32_e32 v50, 0x7fffff, v7
	v_or_b32_e32 v23, 0x7b, v12
	v_cmp_ne_u64_e32 vcc, s[52:53], v[14:15]
	s_and_saveexec_b64 s[30:31], vcc
	s_xor_b64 s[68:69], exec, s[30:31]
	s_cbranch_execz .LBB6_7933
; %bb.7924:                             ;   in Loop: Header=BB6_7023 Depth=3
	v_and_b32_e32 v14, 0x7fffffff, v7
	v_mov_b32_e32 v15, v51
	v_cmp_gt_u64_e32 vcc, s[54:55], v[14:15]
	s_and_saveexec_b64 s[70:71], vcc
	s_cbranch_execz .LBB6_7932
; %bb.7925:                             ;   in Loop: Header=BB6_7023 Depth=3
	v_cmp_ne_u32_e32 vcc, 0, v7
	v_mov_b32_e32 v23, 0
	s_and_saveexec_b64 s[72:73], vcc
	s_cbranch_execz .LBB6_7931
; %bb.7926:                             ;   in Loop: Header=BB6_7023 Depth=3
	v_bfe_u32 v6, v7, 23, 8
	v_cmp_eq_u32_e32 vcc, 0, v6
	v_add_u32_e32 v7, 0xffffff81, v6
	v_cmp_gt_u32_e64 s[30:31], s38, v6
	v_sub_u32_e32 v6, 0x71, v6
	v_mov_b32_e32 v14, 0xffffff82
	v_cndmask_b32_e64 v6, 0, v6, s[30:31]
	v_cndmask_b32_e32 v23, v7, v14, vcc
	v_mov_b32_e32 v7, 0x70
	v_cndmask_b32_e32 v39, v6, v7, vcc
	v_add_u32_e32 v6, 21, v39
	v_or_b32_e32 v13, 0x800000, v50
	v_lshlrev_b64 v[6:7], v6, -1
	v_cndmask_b32_e32 v50, v13, v50, vcc
	v_not_b32_e32 v7, v7
	v_not_b32_e32 v6, v6
	v_add_u32_e32 v13, 20, v39
	v_and_b32_e32 v7, 0, v7
	v_and_b32_e32 v6, v50, v6
	v_lshlrev_b64 v[14:15], v13, 1
	v_cmp_eq_u64_e32 vcc, v[6:7], v[14:15]
	v_lshrrev_b64 v[6:7], v39, v[50:51]
	v_lshrrev_b32_e32 v13, 23, v6
	v_add3_u32 v15, v39, v23, v13
	v_bfe_u32 v13, v6, 21, 1
	v_add_u32_e32 v13, -1, v13
	v_cndmask_b32_e32 v13, 0, v13, vcc
	v_add_u32_e32 v13, v13, v6
	v_and_b32_e32 v13, 0x1fffff, v13
	v_add_co_u32_e32 v6, vcc, v13, v6
	v_add_u32_e32 v14, 14, v15
	v_addc_co_u32_e32 v7, vcc, 0, v7, vcc
	v_cmp_ne_u32_e32 vcc, 0, v14
                                        ; implicit-def: $vgpr13
	s_and_saveexec_b64 s[30:31], vcc
	s_xor_b64 s[30:31], exec, s[30:31]
; %bb.7927:                             ;   in Loop: Header=BB6_7023 Depth=3
	v_add_u32_e32 v13, 15, v15
	v_cmp_lt_u64_e32 vcc, s[56:57], v[6:7]
	v_cndmask_b32_e32 v13, v14, v13, vcc
	v_cndmask_b32_e64 v14, 0, 1, vcc
	v_lshrrev_b64 v[6:7], v14, v[6:7]
; %bb.7928:                             ;   in Loop: Header=BB6_7023 Depth=3
	s_andn2_saveexec_b64 vcc, s[30:31]
; %bb.7929:                             ;   in Loop: Header=BB6_7023 Depth=3
	v_bfe_u32 v13, v6, 23, 1
; %bb.7930:                             ;   in Loop: Header=BB6_7023 Depth=3
	s_or_b64 exec, exec, vcc
	v_lshrrev_b64 v[6:7], 21, v[6:7]
	v_cmp_gt_i32_e32 vcc, 32, v13
	v_cndmask_b32_e32 v7, 0, v7, vcc
	v_cndmask_b32_e32 v6, 3, v6, vcc
	v_cmp_eq_u64_e64 s[30:31], 0, v[6:7]
	v_min_i32_e32 v7, 31, v13
	v_cmp_eq_u32_e32 vcc, 0, v13
	v_lshlrev_b32_e32 v7, 2, v7
	v_and_or_b32 v6, v6, 3, v7
	s_and_b64 vcc, vcc, s[30:31]
	v_cndmask_b32_e64 v6, v6, 0, vcc
	v_or_b32_e32 v23, v6, v12
.LBB6_7931:                             ;   in Loop: Header=BB6_7023 Depth=3
	s_or_b64 exec, exec, s[72:73]
.LBB6_7932:                             ;   in Loop: Header=BB6_7023 Depth=3
	s_or_b64 exec, exec, s[70:71]
                                        ; implicit-def: $vgpr7
.LBB6_7933:                             ;   in Loop: Header=BB6_7023 Depth=3
	s_andn2_saveexec_b64 s[30:31], s[68:69]
; %bb.7934:                             ;   in Loop: Header=BB6_7023 Depth=3
	v_or_b32_sdwa v6, v7, s39 dst_sel:DWORD dst_unused:UNUSED_PAD src0_sel:BYTE_3 src1_sel:DWORD
	v_cmp_eq_u64_e32 vcc, 0, v[50:51]
	v_cndmask_b32_e32 v23, v6, v23, vcc
; %bb.7935:                             ;   in Loop: Header=BB6_7023 Depth=3
	s_or_b64 exec, exec, s[30:31]
	v_lshrrev_b32_e32 v12, 24, v0
	v_lshrrev_b32_e32 v6, 24, v8
	s_and_b64 vcc, exec, s[28:29]
	v_cmp_lt_u32_e64 s[30:31], s43, v0
	s_cbranch_vccnz .LBB6_7953
; %bb.7936:                             ;   in Loop: Header=BB6_7023 Depth=3
	v_mov_b32_e32 v13, 0
	v_mov_b32_e32 v7, 0
	s_and_saveexec_b64 s[68:69], s[30:31]
	s_cbranch_execz .LBB6_7944
; %bb.7937:                             ;   in Loop: Header=BB6_7023 Depth=3
	v_cmp_ne_u32_e32 vcc, s97, v12
	v_bfrev_b32_e32 v7, 1
	s_and_saveexec_b64 s[70:71], vcc
	s_cbranch_execz .LBB6_7943
; %bb.7938:                             ;   in Loop: Header=BB6_7023 Depth=3
	v_and_b32_e32 v7, 0x7c000000, v0
	v_bfe_u32 v14, v0, 24, 2
	v_cmp_ne_u32_e32 vcc, s37, v7
                                        ; implicit-def: $vgpr7
	s_and_saveexec_b64 s[72:73], vcc
	s_xor_b64 s[72:73], exec, s[72:73]
	s_cbranch_execz .LBB6_7940
; %bb.7939:                             ;   in Loop: Header=BB6_7023 Depth=3
	v_ffbh_u32_e32 v15, v14
	v_bfe_u32 v7, v0, 26, 5
	v_min_u32_e32 v15, 32, v15
	v_subrev_u32_e32 v39, 29, v15
	v_sub_u32_e32 v15, 30, v15
	v_cmp_eq_u32_e32 vcc, 0, v7
	v_lshlrev_b64 v[48:49], v39, v[12:13]
	v_cndmask_b32_e32 v7, v7, v15, vcc
	v_bfrev_b32_e32 v15, 28
	v_and_b32_e32 v39, 3, v48
	v_lshl_add_u32 v7, v7, 23, v15
	v_cndmask_b32_e32 v14, v14, v39, vcc
	v_and_or_b32 v7, v0, s96, v7
	v_lshl_or_b32 v7, v14, 21, v7
                                        ; implicit-def: $vgpr14
.LBB6_7940:                             ;   in Loop: Header=BB6_7023 Depth=3
	s_andn2_saveexec_b64 s[72:73], s[72:73]
; %bb.7941:                             ;   in Loop: Header=BB6_7023 Depth=3
	v_cmp_lt_i32_e32 vcc, -1, v0
	v_mov_b32_e32 v7, 0xc7600000
	v_mov_b32_e32 v15, 0x47600000
	v_cndmask_b32_e32 v7, v7, v15, vcc
	v_cmp_eq_u32_e32 vcc, 0, v14
	v_mov_b32_e32 v14, 0x7f800001
	v_cndmask_b32_e32 v7, v14, v7, vcc
; %bb.7942:                             ;   in Loop: Header=BB6_7023 Depth=3
	s_or_b64 exec, exec, s[72:73]
.LBB6_7943:                             ;   in Loop: Header=BB6_7023 Depth=3
	s_or_b64 exec, exec, s[70:71]
.LBB6_7944:                             ;   in Loop: Header=BB6_7023 Depth=3
	s_or_b64 exec, exec, s[68:69]
	v_cmp_lt_u32_e32 vcc, s43, v8
	s_and_saveexec_b64 s[68:69], vcc
	s_cbranch_execz .LBB6_7952
; %bb.7945:                             ;   in Loop: Header=BB6_7023 Depth=3
	v_cmp_ne_u32_e32 vcc, s97, v6
	v_bfrev_b32_e32 v13, 1
	s_and_saveexec_b64 s[70:71], vcc
	s_cbranch_execz .LBB6_7951
; %bb.7946:                             ;   in Loop: Header=BB6_7023 Depth=3
	v_and_b32_e32 v13, 0x7c000000, v8
	v_bfe_u32 v14, v8, 24, 2
	v_cmp_ne_u32_e32 vcc, s37, v13
                                        ; implicit-def: $vgpr13
	s_and_saveexec_b64 s[72:73], vcc
	s_xor_b64 s[72:73], exec, s[72:73]
	s_cbranch_execz .LBB6_7948
; %bb.7947:                             ;   in Loop: Header=BB6_7023 Depth=3
	v_ffbh_u32_e32 v15, v14
	v_bfe_u32 v13, v8, 26, 5
	v_min_u32_e32 v15, 32, v15
	v_subrev_u32_e32 v39, 29, v15
	v_sub_u32_e32 v15, 30, v15
	v_cmp_eq_u32_e32 vcc, 0, v13
	v_lshlrev_b64 v[48:49], v39, v[6:7]
	v_cndmask_b32_e32 v13, v13, v15, vcc
	v_bfrev_b32_e32 v15, 28
	v_and_b32_e32 v39, 3, v48
	v_lshl_add_u32 v13, v13, 23, v15
	v_cndmask_b32_e32 v14, v14, v39, vcc
	v_and_or_b32 v13, v8, s96, v13
	v_lshl_or_b32 v13, v14, 21, v13
                                        ; implicit-def: $vgpr14
.LBB6_7948:                             ;   in Loop: Header=BB6_7023 Depth=3
	s_andn2_saveexec_b64 s[72:73], s[72:73]
; %bb.7949:                             ;   in Loop: Header=BB6_7023 Depth=3
	v_cmp_lt_i32_e32 vcc, -1, v8
	v_mov_b32_e32 v13, 0xc7600000
	v_mov_b32_e32 v15, 0x47600000
	v_cndmask_b32_e32 v13, v13, v15, vcc
	v_cmp_eq_u32_e32 vcc, 0, v14
	v_mov_b32_e32 v14, 0x7f800001
	v_cndmask_b32_e32 v13, v14, v13, vcc
; %bb.7950:                             ;   in Loop: Header=BB6_7023 Depth=3
	s_or_b64 exec, exec, s[72:73]
.LBB6_7951:                             ;   in Loop: Header=BB6_7023 Depth=3
	s_or_b64 exec, exec, s[70:71]
.LBB6_7952:                             ;   in Loop: Header=BB6_7023 Depth=3
	s_or_b64 exec, exec, s[68:69]
	v_max_f32_e32 v13, v13, v13
	v_max_f32_e32 v7, v7, v7
	;; [unrolled: 1-line block ×3, first 2 shown]
	s_branch .LBB6_7971
.LBB6_7953:                             ;   in Loop: Header=BB6_7023 Depth=3
                                        ; implicit-def: $vgpr7
	s_cbranch_execz .LBB6_7971
; %bb.7954:                             ;   in Loop: Header=BB6_7023 Depth=3
	v_mov_b32_e32 v13, 0
	v_mov_b32_e32 v7, 0
	s_and_saveexec_b64 s[68:69], s[30:31]
	s_cbranch_execz .LBB6_7962
; %bb.7955:                             ;   in Loop: Header=BB6_7023 Depth=3
	v_cmp_ne_u32_e32 vcc, s97, v12
	v_bfrev_b32_e32 v7, 1
	s_and_saveexec_b64 s[30:31], vcc
	s_cbranch_execz .LBB6_7961
; %bb.7956:                             ;   in Loop: Header=BB6_7023 Depth=3
	v_and_b32_e32 v7, 0x7c000000, v0
	v_bfe_u32 v14, v0, 24, 2
	v_cmp_ne_u32_e32 vcc, s37, v7
                                        ; implicit-def: $vgpr7
	s_and_saveexec_b64 s[70:71], vcc
	s_xor_b64 s[70:71], exec, s[70:71]
	s_cbranch_execz .LBB6_7958
; %bb.7957:                             ;   in Loop: Header=BB6_7023 Depth=3
	v_ffbh_u32_e32 v15, v14
	v_min_u32_e32 v15, 32, v15
	v_subrev_u32_e32 v39, 29, v15
	v_bfe_u32 v7, v0, 26, 5
	v_lshlrev_b64 v[48:49], v39, v[12:13]
	v_sub_u32_e32 v12, 30, v15
	v_and_b32_e32 v15, 3, v48
	v_cmp_eq_u32_e32 vcc, 0, v7
	v_cndmask_b32_e32 v7, v7, v12, vcc
	v_cndmask_b32_e32 v12, v14, v15, vcc
	v_bfrev_b32_e32 v14, 28
	v_lshl_add_u32 v7, v7, 23, v14
	v_and_or_b32 v7, v0, s96, v7
	v_lshl_or_b32 v7, v12, 21, v7
                                        ; implicit-def: $vgpr14
.LBB6_7958:                             ;   in Loop: Header=BB6_7023 Depth=3
	s_andn2_saveexec_b64 s[70:71], s[70:71]
; %bb.7959:                             ;   in Loop: Header=BB6_7023 Depth=3
	v_cmp_lt_i32_e32 vcc, -1, v0
	v_mov_b32_e32 v7, 0xc7600000
	v_mov_b32_e32 v12, 0x47600000
	v_cndmask_b32_e32 v7, v7, v12, vcc
	v_cmp_eq_u32_e32 vcc, 0, v14
	v_mov_b32_e32 v12, 0x7f800001
	v_cndmask_b32_e32 v7, v12, v7, vcc
; %bb.7960:                             ;   in Loop: Header=BB6_7023 Depth=3
	s_or_b64 exec, exec, s[70:71]
.LBB6_7961:                             ;   in Loop: Header=BB6_7023 Depth=3
	s_or_b64 exec, exec, s[30:31]
.LBB6_7962:                             ;   in Loop: Header=BB6_7023 Depth=3
	s_or_b64 exec, exec, s[68:69]
	v_cmp_lt_u32_e32 vcc, s43, v8
	s_and_saveexec_b64 s[30:31], vcc
	s_cbranch_execz .LBB6_7970
; %bb.7963:                             ;   in Loop: Header=BB6_7023 Depth=3
	v_cmp_ne_u32_e32 vcc, s97, v6
	v_bfrev_b32_e32 v13, 1
	s_and_saveexec_b64 s[68:69], vcc
	s_cbranch_execz .LBB6_7969
; %bb.7964:                             ;   in Loop: Header=BB6_7023 Depth=3
	v_and_b32_e32 v13, 0x7c000000, v8
	v_bfe_u32 v12, v8, 24, 2
	v_cmp_ne_u32_e32 vcc, s37, v13
                                        ; implicit-def: $vgpr13
	s_and_saveexec_b64 s[70:71], vcc
	s_xor_b64 s[70:71], exec, s[70:71]
	s_cbranch_execz .LBB6_7966
; %bb.7965:                             ;   in Loop: Header=BB6_7023 Depth=3
	v_ffbh_u32_e32 v14, v12
	v_min_u32_e32 v39, 32, v14
	v_bfe_u32 v13, v8, 26, 5
	v_subrev_u32_e32 v14, 29, v39
	v_lshlrev_b64 v[14:15], v14, v[6:7]
	v_sub_u32_e32 v6, 30, v39
	v_cmp_eq_u32_e32 vcc, 0, v13
	v_cndmask_b32_e32 v6, v13, v6, vcc
	v_bfrev_b32_e32 v13, 28
	v_and_b32_e32 v14, 3, v14
	v_lshl_add_u32 v6, v6, 23, v13
	v_cndmask_b32_e32 v12, v12, v14, vcc
	v_and_or_b32 v6, v8, s96, v6
	v_lshl_or_b32 v13, v12, 21, v6
                                        ; implicit-def: $vgpr12
.LBB6_7966:                             ;   in Loop: Header=BB6_7023 Depth=3
	s_andn2_saveexec_b64 s[70:71], s[70:71]
; %bb.7967:                             ;   in Loop: Header=BB6_7023 Depth=3
	v_cmp_lt_i32_e32 vcc, -1, v8
	v_mov_b32_e32 v6, 0xc7600000
	v_mov_b32_e32 v13, 0x47600000
	v_cndmask_b32_e32 v6, v6, v13, vcc
	v_cmp_eq_u32_e32 vcc, 0, v12
	v_mov_b32_e32 v12, 0x7f800001
	v_cndmask_b32_e32 v13, v12, v6, vcc
; %bb.7968:                             ;   in Loop: Header=BB6_7023 Depth=3
	s_or_b64 exec, exec, s[70:71]
.LBB6_7969:                             ;   in Loop: Header=BB6_7023 Depth=3
	s_or_b64 exec, exec, s[68:69]
.LBB6_7970:                             ;   in Loop: Header=BB6_7023 Depth=3
	s_or_b64 exec, exec, s[30:31]
	v_max_f32_e32 v6, v13, v13
	v_max_f32_e32 v7, v7, v7
	v_min_f32_e32 v7, v7, v6
.LBB6_7971:                             ;   in Loop: Header=BB6_7023 Depth=3
	v_and_b32_sdwa v12, v7, s97 dst_sel:DWORD dst_unused:UNUSED_PAD src0_sel:BYTE_3 src1_sel:DWORD
	v_and_b32_e32 v14, 0x7f800000, v7
	v_mov_b32_e32 v15, v51
	v_and_b32_e32 v50, 0x7fffff, v7
	v_or_b32_e32 v39, 0x7b, v12
	v_cmp_ne_u64_e32 vcc, s[52:53], v[14:15]
	s_and_saveexec_b64 s[30:31], vcc
	s_xor_b64 s[68:69], exec, s[30:31]
	s_cbranch_execz .LBB6_7981
; %bb.7972:                             ;   in Loop: Header=BB6_7023 Depth=3
	v_and_b32_e32 v14, 0x7fffffff, v7
	v_mov_b32_e32 v15, v51
	v_cmp_gt_u64_e32 vcc, s[54:55], v[14:15]
	s_and_saveexec_b64 s[70:71], vcc
	s_cbranch_execz .LBB6_7980
; %bb.7973:                             ;   in Loop: Header=BB6_7023 Depth=3
	v_cmp_ne_u32_e32 vcc, 0, v7
	v_mov_b32_e32 v39, 0
	s_and_saveexec_b64 s[72:73], vcc
	s_cbranch_execz .LBB6_7979
; %bb.7974:                             ;   in Loop: Header=BB6_7023 Depth=3
	v_bfe_u32 v6, v7, 23, 8
	v_cmp_eq_u32_e32 vcc, 0, v6
	v_add_u32_e32 v7, 0xffffff81, v6
	v_cmp_gt_u32_e64 s[30:31], s38, v6
	v_sub_u32_e32 v6, 0x71, v6
	v_mov_b32_e32 v14, 0xffffff82
	v_cndmask_b32_e64 v6, 0, v6, s[30:31]
	v_cndmask_b32_e32 v39, v7, v14, vcc
	v_mov_b32_e32 v7, 0x70
	v_cndmask_b32_e32 v48, v6, v7, vcc
	v_add_u32_e32 v6, 21, v48
	v_or_b32_e32 v13, 0x800000, v50
	v_lshlrev_b64 v[6:7], v6, -1
	v_cndmask_b32_e32 v50, v13, v50, vcc
	v_not_b32_e32 v7, v7
	v_not_b32_e32 v6, v6
	v_add_u32_e32 v13, 20, v48
	v_and_b32_e32 v7, 0, v7
	v_and_b32_e32 v6, v50, v6
	v_lshlrev_b64 v[14:15], v13, 1
	v_cmp_eq_u64_e32 vcc, v[6:7], v[14:15]
	v_lshrrev_b64 v[6:7], v48, v[50:51]
	v_lshrrev_b32_e32 v13, 23, v6
	v_add3_u32 v15, v48, v39, v13
	v_bfe_u32 v13, v6, 21, 1
	v_add_u32_e32 v13, -1, v13
	v_cndmask_b32_e32 v13, 0, v13, vcc
	v_add_u32_e32 v13, v13, v6
	v_and_b32_e32 v13, 0x1fffff, v13
	v_add_co_u32_e32 v6, vcc, v13, v6
	v_add_u32_e32 v14, 14, v15
	v_addc_co_u32_e32 v7, vcc, 0, v7, vcc
	v_cmp_ne_u32_e32 vcc, 0, v14
                                        ; implicit-def: $vgpr13
	s_and_saveexec_b64 s[30:31], vcc
	s_xor_b64 s[30:31], exec, s[30:31]
; %bb.7975:                             ;   in Loop: Header=BB6_7023 Depth=3
	v_add_u32_e32 v13, 15, v15
	v_cmp_lt_u64_e32 vcc, s[56:57], v[6:7]
	v_cndmask_b32_e32 v13, v14, v13, vcc
	v_cndmask_b32_e64 v14, 0, 1, vcc
	v_lshrrev_b64 v[6:7], v14, v[6:7]
; %bb.7976:                             ;   in Loop: Header=BB6_7023 Depth=3
	s_andn2_saveexec_b64 vcc, s[30:31]
; %bb.7977:                             ;   in Loop: Header=BB6_7023 Depth=3
	v_bfe_u32 v13, v6, 23, 1
; %bb.7978:                             ;   in Loop: Header=BB6_7023 Depth=3
	s_or_b64 exec, exec, vcc
	v_lshrrev_b64 v[6:7], 21, v[6:7]
	v_cmp_gt_i32_e32 vcc, 32, v13
	v_cndmask_b32_e32 v7, 0, v7, vcc
	v_cndmask_b32_e32 v6, 3, v6, vcc
	v_cmp_eq_u64_e64 s[30:31], 0, v[6:7]
	v_min_i32_e32 v7, 31, v13
	v_cmp_eq_u32_e32 vcc, 0, v13
	v_lshlrev_b32_e32 v7, 2, v7
	v_and_or_b32 v6, v6, 3, v7
	s_and_b64 vcc, vcc, s[30:31]
	v_cndmask_b32_e64 v6, v6, 0, vcc
	v_or_b32_e32 v39, v6, v12
.LBB6_7979:                             ;   in Loop: Header=BB6_7023 Depth=3
	s_or_b64 exec, exec, s[72:73]
.LBB6_7980:                             ;   in Loop: Header=BB6_7023 Depth=3
	s_or_b64 exec, exec, s[70:71]
                                        ; implicit-def: $vgpr7
.LBB6_7981:                             ;   in Loop: Header=BB6_7023 Depth=3
	s_andn2_saveexec_b64 s[30:31], s[68:69]
; %bb.7982:                             ;   in Loop: Header=BB6_7023 Depth=3
	v_or_b32_sdwa v6, v7, s39 dst_sel:DWORD dst_unused:UNUSED_PAD src0_sel:BYTE_3 src1_sel:DWORD
	v_cmp_eq_u64_e32 vcc, 0, v[50:51]
	v_cndmask_b32_e32 v39, v6, v39, vcc
; %bb.7983:                             ;   in Loop: Header=BB6_7023 Depth=3
	s_or_b64 exec, exec, s[30:31]
	v_mov_b32_e32 v50, v1
	v_mov_b32_e32 v6, v9
	;; [unrolled: 1-line block ×3, first 2 shown]
	s_and_b64 vcc, exec, s[28:29]
	v_cmp_ne_u16_sdwa s[30:31], v1, v51 src0_sel:BYTE_0 src1_sel:DWORD
	s_cbranch_vccnz .LBB6_8001
; %bb.7984:                             ;   in Loop: Header=BB6_7023 Depth=3
	v_mov_b32_e32 v13, 0
	v_mov_b32_e32 v12, 0
	s_and_saveexec_b64 s[68:69], s[30:31]
	s_cbranch_execz .LBB6_7992
; %bb.7985:                             ;   in Loop: Header=BB6_7023 Depth=3
	v_cmp_ne_u16_sdwa vcc, v1, s97 src0_sel:BYTE_0 src1_sel:DWORD
	v_bfrev_b32_e32 v12, 1
	s_and_saveexec_b64 s[70:71], vcc
	s_cbranch_execz .LBB6_7991
; %bb.7986:                             ;   in Loop: Header=BB6_7023 Depth=3
	v_and_b32_e32 v12, 0x7c, v1
	v_and_b32_e32 v14, 3, v1
	v_cmp_ne_u32_e32 vcc, s95, v12
                                        ; implicit-def: $vgpr12
	s_and_saveexec_b64 s[72:73], vcc
	s_xor_b64 s[72:73], exec, s[72:73]
	s_cbranch_execz .LBB6_7988
; %bb.7987:                             ;   in Loop: Header=BB6_7023 Depth=3
	v_ffbh_u32_e32 v15, v14
	v_min_u32_e32 v15, 32, v15
	v_subrev_u32_e32 v48, 29, v15
	v_bfe_u32 v12, v1, 2, 5
	v_lshlrev_b64 v[48:49], v48, v[50:51]
	v_sub_u32_e32 v15, 30, v15
	v_and_b32_e32 v48, 3, v48
	v_cmp_eq_u32_e32 vcc, 0, v12
	v_cndmask_b32_e32 v12, v12, v15, vcc
	v_cndmask_b32_e32 v14, v14, v48, vcc
	v_bfrev_b32_e32 v48, 28
	v_lshlrev_b32_e32 v15, 24, v1
	v_lshl_add_u32 v12, v12, 23, v48
	v_and_or_b32 v12, v15, s96, v12
	v_lshl_or_b32 v12, v14, 21, v12
                                        ; implicit-def: $vgpr14
.LBB6_7988:                             ;   in Loop: Header=BB6_7023 Depth=3
	s_andn2_saveexec_b64 s[72:73], s[72:73]
; %bb.7989:                             ;   in Loop: Header=BB6_7023 Depth=3
	v_mov_b32_e32 v12, -1
	v_cmp_gt_i16_sdwa vcc, sext(v1), v12 src0_sel:BYTE_0 src1_sel:DWORD
	v_mov_b32_e32 v12, 0xc7600000
	v_mov_b32_e32 v15, 0x47600000
	v_cndmask_b32_e32 v12, v12, v15, vcc
	v_cmp_eq_u32_e32 vcc, 0, v14
	v_mov_b32_e32 v14, 0x7f800001
	v_cndmask_b32_e32 v12, v14, v12, vcc
; %bb.7990:                             ;   in Loop: Header=BB6_7023 Depth=3
	s_or_b64 exec, exec, s[72:73]
.LBB6_7991:                             ;   in Loop: Header=BB6_7023 Depth=3
	s_or_b64 exec, exec, s[70:71]
.LBB6_7992:                             ;   in Loop: Header=BB6_7023 Depth=3
	s_or_b64 exec, exec, s[68:69]
	v_cmp_ne_u16_sdwa vcc, v9, v51 src0_sel:BYTE_0 src1_sel:DWORD
	s_and_saveexec_b64 s[68:69], vcc
	s_cbranch_execz .LBB6_8000
; %bb.7993:                             ;   in Loop: Header=BB6_7023 Depth=3
	v_cmp_ne_u16_sdwa vcc, v9, s97 src0_sel:BYTE_0 src1_sel:DWORD
	v_bfrev_b32_e32 v13, 1
	s_and_saveexec_b64 s[70:71], vcc
	s_cbranch_execz .LBB6_7999
; %bb.7994:                             ;   in Loop: Header=BB6_7023 Depth=3
	v_and_b32_e32 v13, 0x7c, v9
	v_and_b32_e32 v14, 3, v9
	v_cmp_ne_u32_e32 vcc, s95, v13
                                        ; implicit-def: $vgpr13
	s_and_saveexec_b64 s[72:73], vcc
	s_xor_b64 s[72:73], exec, s[72:73]
	s_cbranch_execz .LBB6_7996
; %bb.7995:                             ;   in Loop: Header=BB6_7023 Depth=3
	v_ffbh_u32_e32 v15, v14
	v_min_u32_e32 v15, 32, v15
	v_subrev_u32_e32 v48, 29, v15
	v_bfe_u32 v13, v9, 2, 5
	v_lshlrev_b64 v[48:49], v48, v[6:7]
	v_sub_u32_e32 v15, 30, v15
	v_and_b32_e32 v48, 3, v48
	v_cmp_eq_u32_e32 vcc, 0, v13
	v_cndmask_b32_e32 v13, v13, v15, vcc
	v_cndmask_b32_e32 v14, v14, v48, vcc
	v_bfrev_b32_e32 v48, 28
	v_lshlrev_b32_e32 v15, 24, v9
	v_lshl_add_u32 v13, v13, 23, v48
	v_and_or_b32 v13, v15, s96, v13
	v_lshl_or_b32 v13, v14, 21, v13
                                        ; implicit-def: $vgpr14
.LBB6_7996:                             ;   in Loop: Header=BB6_7023 Depth=3
	s_andn2_saveexec_b64 s[72:73], s[72:73]
; %bb.7997:                             ;   in Loop: Header=BB6_7023 Depth=3
	v_mov_b32_e32 v13, -1
	v_cmp_gt_i16_sdwa vcc, sext(v9), v13 src0_sel:BYTE_0 src1_sel:DWORD
	v_mov_b32_e32 v13, 0xc7600000
	v_mov_b32_e32 v15, 0x47600000
	v_cndmask_b32_e32 v13, v13, v15, vcc
	v_cmp_eq_u32_e32 vcc, 0, v14
	v_mov_b32_e32 v14, 0x7f800001
	v_cndmask_b32_e32 v13, v14, v13, vcc
; %bb.7998:                             ;   in Loop: Header=BB6_7023 Depth=3
	s_or_b64 exec, exec, s[72:73]
.LBB6_7999:                             ;   in Loop: Header=BB6_7023 Depth=3
	s_or_b64 exec, exec, s[70:71]
.LBB6_8000:                             ;   in Loop: Header=BB6_7023 Depth=3
	s_or_b64 exec, exec, s[68:69]
	v_max_f32_e32 v13, v13, v13
	v_max_f32_e32 v12, v12, v12
	;; [unrolled: 1-line block ×3, first 2 shown]
	s_branch .LBB6_8019
.LBB6_8001:                             ;   in Loop: Header=BB6_7023 Depth=3
                                        ; implicit-def: $vgpr14
	s_cbranch_execz .LBB6_8019
; %bb.8002:                             ;   in Loop: Header=BB6_7023 Depth=3
	v_mov_b32_e32 v13, 0
	v_mov_b32_e32 v12, 0
	s_and_saveexec_b64 s[68:69], s[30:31]
	s_cbranch_execz .LBB6_8010
; %bb.8003:                             ;   in Loop: Header=BB6_7023 Depth=3
	v_cmp_ne_u16_sdwa vcc, v1, s97 src0_sel:BYTE_0 src1_sel:DWORD
	v_bfrev_b32_e32 v12, 1
	s_and_saveexec_b64 s[30:31], vcc
	s_cbranch_execz .LBB6_8009
; %bb.8004:                             ;   in Loop: Header=BB6_7023 Depth=3
	v_and_b32_e32 v12, 0x7c, v1
	v_and_b32_e32 v14, 3, v1
	v_cmp_ne_u32_e32 vcc, s95, v12
                                        ; implicit-def: $vgpr12
	s_and_saveexec_b64 s[70:71], vcc
	s_xor_b64 s[70:71], exec, s[70:71]
	s_cbranch_execz .LBB6_8006
; %bb.8005:                             ;   in Loop: Header=BB6_7023 Depth=3
	v_ffbh_u32_e32 v15, v14
	v_min_u32_e32 v15, 32, v15
	v_subrev_u32_e32 v48, 29, v15
	v_bfe_u32 v12, v1, 2, 5
	v_lshlrev_b64 v[48:49], v48, v[50:51]
	v_sub_u32_e32 v15, 30, v15
	v_and_b32_e32 v48, 3, v48
	v_cmp_eq_u32_e32 vcc, 0, v12
	v_cndmask_b32_e32 v12, v12, v15, vcc
	v_cndmask_b32_e32 v14, v14, v48, vcc
	v_bfrev_b32_e32 v48, 28
	v_lshlrev_b32_e32 v15, 24, v1
	v_lshl_add_u32 v12, v12, 23, v48
	v_and_or_b32 v12, v15, s96, v12
	v_lshl_or_b32 v12, v14, 21, v12
                                        ; implicit-def: $vgpr14
.LBB6_8006:                             ;   in Loop: Header=BB6_7023 Depth=3
	s_andn2_saveexec_b64 s[70:71], s[70:71]
; %bb.8007:                             ;   in Loop: Header=BB6_7023 Depth=3
	v_mov_b32_e32 v12, -1
	v_cmp_gt_i16_sdwa vcc, sext(v1), v12 src0_sel:BYTE_0 src1_sel:DWORD
	v_mov_b32_e32 v12, 0xc7600000
	v_mov_b32_e32 v15, 0x47600000
	v_cndmask_b32_e32 v12, v12, v15, vcc
	v_cmp_eq_u32_e32 vcc, 0, v14
	v_mov_b32_e32 v14, 0x7f800001
	v_cndmask_b32_e32 v12, v14, v12, vcc
; %bb.8008:                             ;   in Loop: Header=BB6_7023 Depth=3
	s_or_b64 exec, exec, s[70:71]
.LBB6_8009:                             ;   in Loop: Header=BB6_7023 Depth=3
	s_or_b64 exec, exec, s[30:31]
.LBB6_8010:                             ;   in Loop: Header=BB6_7023 Depth=3
	s_or_b64 exec, exec, s[68:69]
	v_cmp_ne_u16_sdwa vcc, v9, v51 src0_sel:BYTE_0 src1_sel:DWORD
	s_and_saveexec_b64 s[30:31], vcc
	s_cbranch_execz .LBB6_8018
; %bb.8011:                             ;   in Loop: Header=BB6_7023 Depth=3
	v_cmp_ne_u16_sdwa vcc, v9, s97 src0_sel:BYTE_0 src1_sel:DWORD
	v_bfrev_b32_e32 v13, 1
	s_and_saveexec_b64 s[68:69], vcc
	s_cbranch_execz .LBB6_8017
; %bb.8012:                             ;   in Loop: Header=BB6_7023 Depth=3
	v_and_b32_e32 v13, 0x7c, v9
	v_and_b32_e32 v14, 3, v9
	v_cmp_ne_u32_e32 vcc, s95, v13
                                        ; implicit-def: $vgpr13
	s_and_saveexec_b64 s[70:71], vcc
	s_xor_b64 s[70:71], exec, s[70:71]
	s_cbranch_execz .LBB6_8014
; %bb.8013:                             ;   in Loop: Header=BB6_7023 Depth=3
	v_ffbh_u32_e32 v15, v14
	v_min_u32_e32 v15, 32, v15
	v_subrev_u32_e32 v48, 29, v15
	v_bfe_u32 v13, v9, 2, 5
	v_lshlrev_b64 v[48:49], v48, v[6:7]
	v_sub_u32_e32 v7, 30, v15
	v_and_b32_e32 v15, 3, v48
	v_cmp_eq_u32_e32 vcc, 0, v13
	v_cndmask_b32_e32 v7, v13, v7, vcc
	v_cndmask_b32_e32 v13, v14, v15, vcc
	v_bfrev_b32_e32 v15, 28
	v_lshlrev_b32_e32 v14, 24, v9
	v_lshl_add_u32 v7, v7, 23, v15
	v_and_or_b32 v7, v14, s96, v7
	v_lshl_or_b32 v13, v13, 21, v7
                                        ; implicit-def: $vgpr14
.LBB6_8014:                             ;   in Loop: Header=BB6_7023 Depth=3
	s_andn2_saveexec_b64 s[70:71], s[70:71]
; %bb.8015:                             ;   in Loop: Header=BB6_7023 Depth=3
	v_mov_b32_e32 v7, -1
	v_cmp_gt_i16_sdwa vcc, sext(v9), v7 src0_sel:BYTE_0 src1_sel:DWORD
	v_mov_b32_e32 v7, 0xc7600000
	v_mov_b32_e32 v13, 0x47600000
	v_cndmask_b32_e32 v7, v7, v13, vcc
	v_cmp_eq_u32_e32 vcc, 0, v14
	v_mov_b32_e32 v13, 0x7f800001
	v_cndmask_b32_e32 v13, v13, v7, vcc
; %bb.8016:                             ;   in Loop: Header=BB6_7023 Depth=3
	s_or_b64 exec, exec, s[70:71]
.LBB6_8017:                             ;   in Loop: Header=BB6_7023 Depth=3
	s_or_b64 exec, exec, s[68:69]
.LBB6_8018:                             ;   in Loop: Header=BB6_7023 Depth=3
	s_or_b64 exec, exec, s[30:31]
	v_max_f32_e32 v7, v13, v13
	v_max_f32_e32 v12, v12, v12
	v_min_f32_e32 v14, v12, v7
.LBB6_8019:                             ;   in Loop: Header=BB6_7023 Depth=3
	v_and_b32_sdwa v7, v14, s97 dst_sel:DWORD dst_unused:UNUSED_PAD src0_sel:BYTE_3 src1_sel:DWORD
	v_and_b32_e32 v52, 0x7f800000, v14
	v_mov_b32_e32 v53, v51
	v_and_b32_e32 v12, 0x7fffff, v14
	v_mov_b32_e32 v13, v51
	v_or_b32_e32 v48, 0x7b, v7
	v_cmp_ne_u64_e32 vcc, s[52:53], v[52:53]
	s_and_saveexec_b64 s[30:31], vcc
	s_xor_b64 s[68:69], exec, s[30:31]
	s_cbranch_execz .LBB6_8029
; %bb.8020:                             ;   in Loop: Header=BB6_7023 Depth=3
	v_and_b32_e32 v52, 0x7fffffff, v14
	v_mov_b32_e32 v53, v51
	v_cmp_gt_u64_e32 vcc, s[54:55], v[52:53]
	s_and_saveexec_b64 s[70:71], vcc
	s_cbranch_execz .LBB6_8028
; %bb.8021:                             ;   in Loop: Header=BB6_7023 Depth=3
	v_cmp_ne_u32_e32 vcc, 0, v14
	v_mov_b32_e32 v48, 0
	s_and_saveexec_b64 s[72:73], vcc
	s_cbranch_execz .LBB6_8027
; %bb.8022:                             ;   in Loop: Header=BB6_7023 Depth=3
	v_bfe_u32 v14, v14, 23, 8
	v_cmp_eq_u32_e32 vcc, 0, v14
	v_add_u32_e32 v15, 0xffffff81, v14
	v_cmp_gt_u32_e64 s[30:31], s38, v14
	v_sub_u32_e32 v14, 0x71, v14
	v_mov_b32_e32 v49, 0xffffff82
	v_cndmask_b32_e64 v14, 0, v14, s[30:31]
	v_cndmask_b32_e32 v52, v15, v49, vcc
	v_mov_b32_e32 v15, 0x70
	v_cndmask_b32_e32 v53, v14, v15, vcc
	v_add_u32_e32 v14, 21, v53
	v_or_b32_e32 v48, 0x800000, v12
	v_lshlrev_b64 v[14:15], v14, -1
	v_cndmask_b32_e32 v12, v48, v12, vcc
	v_not_b32_e32 v15, v15
	v_not_b32_e32 v14, v14
	v_add_u32_e32 v48, 20, v53
	v_and_b32_e32 v15, 0, v15
	v_and_b32_e32 v14, v12, v14
	v_lshlrev_b64 v[48:49], v48, 1
	v_lshrrev_b64 v[12:13], v53, v[12:13]
	v_cmp_eq_u64_e32 vcc, v[14:15], v[48:49]
	v_lshrrev_b32_e32 v14, 23, v12
	v_add3_u32 v48, v53, v52, v14
	v_bfe_u32 v14, v12, 21, 1
	v_add_u32_e32 v14, -1, v14
	v_cndmask_b32_e32 v14, 0, v14, vcc
	v_add_u32_e32 v14, v14, v12
	v_and_b32_e32 v14, 0x1fffff, v14
	v_add_co_u32_e32 v12, vcc, v14, v12
	v_add_u32_e32 v15, 14, v48
	v_addc_co_u32_e32 v13, vcc, 0, v13, vcc
	v_cmp_ne_u32_e32 vcc, 0, v15
                                        ; implicit-def: $vgpr14
	s_and_saveexec_b64 s[30:31], vcc
	s_xor_b64 s[30:31], exec, s[30:31]
; %bb.8023:                             ;   in Loop: Header=BB6_7023 Depth=3
	v_add_u32_e32 v14, 15, v48
	v_cmp_lt_u64_e32 vcc, s[56:57], v[12:13]
	v_cndmask_b32_e32 v14, v15, v14, vcc
	v_cndmask_b32_e64 v15, 0, 1, vcc
	v_lshrrev_b64 v[12:13], v15, v[12:13]
; %bb.8024:                             ;   in Loop: Header=BB6_7023 Depth=3
	s_andn2_saveexec_b64 vcc, s[30:31]
; %bb.8025:                             ;   in Loop: Header=BB6_7023 Depth=3
	v_bfe_u32 v14, v12, 23, 1
; %bb.8026:                             ;   in Loop: Header=BB6_7023 Depth=3
	s_or_b64 exec, exec, vcc
	v_lshrrev_b64 v[12:13], 21, v[12:13]
	v_cmp_gt_i32_e32 vcc, 32, v14
	v_cndmask_b32_e32 v13, 0, v13, vcc
	v_cndmask_b32_e32 v12, 3, v12, vcc
	v_cmp_eq_u64_e64 s[30:31], 0, v[12:13]
	v_min_i32_e32 v13, 31, v14
	v_cmp_eq_u32_e32 vcc, 0, v14
	v_lshlrev_b32_e32 v13, 2, v13
	v_and_or_b32 v12, v12, 3, v13
	s_and_b64 vcc, vcc, s[30:31]
	v_cndmask_b32_e64 v12, v12, 0, vcc
	v_or_b32_e32 v48, v12, v7
.LBB6_8027:                             ;   in Loop: Header=BB6_7023 Depth=3
	s_or_b64 exec, exec, s[72:73]
.LBB6_8028:                             ;   in Loop: Header=BB6_7023 Depth=3
	s_or_b64 exec, exec, s[70:71]
                                        ; implicit-def: $vgpr14
                                        ; implicit-def: $vgpr12_vgpr13
.LBB6_8029:                             ;   in Loop: Header=BB6_7023 Depth=3
	s_andn2_saveexec_b64 s[30:31], s[68:69]
; %bb.8030:                             ;   in Loop: Header=BB6_7023 Depth=3
	v_or_b32_sdwa v7, v14, s39 dst_sel:DWORD dst_unused:UNUSED_PAD src0_sel:BYTE_3 src1_sel:DWORD
	v_cmp_eq_u64_e32 vcc, 0, v[12:13]
	v_cndmask_b32_e32 v48, v7, v48, vcc
; %bb.8031:                             ;   in Loop: Header=BB6_7023 Depth=3
	s_or_b64 exec, exec, s[30:31]
	v_lshrrev_b16_e32 v14, 8, v50
	v_lshrrev_b16_e32 v12, 8, v6
	s_and_b64 vcc, exec, s[28:29]
	v_cmp_ne_u16_e64 s[30:31], 0, v14
	s_cbranch_vccnz .LBB6_8049
; %bb.8032:                             ;   in Loop: Header=BB6_7023 Depth=3
	v_mov_b32_e32 v13, 0
	v_mov_b32_e32 v7, 0
	s_and_saveexec_b64 s[68:69], s[30:31]
	s_cbranch_execz .LBB6_8040
; %bb.8033:                             ;   in Loop: Header=BB6_7023 Depth=3
	v_cmp_ne_u16_e32 vcc, s97, v14
	v_bfrev_b32_e32 v7, 1
	s_and_saveexec_b64 s[70:71], vcc
	s_cbranch_execz .LBB6_8039
; %bb.8034:                             ;   in Loop: Header=BB6_7023 Depth=3
	v_and_b32_e32 v7, 0x7c, v14
	v_and_b32_e32 v49, 3, v14
	v_cmp_ne_u32_e32 vcc, s95, v7
                                        ; implicit-def: $vgpr7
	s_and_saveexec_b64 s[72:73], vcc
	s_xor_b64 s[72:73], exec, s[72:73]
	s_cbranch_execz .LBB6_8036
; %bb.8035:                             ;   in Loop: Header=BB6_7023 Depth=3
	v_ffbh_u32_e32 v52, v49
	v_min_u32_e32 v54, 32, v52
	v_mov_b32_e32 v15, v51
	v_subrev_u32_e32 v52, 29, v54
	v_bfe_u32 v7, v14, 2, 5
	v_lshlrev_b64 v[52:53], v52, v[14:15]
	v_sub_u32_e32 v15, 30, v54
	v_and_b32_e32 v52, 3, v52
	v_cmp_eq_u32_e32 vcc, 0, v7
	v_cndmask_b32_e32 v7, v7, v15, vcc
	v_cndmask_b32_e32 v15, v49, v52, vcc
	v_bfrev_b32_e32 v52, 28
	v_lshlrev_b32_e32 v49, 16, v50
	v_lshl_add_u32 v7, v7, 23, v52
	v_and_or_b32 v7, v49, s96, v7
	v_lshl_or_b32 v7, v15, 21, v7
                                        ; implicit-def: $vgpr49
.LBB6_8036:                             ;   in Loop: Header=BB6_7023 Depth=3
	s_andn2_saveexec_b64 s[72:73], s[72:73]
; %bb.8037:                             ;   in Loop: Header=BB6_7023 Depth=3
	v_cmp_lt_i16_e32 vcc, -1, v50
	v_mov_b32_e32 v7, 0xc7600000
	v_mov_b32_e32 v15, 0x47600000
	v_cndmask_b32_e32 v7, v7, v15, vcc
	v_cmp_eq_u32_e32 vcc, 0, v49
	v_mov_b32_e32 v15, 0x7f800001
	v_cndmask_b32_e32 v7, v15, v7, vcc
; %bb.8038:                             ;   in Loop: Header=BB6_7023 Depth=3
	s_or_b64 exec, exec, s[72:73]
.LBB6_8039:                             ;   in Loop: Header=BB6_7023 Depth=3
	s_or_b64 exec, exec, s[70:71]
.LBB6_8040:                             ;   in Loop: Header=BB6_7023 Depth=3
	s_or_b64 exec, exec, s[68:69]
	v_cmp_ne_u16_e32 vcc, 0, v12
	s_and_saveexec_b64 s[68:69], vcc
	s_cbranch_execz .LBB6_8048
; %bb.8041:                             ;   in Loop: Header=BB6_7023 Depth=3
	v_cmp_ne_u16_e32 vcc, s97, v12
	v_bfrev_b32_e32 v13, 1
	s_and_saveexec_b64 s[70:71], vcc
	s_cbranch_execz .LBB6_8047
; %bb.8042:                             ;   in Loop: Header=BB6_7023 Depth=3
	v_and_b32_e32 v13, 0x7c, v12
	v_and_b32_e32 v15, 3, v12
	v_cmp_ne_u32_e32 vcc, s95, v13
                                        ; implicit-def: $vgpr13
	s_and_saveexec_b64 s[72:73], vcc
	s_xor_b64 s[72:73], exec, s[72:73]
	s_cbranch_execz .LBB6_8044
; %bb.8043:                             ;   in Loop: Header=BB6_7023 Depth=3
	v_ffbh_u32_e32 v52, v15
	v_min_u32_e32 v54, 32, v52
	v_mov_b32_e32 v13, v51
	v_subrev_u32_e32 v52, 29, v54
	v_bfe_u32 v49, v12, 2, 5
	v_lshlrev_b64 v[52:53], v52, v[12:13]
	v_sub_u32_e32 v13, 30, v54
	v_and_b32_e32 v52, 3, v52
	v_cmp_eq_u32_e32 vcc, 0, v49
	v_cndmask_b32_e32 v13, v49, v13, vcc
	v_cndmask_b32_e32 v15, v15, v52, vcc
	v_bfrev_b32_e32 v52, 28
	v_lshlrev_b32_e32 v49, 16, v6
	v_lshl_add_u32 v13, v13, 23, v52
	v_and_or_b32 v13, v49, s96, v13
	v_lshl_or_b32 v13, v15, 21, v13
                                        ; implicit-def: $vgpr15
.LBB6_8044:                             ;   in Loop: Header=BB6_7023 Depth=3
	s_andn2_saveexec_b64 s[72:73], s[72:73]
; %bb.8045:                             ;   in Loop: Header=BB6_7023 Depth=3
	v_cmp_lt_i16_e32 vcc, -1, v6
	v_mov_b32_e32 v13, 0xc7600000
	v_mov_b32_e32 v49, 0x47600000
	v_cndmask_b32_e32 v13, v13, v49, vcc
	v_cmp_eq_u32_e32 vcc, 0, v15
	v_mov_b32_e32 v15, 0x7f800001
	v_cndmask_b32_e32 v13, v15, v13, vcc
; %bb.8046:                             ;   in Loop: Header=BB6_7023 Depth=3
	s_or_b64 exec, exec, s[72:73]
.LBB6_8047:                             ;   in Loop: Header=BB6_7023 Depth=3
	s_or_b64 exec, exec, s[70:71]
.LBB6_8048:                             ;   in Loop: Header=BB6_7023 Depth=3
	s_or_b64 exec, exec, s[68:69]
	v_max_f32_e32 v13, v13, v13
	v_max_f32_e32 v7, v7, v7
	;; [unrolled: 1-line block ×3, first 2 shown]
	s_branch .LBB6_8067
.LBB6_8049:                             ;   in Loop: Header=BB6_7023 Depth=3
                                        ; implicit-def: $vgpr7
	s_cbranch_execz .LBB6_8067
; %bb.8050:                             ;   in Loop: Header=BB6_7023 Depth=3
	v_mov_b32_e32 v13, 0
	v_mov_b32_e32 v15, 0
	s_and_saveexec_b64 s[68:69], s[30:31]
	s_cbranch_execz .LBB6_8058
; %bb.8051:                             ;   in Loop: Header=BB6_7023 Depth=3
	v_cmp_ne_u16_e32 vcc, s97, v14
	v_bfrev_b32_e32 v15, 1
	s_and_saveexec_b64 s[30:31], vcc
	s_cbranch_execz .LBB6_8057
; %bb.8052:                             ;   in Loop: Header=BB6_7023 Depth=3
	v_and_b32_e32 v15, 0x7c, v14
	v_and_b32_e32 v7, 3, v14
	v_cmp_ne_u32_e32 vcc, s95, v15
                                        ; implicit-def: $vgpr15
	s_and_saveexec_b64 s[70:71], vcc
	s_xor_b64 s[70:71], exec, s[70:71]
	s_cbranch_execz .LBB6_8054
; %bb.8053:                             ;   in Loop: Header=BB6_7023 Depth=3
	v_ffbh_u32_e32 v52, v7
	v_min_u32_e32 v52, 32, v52
	v_mov_b32_e32 v15, v51
	v_subrev_u32_e32 v53, 29, v52
	v_bfe_u32 v49, v14, 2, 5
	v_lshlrev_b64 v[14:15], v53, v[14:15]
	v_sub_u32_e32 v15, 30, v52
	v_cmp_eq_u32_e32 vcc, 0, v49
	v_and_b32_e32 v14, 3, v14
	v_cndmask_b32_e32 v15, v49, v15, vcc
	v_bfrev_b32_e32 v49, 28
	v_cndmask_b32_e32 v7, v7, v14, vcc
	v_lshlrev_b32_e32 v14, 16, v50
	v_lshl_add_u32 v15, v15, 23, v49
	v_and_or_b32 v14, v14, s96, v15
	v_lshl_or_b32 v15, v7, 21, v14
                                        ; implicit-def: $vgpr7
.LBB6_8054:                             ;   in Loop: Header=BB6_7023 Depth=3
	s_andn2_saveexec_b64 s[70:71], s[70:71]
; %bb.8055:                             ;   in Loop: Header=BB6_7023 Depth=3
	v_cmp_lt_i16_e32 vcc, -1, v50
	v_mov_b32_e32 v14, 0xc7600000
	v_mov_b32_e32 v15, 0x47600000
	v_cndmask_b32_e32 v14, v14, v15, vcc
	v_cmp_eq_u32_e32 vcc, 0, v7
	v_mov_b32_e32 v7, 0x7f800001
	v_cndmask_b32_e32 v15, v7, v14, vcc
; %bb.8056:                             ;   in Loop: Header=BB6_7023 Depth=3
	s_or_b64 exec, exec, s[70:71]
.LBB6_8057:                             ;   in Loop: Header=BB6_7023 Depth=3
	s_or_b64 exec, exec, s[30:31]
.LBB6_8058:                             ;   in Loop: Header=BB6_7023 Depth=3
	s_or_b64 exec, exec, s[68:69]
	v_cmp_ne_u16_e32 vcc, 0, v12
	s_and_saveexec_b64 s[30:31], vcc
	s_cbranch_execz .LBB6_8066
; %bb.8059:                             ;   in Loop: Header=BB6_7023 Depth=3
	v_cmp_ne_u16_e32 vcc, s97, v12
	v_bfrev_b32_e32 v13, 1
	s_and_saveexec_b64 s[68:69], vcc
	s_cbranch_execz .LBB6_8065
; %bb.8060:                             ;   in Loop: Header=BB6_7023 Depth=3
	v_and_b32_e32 v7, 0x7c, v12
	v_and_b32_e32 v14, 3, v12
	v_cmp_ne_u32_e32 vcc, s95, v7
                                        ; implicit-def: $vgpr13
	s_and_saveexec_b64 s[70:71], vcc
	s_xor_b64 s[70:71], exec, s[70:71]
	s_cbranch_execz .LBB6_8062
; %bb.8061:                             ;   in Loop: Header=BB6_7023 Depth=3
	v_ffbh_u32_e32 v49, v14
	v_min_u32_e32 v49, 32, v49
	v_mov_b32_e32 v13, v51
	v_subrev_u32_e32 v50, 29, v49
	v_bfe_u32 v7, v12, 2, 5
	v_lshlrev_b64 v[12:13], v50, v[12:13]
	v_sub_u32_e32 v13, 30, v49
	v_cmp_eq_u32_e32 vcc, 0, v7
	v_cndmask_b32_e32 v7, v7, v13, vcc
	v_bfrev_b32_e32 v13, 28
	v_and_b32_e32 v12, 3, v12
	v_lshlrev_b32_e32 v6, 16, v6
	v_lshl_add_u32 v7, v7, 23, v13
	v_cndmask_b32_e32 v12, v14, v12, vcc
	v_and_or_b32 v6, v6, s96, v7
	v_lshl_or_b32 v13, v12, 21, v6
                                        ; implicit-def: $vgpr14
                                        ; implicit-def: $vgpr6_vgpr7
.LBB6_8062:                             ;   in Loop: Header=BB6_7023 Depth=3
	s_andn2_saveexec_b64 s[70:71], s[70:71]
; %bb.8063:                             ;   in Loop: Header=BB6_7023 Depth=3
	v_cmp_lt_i16_e32 vcc, -1, v6
	v_mov_b32_e32 v6, 0xc7600000
	v_mov_b32_e32 v7, 0x47600000
	v_cndmask_b32_e32 v6, v6, v7, vcc
	v_cmp_eq_u32_e32 vcc, 0, v14
	v_mov_b32_e32 v7, 0x7f800001
	v_cndmask_b32_e32 v13, v7, v6, vcc
; %bb.8064:                             ;   in Loop: Header=BB6_7023 Depth=3
	s_or_b64 exec, exec, s[70:71]
.LBB6_8065:                             ;   in Loop: Header=BB6_7023 Depth=3
	s_or_b64 exec, exec, s[68:69]
.LBB6_8066:                             ;   in Loop: Header=BB6_7023 Depth=3
	s_or_b64 exec, exec, s[30:31]
	v_max_f32_e32 v6, v13, v13
	v_max_f32_e32 v7, v15, v15
	v_min_f32_e32 v7, v7, v6
.LBB6_8067:                             ;   in Loop: Header=BB6_7023 Depth=3
	v_and_b32_sdwa v12, v7, s97 dst_sel:DWORD dst_unused:UNUSED_PAD src0_sel:BYTE_3 src1_sel:DWORD
	v_and_b32_e32 v14, 0x7f800000, v7
	v_mov_b32_e32 v15, v51
	v_and_b32_e32 v50, 0x7fffff, v7
	v_or_b32_e32 v13, 0x7b, v12
	v_cmp_ne_u64_e32 vcc, s[52:53], v[14:15]
	s_and_saveexec_b64 s[30:31], vcc
	s_xor_b64 s[68:69], exec, s[30:31]
	s_cbranch_execz .LBB6_8077
; %bb.8068:                             ;   in Loop: Header=BB6_7023 Depth=3
	v_and_b32_e32 v14, 0x7fffffff, v7
	v_mov_b32_e32 v15, v51
	v_cmp_gt_u64_e32 vcc, s[54:55], v[14:15]
	s_and_saveexec_b64 s[70:71], vcc
	s_cbranch_execz .LBB6_8076
; %bb.8069:                             ;   in Loop: Header=BB6_7023 Depth=3
	v_cmp_ne_u32_e32 vcc, 0, v7
	v_mov_b32_e32 v13, 0
	s_and_saveexec_b64 s[72:73], vcc
	s_cbranch_execz .LBB6_8075
; %bb.8070:                             ;   in Loop: Header=BB6_7023 Depth=3
	v_bfe_u32 v6, v7, 23, 8
	v_cmp_eq_u32_e32 vcc, 0, v6
	v_add_u32_e32 v7, 0xffffff81, v6
	v_cmp_gt_u32_e64 s[30:31], s38, v6
	v_sub_u32_e32 v6, 0x71, v6
	v_mov_b32_e32 v14, 0xffffff82
	v_cndmask_b32_e64 v6, 0, v6, s[30:31]
	v_cndmask_b32_e32 v49, v7, v14, vcc
	v_mov_b32_e32 v7, 0x70
	v_cndmask_b32_e32 v52, v6, v7, vcc
	v_add_u32_e32 v6, 21, v52
	v_or_b32_e32 v13, 0x800000, v50
	v_lshlrev_b64 v[6:7], v6, -1
	v_cndmask_b32_e32 v50, v13, v50, vcc
	v_not_b32_e32 v7, v7
	v_not_b32_e32 v6, v6
	v_add_u32_e32 v13, 20, v52
	v_and_b32_e32 v7, 0, v7
	v_and_b32_e32 v6, v50, v6
	v_lshlrev_b64 v[14:15], v13, 1
	v_cmp_eq_u64_e32 vcc, v[6:7], v[14:15]
	v_lshrrev_b64 v[6:7], v52, v[50:51]
	v_lshrrev_b32_e32 v13, 23, v6
	v_add3_u32 v15, v52, v49, v13
	v_bfe_u32 v13, v6, 21, 1
	v_add_u32_e32 v13, -1, v13
	v_cndmask_b32_e32 v13, 0, v13, vcc
	v_add_u32_e32 v13, v13, v6
	v_and_b32_e32 v13, 0x1fffff, v13
	v_add_co_u32_e32 v6, vcc, v13, v6
	v_add_u32_e32 v14, 14, v15
	v_addc_co_u32_e32 v7, vcc, 0, v7, vcc
	v_cmp_ne_u32_e32 vcc, 0, v14
                                        ; implicit-def: $vgpr13
	s_and_saveexec_b64 s[30:31], vcc
	s_xor_b64 s[30:31], exec, s[30:31]
; %bb.8071:                             ;   in Loop: Header=BB6_7023 Depth=3
	v_add_u32_e32 v13, 15, v15
	v_cmp_lt_u64_e32 vcc, s[56:57], v[6:7]
	v_cndmask_b32_e32 v13, v14, v13, vcc
	v_cndmask_b32_e64 v14, 0, 1, vcc
	v_lshrrev_b64 v[6:7], v14, v[6:7]
; %bb.8072:                             ;   in Loop: Header=BB6_7023 Depth=3
	s_andn2_saveexec_b64 vcc, s[30:31]
; %bb.8073:                             ;   in Loop: Header=BB6_7023 Depth=3
	v_bfe_u32 v13, v6, 23, 1
; %bb.8074:                             ;   in Loop: Header=BB6_7023 Depth=3
	s_or_b64 exec, exec, vcc
	v_lshrrev_b64 v[6:7], 21, v[6:7]
	v_cmp_gt_i32_e32 vcc, 32, v13
	v_cndmask_b32_e32 v7, 0, v7, vcc
	v_cndmask_b32_e32 v6, 3, v6, vcc
	v_cmp_eq_u64_e64 s[30:31], 0, v[6:7]
	v_min_i32_e32 v7, 31, v13
	v_cmp_eq_u32_e32 vcc, 0, v13
	v_lshlrev_b32_e32 v7, 2, v7
	v_and_or_b32 v6, v6, 3, v7
	s_and_b64 vcc, vcc, s[30:31]
	v_cndmask_b32_e64 v6, v6, 0, vcc
	v_or_b32_e32 v13, v6, v12
.LBB6_8075:                             ;   in Loop: Header=BB6_7023 Depth=3
	s_or_b64 exec, exec, s[72:73]
.LBB6_8076:                             ;   in Loop: Header=BB6_7023 Depth=3
	s_or_b64 exec, exec, s[70:71]
                                        ; implicit-def: $vgpr7
.LBB6_8077:                             ;   in Loop: Header=BB6_7023 Depth=3
	s_andn2_saveexec_b64 s[30:31], s[68:69]
; %bb.8078:                             ;   in Loop: Header=BB6_7023 Depth=3
	v_or_b32_sdwa v6, v7, s39 dst_sel:DWORD dst_unused:UNUSED_PAD src0_sel:BYTE_3 src1_sel:DWORD
	v_cmp_eq_u64_e32 vcc, 0, v[50:51]
	v_cndmask_b32_e32 v13, v6, v13, vcc
; %bb.8079:                             ;   in Loop: Header=BB6_7023 Depth=3
	s_or_b64 exec, exec, s[30:31]
	v_lshrrev_b32_e32 v12, 16, v1
	v_lshrrev_b32_e32 v6, 16, v9
	s_and_b64 vcc, exec, s[28:29]
	v_cmp_ne_u16_sdwa s[30:31], v12, v51 src0_sel:BYTE_0 src1_sel:DWORD
	s_cbranch_vccnz .LBB6_8097
; %bb.8080:                             ;   in Loop: Header=BB6_7023 Depth=3
	v_mov_b32_e32 v14, 0
	v_mov_b32_e32 v7, 0
	s_and_saveexec_b64 s[68:69], s[30:31]
	s_cbranch_execz .LBB6_8088
; %bb.8081:                             ;   in Loop: Header=BB6_7023 Depth=3
	v_cmp_ne_u16_sdwa vcc, v12, s97 src0_sel:BYTE_0 src1_sel:DWORD
	v_bfrev_b32_e32 v7, 1
	s_and_saveexec_b64 s[70:71], vcc
	s_cbranch_execz .LBB6_8087
; %bb.8082:                             ;   in Loop: Header=BB6_7023 Depth=3
	v_and_b32_e32 v7, 0x7c0000, v1
	v_bfe_u32 v15, v1, 16, 2
	v_cmp_ne_u32_e32 vcc, s36, v7
                                        ; implicit-def: $vgpr7
	s_and_saveexec_b64 s[72:73], vcc
	s_xor_b64 s[72:73], exec, s[72:73]
	s_cbranch_execz .LBB6_8084
; %bb.8083:                             ;   in Loop: Header=BB6_7023 Depth=3
	v_ffbh_u32_e32 v49, v15
	v_min_u32_e32 v49, 32, v49
	v_subrev_u32_e32 v50, 29, v49
	v_bfe_u32 v7, v1, 18, 5
	v_lshlrev_b64 v[52:53], v50, v[12:13]
	v_sub_u32_e32 v49, 30, v49
	v_and_b32_e32 v50, 3, v52
	v_cmp_eq_u32_e32 vcc, 0, v7
	v_cndmask_b32_e32 v7, v7, v49, vcc
	v_cndmask_b32_e32 v15, v15, v50, vcc
	v_bfrev_b32_e32 v50, 28
	v_lshlrev_b32_e32 v49, 24, v12
	v_lshl_add_u32 v7, v7, 23, v50
	v_and_or_b32 v7, v49, s96, v7
	v_lshl_or_b32 v7, v15, 21, v7
                                        ; implicit-def: $vgpr15
.LBB6_8084:                             ;   in Loop: Header=BB6_7023 Depth=3
	s_andn2_saveexec_b64 s[72:73], s[72:73]
; %bb.8085:                             ;   in Loop: Header=BB6_7023 Depth=3
	v_mov_b32_e32 v7, -1
	v_cmp_gt_i16_sdwa vcc, sext(v12), v7 src0_sel:BYTE_0 src1_sel:DWORD
	v_mov_b32_e32 v7, 0xc7600000
	v_mov_b32_e32 v49, 0x47600000
	v_cndmask_b32_e32 v7, v7, v49, vcc
	v_cmp_eq_u32_e32 vcc, 0, v15
	v_mov_b32_e32 v15, 0x7f800001
	v_cndmask_b32_e32 v7, v15, v7, vcc
; %bb.8086:                             ;   in Loop: Header=BB6_7023 Depth=3
	s_or_b64 exec, exec, s[72:73]
.LBB6_8087:                             ;   in Loop: Header=BB6_7023 Depth=3
	s_or_b64 exec, exec, s[70:71]
.LBB6_8088:                             ;   in Loop: Header=BB6_7023 Depth=3
	s_or_b64 exec, exec, s[68:69]
	v_cmp_ne_u16_sdwa vcc, v6, v51 src0_sel:BYTE_0 src1_sel:DWORD
	s_and_saveexec_b64 s[68:69], vcc
	s_cbranch_execz .LBB6_8096
; %bb.8089:                             ;   in Loop: Header=BB6_7023 Depth=3
	v_cmp_ne_u16_sdwa vcc, v6, s97 src0_sel:BYTE_0 src1_sel:DWORD
	v_bfrev_b32_e32 v14, 1
	s_and_saveexec_b64 s[70:71], vcc
	s_cbranch_execz .LBB6_8095
; %bb.8090:                             ;   in Loop: Header=BB6_7023 Depth=3
	v_and_b32_e32 v14, 0x7c0000, v9
	v_bfe_u32 v15, v9, 16, 2
	v_cmp_ne_u32_e32 vcc, s36, v14
                                        ; implicit-def: $vgpr14
	s_and_saveexec_b64 s[72:73], vcc
	s_xor_b64 s[72:73], exec, s[72:73]
	s_cbranch_execz .LBB6_8092
; %bb.8091:                             ;   in Loop: Header=BB6_7023 Depth=3
	v_ffbh_u32_e32 v49, v15
	v_min_u32_e32 v49, 32, v49
	v_subrev_u32_e32 v50, 29, v49
	v_bfe_u32 v14, v9, 18, 5
	v_lshlrev_b64 v[52:53], v50, v[6:7]
	v_sub_u32_e32 v49, 30, v49
	v_and_b32_e32 v50, 3, v52
	v_cmp_eq_u32_e32 vcc, 0, v14
	v_cndmask_b32_e32 v14, v14, v49, vcc
	v_cndmask_b32_e32 v15, v15, v50, vcc
	v_bfrev_b32_e32 v50, 28
	v_lshlrev_b32_e32 v49, 24, v6
	v_lshl_add_u32 v14, v14, 23, v50
	v_and_or_b32 v14, v49, s96, v14
	v_lshl_or_b32 v14, v15, 21, v14
                                        ; implicit-def: $vgpr15
.LBB6_8092:                             ;   in Loop: Header=BB6_7023 Depth=3
	s_andn2_saveexec_b64 s[72:73], s[72:73]
; %bb.8093:                             ;   in Loop: Header=BB6_7023 Depth=3
	v_mov_b32_e32 v14, -1
	v_cmp_gt_i16_sdwa vcc, sext(v6), v14 src0_sel:BYTE_0 src1_sel:DWORD
	v_mov_b32_e32 v14, 0xc7600000
	v_mov_b32_e32 v49, 0x47600000
	v_cndmask_b32_e32 v14, v14, v49, vcc
	v_cmp_eq_u32_e32 vcc, 0, v15
	v_mov_b32_e32 v15, 0x7f800001
	v_cndmask_b32_e32 v14, v15, v14, vcc
; %bb.8094:                             ;   in Loop: Header=BB6_7023 Depth=3
	s_or_b64 exec, exec, s[72:73]
.LBB6_8095:                             ;   in Loop: Header=BB6_7023 Depth=3
	s_or_b64 exec, exec, s[70:71]
.LBB6_8096:                             ;   in Loop: Header=BB6_7023 Depth=3
	s_or_b64 exec, exec, s[68:69]
	v_max_f32_e32 v14, v14, v14
	v_max_f32_e32 v7, v7, v7
	;; [unrolled: 1-line block ×3, first 2 shown]
	s_branch .LBB6_8115
.LBB6_8097:                             ;   in Loop: Header=BB6_7023 Depth=3
                                        ; implicit-def: $vgpr7
	s_cbranch_execz .LBB6_8115
; %bb.8098:                             ;   in Loop: Header=BB6_7023 Depth=3
	v_mov_b32_e32 v14, 0
	v_mov_b32_e32 v7, 0
	s_and_saveexec_b64 s[68:69], s[30:31]
	s_cbranch_execz .LBB6_8106
; %bb.8099:                             ;   in Loop: Header=BB6_7023 Depth=3
	v_cmp_ne_u16_sdwa vcc, v12, s97 src0_sel:BYTE_0 src1_sel:DWORD
	v_bfrev_b32_e32 v7, 1
	s_and_saveexec_b64 s[30:31], vcc
	s_cbranch_execz .LBB6_8105
; %bb.8100:                             ;   in Loop: Header=BB6_7023 Depth=3
	v_and_b32_e32 v7, 0x7c0000, v1
	v_bfe_u32 v15, v1, 16, 2
	v_cmp_ne_u32_e32 vcc, s36, v7
                                        ; implicit-def: $vgpr7
	s_and_saveexec_b64 s[70:71], vcc
	s_xor_b64 s[70:71], exec, s[70:71]
	s_cbranch_execz .LBB6_8102
; %bb.8101:                             ;   in Loop: Header=BB6_7023 Depth=3
	v_ffbh_u32_e32 v49, v15
	v_bfe_u32 v7, v1, 18, 5
	v_min_u32_e32 v49, 32, v49
	v_subrev_u32_e32 v50, 29, v49
	v_sub_u32_e32 v49, 30, v49
	v_cmp_eq_u32_e32 vcc, 0, v7
	v_lshlrev_b64 v[52:53], v50, v[12:13]
	v_cndmask_b32_e32 v7, v7, v49, vcc
	v_bfrev_b32_e32 v49, 28
	v_and_b32_e32 v50, 3, v52
	v_lshlrev_b32_e32 v12, 24, v12
	v_lshl_add_u32 v7, v7, 23, v49
	v_cndmask_b32_e32 v15, v15, v50, vcc
	v_and_or_b32 v7, v12, s96, v7
	v_lshl_or_b32 v7, v15, 21, v7
                                        ; implicit-def: $vgpr15
                                        ; implicit-def: $vgpr12
.LBB6_8102:                             ;   in Loop: Header=BB6_7023 Depth=3
	s_andn2_saveexec_b64 s[70:71], s[70:71]
; %bb.8103:                             ;   in Loop: Header=BB6_7023 Depth=3
	v_mov_b32_e32 v7, -1
	v_cmp_gt_i16_sdwa vcc, sext(v12), v7 src0_sel:BYTE_0 src1_sel:DWORD
	v_mov_b32_e32 v7, 0xc7600000
	v_mov_b32_e32 v12, 0x47600000
	v_cndmask_b32_e32 v7, v7, v12, vcc
	v_cmp_eq_u32_e32 vcc, 0, v15
	v_mov_b32_e32 v12, 0x7f800001
	v_cndmask_b32_e32 v7, v12, v7, vcc
; %bb.8104:                             ;   in Loop: Header=BB6_7023 Depth=3
	s_or_b64 exec, exec, s[70:71]
.LBB6_8105:                             ;   in Loop: Header=BB6_7023 Depth=3
	s_or_b64 exec, exec, s[30:31]
.LBB6_8106:                             ;   in Loop: Header=BB6_7023 Depth=3
	s_or_b64 exec, exec, s[68:69]
	v_cmp_ne_u16_sdwa vcc, v6, v51 src0_sel:BYTE_0 src1_sel:DWORD
	s_and_saveexec_b64 s[30:31], vcc
	s_cbranch_execz .LBB6_8114
; %bb.8107:                             ;   in Loop: Header=BB6_7023 Depth=3
	v_cmp_ne_u16_sdwa vcc, v6, s97 src0_sel:BYTE_0 src1_sel:DWORD
	v_bfrev_b32_e32 v14, 1
	s_and_saveexec_b64 s[68:69], vcc
	s_cbranch_execz .LBB6_8113
; %bb.8108:                             ;   in Loop: Header=BB6_7023 Depth=3
	v_and_b32_e32 v14, 0x7c0000, v9
	v_bfe_u32 v12, v9, 16, 2
	v_cmp_ne_u32_e32 vcc, s36, v14
                                        ; implicit-def: $vgpr14
	s_and_saveexec_b64 s[70:71], vcc
	s_xor_b64 s[70:71], exec, s[70:71]
	s_cbranch_execz .LBB6_8110
; %bb.8109:                             ;   in Loop: Header=BB6_7023 Depth=3
	v_ffbh_u32_e32 v14, v12
	v_min_u32_e32 v50, 32, v14
	v_subrev_u32_e32 v14, 29, v50
	v_bfe_u32 v49, v9, 18, 5
	v_lshlrev_b64 v[14:15], v14, v[6:7]
	v_sub_u32_e32 v15, 30, v50
	v_and_b32_e32 v14, 3, v14
	v_cmp_eq_u32_e32 vcc, 0, v49
	v_cndmask_b32_e32 v15, v49, v15, vcc
	v_cndmask_b32_e32 v12, v12, v14, vcc
	v_bfrev_b32_e32 v14, 28
	v_lshlrev_b32_e32 v6, 24, v6
	v_lshl_add_u32 v14, v15, 23, v14
	v_and_or_b32 v6, v6, s96, v14
	v_lshl_or_b32 v14, v12, 21, v6
                                        ; implicit-def: $vgpr12
                                        ; implicit-def: $vgpr6
.LBB6_8110:                             ;   in Loop: Header=BB6_7023 Depth=3
	s_andn2_saveexec_b64 s[70:71], s[70:71]
; %bb.8111:                             ;   in Loop: Header=BB6_7023 Depth=3
	v_mov_b32_e32 v14, -1
	v_cmp_gt_i16_sdwa vcc, sext(v6), v14 src0_sel:BYTE_0 src1_sel:DWORD
	v_mov_b32_e32 v6, 0xc7600000
	v_mov_b32_e32 v14, 0x47600000
	v_cndmask_b32_e32 v6, v6, v14, vcc
	v_cmp_eq_u32_e32 vcc, 0, v12
	v_mov_b32_e32 v12, 0x7f800001
	v_cndmask_b32_e32 v14, v12, v6, vcc
; %bb.8112:                             ;   in Loop: Header=BB6_7023 Depth=3
	s_or_b64 exec, exec, s[70:71]
.LBB6_8113:                             ;   in Loop: Header=BB6_7023 Depth=3
	s_or_b64 exec, exec, s[68:69]
.LBB6_8114:                             ;   in Loop: Header=BB6_7023 Depth=3
	s_or_b64 exec, exec, s[30:31]
	v_max_f32_e32 v6, v14, v14
	v_max_f32_e32 v7, v7, v7
	v_min_f32_e32 v7, v7, v6
.LBB6_8115:                             ;   in Loop: Header=BB6_7023 Depth=3
	v_and_b32_sdwa v12, v7, s97 dst_sel:DWORD dst_unused:UNUSED_PAD src0_sel:BYTE_3 src1_sel:DWORD
	v_and_b32_e32 v52, 0x7f800000, v7
	v_mov_b32_e32 v53, v51
	v_and_b32_e32 v50, 0x7fffff, v7
	v_or_b32_e32 v14, 0x7b, v12
	v_cmp_ne_u64_e32 vcc, s[52:53], v[52:53]
	s_and_saveexec_b64 s[30:31], vcc
	s_xor_b64 s[68:69], exec, s[30:31]
	s_cbranch_execz .LBB6_8125
; %bb.8116:                             ;   in Loop: Header=BB6_7023 Depth=3
	v_and_b32_e32 v52, 0x7fffffff, v7
	v_mov_b32_e32 v53, v51
	v_cmp_gt_u64_e32 vcc, s[54:55], v[52:53]
	s_and_saveexec_b64 s[70:71], vcc
	s_cbranch_execz .LBB6_8124
; %bb.8117:                             ;   in Loop: Header=BB6_7023 Depth=3
	v_cmp_ne_u32_e32 vcc, 0, v7
	v_mov_b32_e32 v14, 0
	s_and_saveexec_b64 s[72:73], vcc
	s_cbranch_execz .LBB6_8123
; %bb.8118:                             ;   in Loop: Header=BB6_7023 Depth=3
	v_bfe_u32 v6, v7, 23, 8
	v_cmp_eq_u32_e32 vcc, 0, v6
	v_add_u32_e32 v7, 0xffffff81, v6
	v_cmp_gt_u32_e64 s[30:31], s38, v6
	v_sub_u32_e32 v6, 0x71, v6
	v_mov_b32_e32 v15, 0xffffff82
	v_cndmask_b32_e64 v6, 0, v6, s[30:31]
	v_cndmask_b32_e32 v49, v7, v15, vcc
	v_mov_b32_e32 v7, 0x70
	v_cndmask_b32_e32 v52, v6, v7, vcc
	v_add_u32_e32 v6, 21, v52
	v_or_b32_e32 v14, 0x800000, v50
	v_lshlrev_b64 v[6:7], v6, -1
	v_cndmask_b32_e32 v50, v14, v50, vcc
	v_not_b32_e32 v7, v7
	v_not_b32_e32 v6, v6
	v_add_u32_e32 v14, 20, v52
	v_and_b32_e32 v7, 0, v7
	v_and_b32_e32 v6, v50, v6
	v_lshlrev_b64 v[14:15], v14, 1
	v_cmp_eq_u64_e32 vcc, v[6:7], v[14:15]
	v_lshrrev_b64 v[6:7], v52, v[50:51]
	v_lshrrev_b32_e32 v14, 23, v6
	v_add3_u32 v49, v52, v49, v14
	v_bfe_u32 v14, v6, 21, 1
	v_add_u32_e32 v14, -1, v14
	v_cndmask_b32_e32 v14, 0, v14, vcc
	v_add_u32_e32 v14, v14, v6
	v_and_b32_e32 v14, 0x1fffff, v14
	v_add_co_u32_e32 v6, vcc, v14, v6
	v_add_u32_e32 v15, 14, v49
	v_addc_co_u32_e32 v7, vcc, 0, v7, vcc
	v_cmp_ne_u32_e32 vcc, 0, v15
                                        ; implicit-def: $vgpr14
	s_and_saveexec_b64 s[30:31], vcc
	s_xor_b64 s[30:31], exec, s[30:31]
; %bb.8119:                             ;   in Loop: Header=BB6_7023 Depth=3
	v_add_u32_e32 v14, 15, v49
	v_cmp_lt_u64_e32 vcc, s[56:57], v[6:7]
	v_cndmask_b32_e32 v14, v15, v14, vcc
	v_cndmask_b32_e64 v15, 0, 1, vcc
	v_lshrrev_b64 v[6:7], v15, v[6:7]
; %bb.8120:                             ;   in Loop: Header=BB6_7023 Depth=3
	s_andn2_saveexec_b64 vcc, s[30:31]
; %bb.8121:                             ;   in Loop: Header=BB6_7023 Depth=3
	v_bfe_u32 v14, v6, 23, 1
; %bb.8122:                             ;   in Loop: Header=BB6_7023 Depth=3
	s_or_b64 exec, exec, vcc
	v_lshrrev_b64 v[6:7], 21, v[6:7]
	v_cmp_gt_i32_e32 vcc, 32, v14
	v_cndmask_b32_e32 v7, 0, v7, vcc
	v_cndmask_b32_e32 v6, 3, v6, vcc
	v_cmp_eq_u64_e64 s[30:31], 0, v[6:7]
	v_min_i32_e32 v7, 31, v14
	v_cmp_eq_u32_e32 vcc, 0, v14
	v_lshlrev_b32_e32 v7, 2, v7
	v_and_or_b32 v6, v6, 3, v7
	s_and_b64 vcc, vcc, s[30:31]
	v_cndmask_b32_e64 v6, v6, 0, vcc
	v_or_b32_e32 v14, v6, v12
.LBB6_8123:                             ;   in Loop: Header=BB6_7023 Depth=3
	s_or_b64 exec, exec, s[72:73]
.LBB6_8124:                             ;   in Loop: Header=BB6_7023 Depth=3
	s_or_b64 exec, exec, s[70:71]
                                        ; implicit-def: $vgpr7
.LBB6_8125:                             ;   in Loop: Header=BB6_7023 Depth=3
	s_andn2_saveexec_b64 s[30:31], s[68:69]
; %bb.8126:                             ;   in Loop: Header=BB6_7023 Depth=3
	v_or_b32_sdwa v6, v7, s39 dst_sel:DWORD dst_unused:UNUSED_PAD src0_sel:BYTE_3 src1_sel:DWORD
	v_cmp_eq_u64_e32 vcc, 0, v[50:51]
	v_cndmask_b32_e32 v14, v6, v14, vcc
; %bb.8127:                             ;   in Loop: Header=BB6_7023 Depth=3
	s_or_b64 exec, exec, s[30:31]
	v_lshrrev_b32_e32 v12, 24, v1
	v_lshrrev_b32_e32 v6, 24, v9
	s_and_b64 vcc, exec, s[28:29]
	v_cmp_lt_u64_e64 s[30:31], s[42:43], v[0:1]
	s_cbranch_vccnz .LBB6_8145
; %bb.8128:                             ;   in Loop: Header=BB6_7023 Depth=3
	v_mov_b32_e32 v15, 0
	v_mov_b32_e32 v7, 0
	s_and_saveexec_b64 s[68:69], s[30:31]
	s_cbranch_execz .LBB6_8136
; %bb.8129:                             ;   in Loop: Header=BB6_7023 Depth=3
	v_cmp_ne_u32_e32 vcc, s97, v12
	v_bfrev_b32_e32 v7, 1
	s_and_saveexec_b64 s[70:71], vcc
	s_cbranch_execz .LBB6_8135
; %bb.8130:                             ;   in Loop: Header=BB6_7023 Depth=3
	v_and_b32_e32 v7, 0x7c000000, v1
	v_bfe_u32 v49, v1, 24, 2
	v_cmp_ne_u32_e32 vcc, s37, v7
                                        ; implicit-def: $vgpr7
	s_and_saveexec_b64 s[72:73], vcc
	s_xor_b64 s[72:73], exec, s[72:73]
	s_cbranch_execz .LBB6_8132
; %bb.8131:                             ;   in Loop: Header=BB6_7023 Depth=3
	v_ffbh_u32_e32 v50, v49
	v_bfe_u32 v7, v1, 26, 5
	v_min_u32_e32 v50, 32, v50
	v_subrev_u32_e32 v52, 29, v50
	v_sub_u32_e32 v50, 30, v50
	v_cmp_eq_u32_e32 vcc, 0, v7
	v_lshlrev_b64 v[52:53], v52, v[12:13]
	v_cndmask_b32_e32 v7, v7, v50, vcc
	v_bfrev_b32_e32 v50, 28
	v_and_b32_e32 v52, 3, v52
	v_lshl_add_u32 v7, v7, 23, v50
	v_cndmask_b32_e32 v49, v49, v52, vcc
	v_and_or_b32 v7, v1, s96, v7
	v_lshl_or_b32 v7, v49, 21, v7
                                        ; implicit-def: $vgpr49
.LBB6_8132:                             ;   in Loop: Header=BB6_7023 Depth=3
	s_andn2_saveexec_b64 s[72:73], s[72:73]
; %bb.8133:                             ;   in Loop: Header=BB6_7023 Depth=3
	v_cmp_lt_i64_e32 vcc, -1, v[0:1]
	v_mov_b32_e32 v7, 0xc7600000
	v_mov_b32_e32 v50, 0x47600000
	v_cndmask_b32_e32 v7, v7, v50, vcc
	v_cmp_eq_u32_e32 vcc, 0, v49
	v_mov_b32_e32 v49, 0x7f800001
	v_cndmask_b32_e32 v7, v49, v7, vcc
; %bb.8134:                             ;   in Loop: Header=BB6_7023 Depth=3
	s_or_b64 exec, exec, s[72:73]
.LBB6_8135:                             ;   in Loop: Header=BB6_7023 Depth=3
	s_or_b64 exec, exec, s[70:71]
.LBB6_8136:                             ;   in Loop: Header=BB6_7023 Depth=3
	s_or_b64 exec, exec, s[68:69]
	v_cmp_lt_u64_e32 vcc, s[42:43], v[8:9]
	s_and_saveexec_b64 s[68:69], vcc
	s_cbranch_execz .LBB6_8144
; %bb.8137:                             ;   in Loop: Header=BB6_7023 Depth=3
	v_cmp_ne_u32_e32 vcc, s97, v6
	v_bfrev_b32_e32 v15, 1
	s_and_saveexec_b64 s[70:71], vcc
	s_cbranch_execz .LBB6_8143
; %bb.8138:                             ;   in Loop: Header=BB6_7023 Depth=3
	v_and_b32_e32 v15, 0x7c000000, v9
	v_bfe_u32 v49, v9, 24, 2
	v_cmp_ne_u32_e32 vcc, s37, v15
                                        ; implicit-def: $vgpr15
	s_and_saveexec_b64 s[72:73], vcc
	s_xor_b64 s[72:73], exec, s[72:73]
	s_cbranch_execz .LBB6_8140
; %bb.8139:                             ;   in Loop: Header=BB6_7023 Depth=3
	v_ffbh_u32_e32 v50, v49
	v_bfe_u32 v15, v9, 26, 5
	v_min_u32_e32 v50, 32, v50
	v_subrev_u32_e32 v52, 29, v50
	v_sub_u32_e32 v50, 30, v50
	v_cmp_eq_u32_e32 vcc, 0, v15
	v_lshlrev_b64 v[52:53], v52, v[6:7]
	v_cndmask_b32_e32 v15, v15, v50, vcc
	v_bfrev_b32_e32 v50, 28
	v_and_b32_e32 v52, 3, v52
	v_lshl_add_u32 v15, v15, 23, v50
	v_cndmask_b32_e32 v49, v49, v52, vcc
	v_and_or_b32 v15, v9, s96, v15
	v_lshl_or_b32 v15, v49, 21, v15
                                        ; implicit-def: $vgpr49
.LBB6_8140:                             ;   in Loop: Header=BB6_7023 Depth=3
	s_andn2_saveexec_b64 s[72:73], s[72:73]
; %bb.8141:                             ;   in Loop: Header=BB6_7023 Depth=3
	v_cmp_lt_i64_e32 vcc, -1, v[8:9]
	v_mov_b32_e32 v15, 0xc7600000
	v_mov_b32_e32 v50, 0x47600000
	v_cndmask_b32_e32 v15, v15, v50, vcc
	v_cmp_eq_u32_e32 vcc, 0, v49
	v_mov_b32_e32 v49, 0x7f800001
	v_cndmask_b32_e32 v15, v49, v15, vcc
; %bb.8142:                             ;   in Loop: Header=BB6_7023 Depth=3
	s_or_b64 exec, exec, s[72:73]
.LBB6_8143:                             ;   in Loop: Header=BB6_7023 Depth=3
	s_or_b64 exec, exec, s[70:71]
.LBB6_8144:                             ;   in Loop: Header=BB6_7023 Depth=3
	s_or_b64 exec, exec, s[68:69]
	v_max_f32_e32 v15, v15, v15
	v_max_f32_e32 v7, v7, v7
	;; [unrolled: 1-line block ×3, first 2 shown]
	s_branch .LBB6_8163
.LBB6_8145:                             ;   in Loop: Header=BB6_7023 Depth=3
                                        ; implicit-def: $vgpr7
	s_cbranch_execz .LBB6_8163
; %bb.8146:                             ;   in Loop: Header=BB6_7023 Depth=3
	v_mov_b32_e32 v15, 0
	v_mov_b32_e32 v7, 0
	s_and_saveexec_b64 s[68:69], s[30:31]
	s_cbranch_execz .LBB6_8154
; %bb.8147:                             ;   in Loop: Header=BB6_7023 Depth=3
	v_cmp_ne_u32_e32 vcc, s97, v12
	v_bfrev_b32_e32 v7, 1
	s_and_saveexec_b64 s[30:31], vcc
	s_cbranch_execz .LBB6_8153
; %bb.8148:                             ;   in Loop: Header=BB6_7023 Depth=3
	v_and_b32_e32 v7, 0x7c000000, v1
	v_bfe_u32 v49, v1, 24, 2
	v_cmp_ne_u32_e32 vcc, s37, v7
                                        ; implicit-def: $vgpr7
	s_and_saveexec_b64 s[70:71], vcc
	s_xor_b64 s[70:71], exec, s[70:71]
	s_cbranch_execz .LBB6_8150
; %bb.8149:                             ;   in Loop: Header=BB6_7023 Depth=3
	v_ffbh_u32_e32 v7, v49
	v_min_u32_e32 v7, 32, v7
	v_subrev_u32_e32 v50, 29, v7
	v_bfe_u32 v0, v1, 26, 5
	v_lshlrev_b64 v[52:53], v50, v[12:13]
	v_sub_u32_e32 v7, 30, v7
	v_and_b32_e32 v12, 3, v52
	v_cmp_eq_u32_e32 vcc, 0, v0
	v_cndmask_b32_e32 v0, v0, v7, vcc
	v_cndmask_b32_e32 v7, v49, v12, vcc
	v_bfrev_b32_e32 v12, 28
	v_lshl_add_u32 v0, v0, 23, v12
	v_and_or_b32 v0, v1, s96, v0
	v_lshl_or_b32 v7, v7, 21, v0
                                        ; implicit-def: $vgpr49
.LBB6_8150:                             ;   in Loop: Header=BB6_7023 Depth=3
	s_andn2_saveexec_b64 s[70:71], s[70:71]
; %bb.8151:                             ;   in Loop: Header=BB6_7023 Depth=3
	v_cmp_lt_i64_e32 vcc, -1, v[0:1]
	v_mov_b32_e32 v0, 0xc7600000
	v_mov_b32_e32 v1, 0x47600000
	v_cndmask_b32_e32 v0, v0, v1, vcc
	v_cmp_eq_u32_e32 vcc, 0, v49
	v_mov_b32_e32 v1, 0x7f800001
	v_cndmask_b32_e32 v7, v1, v0, vcc
; %bb.8152:                             ;   in Loop: Header=BB6_7023 Depth=3
	s_or_b64 exec, exec, s[70:71]
.LBB6_8153:                             ;   in Loop: Header=BB6_7023 Depth=3
	s_or_b64 exec, exec, s[30:31]
.LBB6_8154:                             ;   in Loop: Header=BB6_7023 Depth=3
	s_or_b64 exec, exec, s[68:69]
	v_cmp_lt_u64_e32 vcc, s[42:43], v[8:9]
	s_and_saveexec_b64 s[30:31], vcc
	s_cbranch_execz .LBB6_8162
; %bb.8155:                             ;   in Loop: Header=BB6_7023 Depth=3
	v_cmp_ne_u32_e32 vcc, s97, v6
	v_bfrev_b32_e32 v15, 1
	s_and_saveexec_b64 s[68:69], vcc
	s_cbranch_execz .LBB6_8161
; %bb.8156:                             ;   in Loop: Header=BB6_7023 Depth=3
	v_and_b32_e32 v1, 0x7c000000, v9
	v_bfe_u32 v0, v9, 24, 2
	v_cmp_ne_u32_e32 vcc, s37, v1
                                        ; implicit-def: $vgpr15
	s_and_saveexec_b64 s[70:71], vcc
	s_xor_b64 s[70:71], exec, s[70:71]
	s_cbranch_execz .LBB6_8158
; %bb.8157:                             ;   in Loop: Header=BB6_7023 Depth=3
	v_ffbh_u32_e32 v8, v0
	v_min_u32_e32 v8, 32, v8
	v_bfe_u32 v1, v9, 26, 5
	v_subrev_u32_e32 v12, 29, v8
	v_lshlrev_b64 v[52:53], v12, v[6:7]
	v_sub_u32_e32 v6, 30, v8
	v_cmp_eq_u32_e32 vcc, 0, v1
	v_cndmask_b32_e32 v1, v1, v6, vcc
	v_bfrev_b32_e32 v6, 28
	v_and_b32_e32 v8, 3, v52
	v_lshl_add_u32 v1, v1, 23, v6
	v_cndmask_b32_e32 v0, v0, v8, vcc
	v_and_or_b32 v1, v9, s96, v1
	v_lshl_or_b32 v15, v0, 21, v1
                                        ; implicit-def: $vgpr0
.LBB6_8158:                             ;   in Loop: Header=BB6_7023 Depth=3
	s_andn2_saveexec_b64 s[70:71], s[70:71]
; %bb.8159:                             ;   in Loop: Header=BB6_7023 Depth=3
	v_cmp_lt_i64_e32 vcc, -1, v[8:9]
	v_mov_b32_e32 v1, 0xc7600000
	v_mov_b32_e32 v6, 0x47600000
	v_cndmask_b32_e32 v1, v1, v6, vcc
	v_cmp_eq_u32_e32 vcc, 0, v0
	v_mov_b32_e32 v0, 0x7f800001
	v_cndmask_b32_e32 v15, v0, v1, vcc
; %bb.8160:                             ;   in Loop: Header=BB6_7023 Depth=3
	s_or_b64 exec, exec, s[70:71]
.LBB6_8161:                             ;   in Loop: Header=BB6_7023 Depth=3
	s_or_b64 exec, exec, s[68:69]
.LBB6_8162:                             ;   in Loop: Header=BB6_7023 Depth=3
	s_or_b64 exec, exec, s[30:31]
	v_max_f32_e32 v0, v15, v15
	v_max_f32_e32 v1, v7, v7
	v_min_f32_e32 v7, v1, v0
.LBB6_8163:                             ;   in Loop: Header=BB6_7023 Depth=3
	v_and_b32_sdwa v6, v7, s97 dst_sel:DWORD dst_unused:UNUSED_PAD src0_sel:BYTE_3 src1_sel:DWORD
	v_and_b32_e32 v0, 0x7f800000, v7
	v_mov_b32_e32 v1, v51
	v_and_b32_e32 v50, 0x7fffff, v7
	v_or_b32_e32 v12, 0x7b, v6
	v_cmp_ne_u64_e32 vcc, s[52:53], v[0:1]
	s_and_saveexec_b64 s[30:31], vcc
	s_xor_b64 s[68:69], exec, s[30:31]
	s_cbranch_execz .LBB6_8191
; %bb.8164:                             ;   in Loop: Header=BB6_7023 Depth=3
	v_and_b32_e32 v0, 0x7fffffff, v7
	v_mov_b32_e32 v1, v51
	v_cmp_gt_u64_e32 vcc, s[54:55], v[0:1]
	s_and_saveexec_b64 s[70:71], vcc
	s_cbranch_execz .LBB6_8172
; %bb.8165:                             ;   in Loop: Header=BB6_7023 Depth=3
	v_cmp_ne_u32_e32 vcc, 0, v7
	v_mov_b32_e32 v12, 0
	s_and_saveexec_b64 s[72:73], vcc
	s_cbranch_execz .LBB6_8171
; %bb.8166:                             ;   in Loop: Header=BB6_7023 Depth=3
	v_bfe_u32 v0, v7, 23, 8
	v_cmp_eq_u32_e32 vcc, 0, v0
	v_add_u32_e32 v1, 0xffffff81, v0
	v_cmp_gt_u32_e64 s[30:31], s38, v0
	v_sub_u32_e32 v0, 0x71, v0
	v_mov_b32_e32 v8, 0xffffff82
	v_cndmask_b32_e64 v0, 0, v0, s[30:31]
	v_cndmask_b32_e32 v12, v1, v8, vcc
	v_mov_b32_e32 v1, 0x70
	v_cndmask_b32_e32 v15, v0, v1, vcc
	v_add_u32_e32 v0, 21, v15
	v_or_b32_e32 v7, 0x800000, v50
	v_lshlrev_b64 v[0:1], v0, -1
	v_cndmask_b32_e32 v50, v7, v50, vcc
	v_not_b32_e32 v1, v1
	v_not_b32_e32 v0, v0
	v_add_u32_e32 v7, 20, v15
	v_and_b32_e32 v1, 0, v1
	v_and_b32_e32 v0, v50, v0
	v_lshlrev_b64 v[8:9], v7, 1
	v_cmp_eq_u64_e32 vcc, v[0:1], v[8:9]
	v_lshrrev_b64 v[0:1], v15, v[50:51]
	v_lshrrev_b32_e32 v7, 23, v0
	v_add3_u32 v9, v15, v12, v7
	v_bfe_u32 v7, v0, 21, 1
	v_add_u32_e32 v7, -1, v7
	v_cndmask_b32_e32 v7, 0, v7, vcc
	v_add_u32_e32 v7, v7, v0
	v_and_b32_e32 v7, 0x1fffff, v7
	v_add_co_u32_e32 v0, vcc, v7, v0
	v_add_u32_e32 v8, 14, v9
	v_addc_co_u32_e32 v1, vcc, 0, v1, vcc
	v_cmp_ne_u32_e32 vcc, 0, v8
                                        ; implicit-def: $vgpr7
	s_and_saveexec_b64 s[30:31], vcc
	s_xor_b64 s[30:31], exec, s[30:31]
; %bb.8167:                             ;   in Loop: Header=BB6_7023 Depth=3
	v_add_u32_e32 v7, 15, v9
	v_cmp_lt_u64_e32 vcc, s[56:57], v[0:1]
	v_cndmask_b32_e32 v7, v8, v7, vcc
	v_cndmask_b32_e64 v8, 0, 1, vcc
	v_lshrrev_b64 v[0:1], v8, v[0:1]
; %bb.8168:                             ;   in Loop: Header=BB6_7023 Depth=3
	s_andn2_saveexec_b64 vcc, s[30:31]
; %bb.8169:                             ;   in Loop: Header=BB6_7023 Depth=3
	v_bfe_u32 v7, v0, 23, 1
; %bb.8170:                             ;   in Loop: Header=BB6_7023 Depth=3
	s_or_b64 exec, exec, vcc
	v_lshrrev_b64 v[0:1], 21, v[0:1]
	v_cmp_gt_i32_e32 vcc, 32, v7
	v_cndmask_b32_e32 v1, 0, v1, vcc
	v_cndmask_b32_e32 v0, 3, v0, vcc
	v_cmp_eq_u64_e64 s[30:31], 0, v[0:1]
	v_min_i32_e32 v1, 31, v7
	v_lshlrev_b32_e32 v1, 2, v1
	v_cmp_eq_u32_e32 vcc, 0, v7
	v_and_b32_e32 v1, 0xfc, v1
	v_and_or_b32 v0, v0, 3, v1
	s_and_b64 vcc, vcc, s[30:31]
	v_cndmask_b32_e64 v0, v0, 0, vcc
	v_or_b32_e32 v12, v0, v6
.LBB6_8171:                             ;   in Loop: Header=BB6_7023 Depth=3
	s_or_b64 exec, exec, s[72:73]
.LBB6_8172:                             ;   in Loop: Header=BB6_7023 Depth=3
	s_or_b64 exec, exec, s[70:71]
                                        ; implicit-def: $vgpr7
	s_andn2_saveexec_b64 s[30:31], s[68:69]
	s_cbranch_execnz .LBB6_8192
.LBB6_8173:                             ;   in Loop: Header=BB6_7023 Depth=3
	s_or_b64 exec, exec, s[30:31]
	s_and_b64 vcc, exec, s[28:29]
	v_cmp_ne_u16_sdwa s[30:31], v2, v51 src0_sel:BYTE_0 src1_sel:DWORD
	s_cbranch_vccnz .LBB6_8193
.LBB6_8174:                             ;   in Loop: Header=BB6_7023 Depth=3
	v_mov_b32_e32 v1, 0
	v_mov_b32_e32 v0, 0
	s_and_saveexec_b64 s[68:69], s[30:31]
	s_cbranch_execz .LBB6_8182
; %bb.8175:                             ;   in Loop: Header=BB6_7023 Depth=3
	v_cmp_ne_u16_sdwa vcc, sext(v2), s94 src0_sel:BYTE_0 src1_sel:DWORD
	v_bfrev_b32_e32 v0, 1
	s_and_saveexec_b64 s[70:71], vcc
	s_cbranch_execz .LBB6_8181
; %bb.8176:                             ;   in Loop: Header=BB6_7023 Depth=3
	v_and_b32_e32 v0, 0x7c, v2
	v_and_b32_e32 v6, 3, v2
	v_cmp_ne_u32_e32 vcc, s95, v0
                                        ; implicit-def: $vgpr0
	s_and_saveexec_b64 s[72:73], vcc
	s_xor_b64 s[72:73], exec, s[72:73]
	s_cbranch_execz .LBB6_8178
; %bb.8177:                             ;   in Loop: Header=BB6_7023 Depth=3
	v_ffbh_u32_e32 v7, v6
	v_min_u32_e32 v7, 32, v7
	v_subrev_u32_e32 v8, 29, v7
	v_bfe_u32 v0, v2, 2, 5
	v_lshlrev_b64 v[8:9], v8, v[2:3]
	v_sub_u32_e32 v7, 30, v7
	v_and_b32_e32 v8, 3, v8
	v_cmp_eq_u32_e32 vcc, 0, v0
	v_cndmask_b32_e32 v0, v0, v7, vcc
	v_cndmask_b32_e32 v6, v6, v8, vcc
	v_bfrev_b32_e32 v8, 28
	v_lshlrev_b32_e32 v7, 24, v2
	v_lshl_add_u32 v0, v0, 23, v8
	v_and_or_b32 v0, v7, s96, v0
	v_lshl_or_b32 v0, v6, 21, v0
                                        ; implicit-def: $vgpr6
.LBB6_8178:                             ;   in Loop: Header=BB6_7023 Depth=3
	s_andn2_saveexec_b64 s[72:73], s[72:73]
; %bb.8179:                             ;   in Loop: Header=BB6_7023 Depth=3
	v_mov_b32_e32 v0, -1
	v_cmp_gt_i16_sdwa vcc, sext(v2), v0 src0_sel:BYTE_0 src1_sel:DWORD
	v_mov_b32_e32 v0, 0xc7600000
	v_mov_b32_e32 v7, 0x47600000
	v_cndmask_b32_e32 v0, v0, v7, vcc
	v_cmp_eq_u32_e32 vcc, 0, v6
	v_mov_b32_e32 v6, 0x7f800001
	v_cndmask_b32_e32 v0, v6, v0, vcc
; %bb.8180:                             ;   in Loop: Header=BB6_7023 Depth=3
	s_or_b64 exec, exec, s[72:73]
.LBB6_8181:                             ;   in Loop: Header=BB6_7023 Depth=3
	s_or_b64 exec, exec, s[70:71]
.LBB6_8182:                             ;   in Loop: Header=BB6_7023 Depth=3
	s_or_b64 exec, exec, s[68:69]
	v_cmp_ne_u16_sdwa vcc, sext(v10), v51 src0_sel:BYTE_0 src1_sel:DWORD
	s_and_saveexec_b64 s[68:69], vcc
	s_cbranch_execz .LBB6_8190
; %bb.8183:                             ;   in Loop: Header=BB6_7023 Depth=3
	v_cmp_ne_u16_sdwa vcc, sext(v10), s94 src0_sel:BYTE_0 src1_sel:DWORD
	v_bfrev_b32_e32 v1, 1
	s_and_saveexec_b64 s[70:71], vcc
	s_cbranch_execz .LBB6_8189
; %bb.8184:                             ;   in Loop: Header=BB6_7023 Depth=3
	v_and_b32_e32 v1, 0x7c, v10
	v_and_b32_e32 v6, 3, v10
	v_cmp_ne_u32_e32 vcc, s95, v1
                                        ; implicit-def: $vgpr1
	s_and_saveexec_b64 s[72:73], vcc
	s_xor_b64 s[72:73], exec, s[72:73]
	s_cbranch_execz .LBB6_8186
; %bb.8185:                             ;   in Loop: Header=BB6_7023 Depth=3
	v_ffbh_u32_e32 v7, v6
	v_min_u32_e32 v7, 32, v7
	v_subrev_u32_e32 v8, 29, v7
	v_bfe_u32 v1, v10, 2, 5
	v_lshlrev_b64 v[8:9], v8, v[10:11]
	v_sub_u32_e32 v7, 30, v7
	v_and_b32_e32 v8, 3, v8
	v_cmp_eq_u32_e32 vcc, 0, v1
	v_cndmask_b32_e32 v1, v1, v7, vcc
	v_cndmask_b32_e32 v6, v6, v8, vcc
	v_bfrev_b32_e32 v8, 28
	v_lshlrev_b32_e32 v7, 24, v10
	v_lshl_add_u32 v1, v1, 23, v8
	v_and_or_b32 v1, v7, s96, v1
	v_lshl_or_b32 v1, v6, 21, v1
                                        ; implicit-def: $vgpr6
.LBB6_8186:                             ;   in Loop: Header=BB6_7023 Depth=3
	s_andn2_saveexec_b64 s[72:73], s[72:73]
; %bb.8187:                             ;   in Loop: Header=BB6_7023 Depth=3
	v_mov_b32_e32 v1, -1
	v_cmp_gt_i16_sdwa vcc, sext(v10), v1 src0_sel:BYTE_0 src1_sel:DWORD
	v_mov_b32_e32 v1, 0xc7600000
	v_mov_b32_e32 v7, 0x47600000
	v_cndmask_b32_e32 v1, v1, v7, vcc
	v_cmp_eq_u32_e32 vcc, 0, v6
	v_mov_b32_e32 v6, 0x7f800001
	v_cndmask_b32_e32 v1, v6, v1, vcc
; %bb.8188:                             ;   in Loop: Header=BB6_7023 Depth=3
	s_or_b64 exec, exec, s[72:73]
.LBB6_8189:                             ;   in Loop: Header=BB6_7023 Depth=3
	s_or_b64 exec, exec, s[70:71]
.LBB6_8190:                             ;   in Loop: Header=BB6_7023 Depth=3
	s_or_b64 exec, exec, s[68:69]
	v_max_f32_e32 v1, v1, v1
	v_max_f32_e32 v0, v0, v0
	;; [unrolled: 1-line block ×3, first 2 shown]
	s_branch .LBB6_8211
.LBB6_8191:                             ;   in Loop: Header=BB6_7023 Depth=3
	s_andn2_saveexec_b64 s[30:31], s[68:69]
	s_cbranch_execz .LBB6_8173
.LBB6_8192:                             ;   in Loop: Header=BB6_7023 Depth=3
	v_or_b32_sdwa v0, v7, s39 dst_sel:DWORD dst_unused:UNUSED_PAD src0_sel:BYTE_3 src1_sel:DWORD
	v_cmp_eq_u64_e32 vcc, 0, v[50:51]
	v_cndmask_b32_e32 v12, v0, v12, vcc
	s_or_b64 exec, exec, s[30:31]
	s_and_b64 vcc, exec, s[28:29]
	v_cmp_ne_u16_sdwa s[30:31], v2, v51 src0_sel:BYTE_0 src1_sel:DWORD
	s_cbranch_vccz .LBB6_8174
.LBB6_8193:                             ;   in Loop: Header=BB6_7023 Depth=3
                                        ; implicit-def: $vgpr0
	s_cbranch_execz .LBB6_8211
; %bb.8194:                             ;   in Loop: Header=BB6_7023 Depth=3
	v_mov_b32_e32 v1, 0
	v_mov_b32_e32 v0, 0
	s_and_saveexec_b64 s[68:69], s[30:31]
	s_cbranch_execz .LBB6_8202
; %bb.8195:                             ;   in Loop: Header=BB6_7023 Depth=3
	v_cmp_ne_u16_sdwa vcc, sext(v2), s94 src0_sel:BYTE_0 src1_sel:DWORD
	v_bfrev_b32_e32 v0, 1
	s_and_saveexec_b64 s[30:31], vcc
	s_cbranch_execz .LBB6_8201
; %bb.8196:                             ;   in Loop: Header=BB6_7023 Depth=3
	v_and_b32_e32 v0, 0x7c, v2
	v_and_b32_e32 v6, 3, v2
	v_cmp_ne_u32_e32 vcc, s95, v0
                                        ; implicit-def: $vgpr0
	s_and_saveexec_b64 s[70:71], vcc
	s_xor_b64 s[70:71], exec, s[70:71]
	s_cbranch_execz .LBB6_8198
; %bb.8197:                             ;   in Loop: Header=BB6_7023 Depth=3
	v_ffbh_u32_e32 v7, v6
	v_min_u32_e32 v7, 32, v7
	v_subrev_u32_e32 v8, 29, v7
	v_bfe_u32 v0, v2, 2, 5
	v_lshlrev_b64 v[8:9], v8, v[2:3]
	v_sub_u32_e32 v7, 30, v7
	v_and_b32_e32 v8, 3, v8
	v_cmp_eq_u32_e32 vcc, 0, v0
	v_cndmask_b32_e32 v0, v0, v7, vcc
	v_cndmask_b32_e32 v6, v6, v8, vcc
	v_bfrev_b32_e32 v8, 28
	v_lshlrev_b32_e32 v7, 24, v2
	v_lshl_add_u32 v0, v0, 23, v8
	v_and_or_b32 v0, v7, s96, v0
	v_lshl_or_b32 v0, v6, 21, v0
                                        ; implicit-def: $vgpr6
.LBB6_8198:                             ;   in Loop: Header=BB6_7023 Depth=3
	s_andn2_saveexec_b64 s[70:71], s[70:71]
; %bb.8199:                             ;   in Loop: Header=BB6_7023 Depth=3
	v_mov_b32_e32 v0, -1
	v_cmp_gt_i16_sdwa vcc, sext(v2), v0 src0_sel:BYTE_0 src1_sel:DWORD
	v_mov_b32_e32 v0, 0xc7600000
	v_mov_b32_e32 v7, 0x47600000
	v_cndmask_b32_e32 v0, v0, v7, vcc
	v_cmp_eq_u32_e32 vcc, 0, v6
	v_mov_b32_e32 v6, 0x7f800001
	v_cndmask_b32_e32 v0, v6, v0, vcc
; %bb.8200:                             ;   in Loop: Header=BB6_7023 Depth=3
	s_or_b64 exec, exec, s[70:71]
.LBB6_8201:                             ;   in Loop: Header=BB6_7023 Depth=3
	s_or_b64 exec, exec, s[30:31]
.LBB6_8202:                             ;   in Loop: Header=BB6_7023 Depth=3
	s_or_b64 exec, exec, s[68:69]
	v_cmp_ne_u16_sdwa vcc, sext(v10), v51 src0_sel:BYTE_0 src1_sel:DWORD
	s_and_saveexec_b64 s[30:31], vcc
	s_cbranch_execz .LBB6_8210
; %bb.8203:                             ;   in Loop: Header=BB6_7023 Depth=3
	v_cmp_ne_u16_sdwa vcc, sext(v10), s94 src0_sel:BYTE_0 src1_sel:DWORD
	v_bfrev_b32_e32 v1, 1
	s_and_saveexec_b64 s[68:69], vcc
	s_cbranch_execz .LBB6_8209
; %bb.8204:                             ;   in Loop: Header=BB6_7023 Depth=3
	v_and_b32_e32 v1, 0x7c, v10
	v_and_b32_e32 v6, 3, v10
	v_cmp_ne_u32_e32 vcc, s95, v1
                                        ; implicit-def: $vgpr1
	s_and_saveexec_b64 s[70:71], vcc
	s_xor_b64 s[70:71], exec, s[70:71]
	s_cbranch_execz .LBB6_8206
; %bb.8205:                             ;   in Loop: Header=BB6_7023 Depth=3
	v_ffbh_u32_e32 v7, v6
	v_min_u32_e32 v7, 32, v7
	v_subrev_u32_e32 v8, 29, v7
	v_bfe_u32 v1, v10, 2, 5
	v_lshlrev_b64 v[8:9], v8, v[10:11]
	v_sub_u32_e32 v7, 30, v7
	v_and_b32_e32 v8, 3, v8
	v_cmp_eq_u32_e32 vcc, 0, v1
	v_cndmask_b32_e32 v1, v1, v7, vcc
	v_cndmask_b32_e32 v6, v6, v8, vcc
	v_bfrev_b32_e32 v8, 28
	v_lshlrev_b32_e32 v7, 24, v10
	v_lshl_add_u32 v1, v1, 23, v8
	v_and_or_b32 v1, v7, s96, v1
	v_lshl_or_b32 v1, v6, 21, v1
                                        ; implicit-def: $vgpr6
.LBB6_8206:                             ;   in Loop: Header=BB6_7023 Depth=3
	s_andn2_saveexec_b64 s[70:71], s[70:71]
; %bb.8207:                             ;   in Loop: Header=BB6_7023 Depth=3
	v_mov_b32_e32 v1, -1
	v_cmp_gt_i16_sdwa vcc, sext(v10), v1 src0_sel:BYTE_0 src1_sel:DWORD
	v_mov_b32_e32 v1, 0xc7600000
	v_mov_b32_e32 v7, 0x47600000
	v_cndmask_b32_e32 v1, v1, v7, vcc
	v_cmp_eq_u32_e32 vcc, 0, v6
	v_mov_b32_e32 v6, 0x7f800001
	v_cndmask_b32_e32 v1, v6, v1, vcc
; %bb.8208:                             ;   in Loop: Header=BB6_7023 Depth=3
	s_or_b64 exec, exec, s[70:71]
.LBB6_8209:                             ;   in Loop: Header=BB6_7023 Depth=3
	s_or_b64 exec, exec, s[68:69]
.LBB6_8210:                             ;   in Loop: Header=BB6_7023 Depth=3
	s_or_b64 exec, exec, s[30:31]
	v_max_f32_e32 v1, v1, v1
	v_max_f32_e32 v0, v0, v0
	v_min_f32_e32 v0, v0, v1
.LBB6_8211:                             ;   in Loop: Header=BB6_7023 Depth=3
	v_and_b32_sdwa v6, v0, s97 dst_sel:DWORD dst_unused:UNUSED_PAD src0_sel:BYTE_3 src1_sel:DWORD
	v_and_b32_e32 v8, 0x7f800000, v0
	v_mov_b32_e32 v9, v51
	v_and_b32_e32 v50, 0x7fffff, v0
	v_or_b32_e32 v15, 0x7b, v6
	v_cmp_ne_u64_e32 vcc, s[52:53], v[8:9]
	s_and_saveexec_b64 s[30:31], vcc
	s_xor_b64 s[68:69], exec, s[30:31]
	s_cbranch_execz .LBB6_8221
; %bb.8212:                             ;   in Loop: Header=BB6_7023 Depth=3
	v_and_b32_e32 v8, 0x7fffffff, v0
	v_mov_b32_e32 v9, v51
	v_cmp_gt_u64_e32 vcc, s[54:55], v[8:9]
	s_and_saveexec_b64 s[70:71], vcc
	s_cbranch_execz .LBB6_8220
; %bb.8213:                             ;   in Loop: Header=BB6_7023 Depth=3
	v_cmp_ne_u32_e32 vcc, 0, v0
	v_mov_b32_e32 v15, 0
	s_and_saveexec_b64 s[72:73], vcc
	s_cbranch_execz .LBB6_8219
; %bb.8214:                             ;   in Loop: Header=BB6_7023 Depth=3
	v_bfe_u32 v0, v0, 23, 8
	v_cmp_eq_u32_e32 vcc, 0, v0
	v_add_u32_e32 v1, 0xffffff81, v0
	v_cmp_gt_u32_e64 s[30:31], s38, v0
	v_sub_u32_e32 v0, 0x71, v0
	v_mov_b32_e32 v8, 0xffffff82
	v_cndmask_b32_e64 v0, 0, v0, s[30:31]
	v_cndmask_b32_e32 v15, v1, v8, vcc
	v_mov_b32_e32 v1, 0x70
	v_cndmask_b32_e32 v49, v0, v1, vcc
	v_add_u32_e32 v0, 21, v49
	v_or_b32_e32 v7, 0x800000, v50
	v_lshlrev_b64 v[0:1], v0, -1
	v_cndmask_b32_e32 v50, v7, v50, vcc
	v_not_b32_e32 v1, v1
	v_not_b32_e32 v0, v0
	v_add_u32_e32 v7, 20, v49
	v_and_b32_e32 v1, 0, v1
	v_and_b32_e32 v0, v50, v0
	v_lshlrev_b64 v[8:9], v7, 1
	v_cmp_eq_u64_e32 vcc, v[0:1], v[8:9]
	v_lshrrev_b64 v[0:1], v49, v[50:51]
	v_lshrrev_b32_e32 v7, 23, v0
	v_add3_u32 v9, v49, v15, v7
	v_bfe_u32 v7, v0, 21, 1
	v_add_u32_e32 v7, -1, v7
	v_cndmask_b32_e32 v7, 0, v7, vcc
	v_add_u32_e32 v7, v7, v0
	v_and_b32_e32 v7, 0x1fffff, v7
	v_add_co_u32_e32 v0, vcc, v7, v0
	v_add_u32_e32 v8, 14, v9
	v_addc_co_u32_e32 v1, vcc, 0, v1, vcc
	v_cmp_ne_u32_e32 vcc, 0, v8
                                        ; implicit-def: $vgpr7
	s_and_saveexec_b64 s[30:31], vcc
	s_xor_b64 s[30:31], exec, s[30:31]
; %bb.8215:                             ;   in Loop: Header=BB6_7023 Depth=3
	v_add_u32_e32 v7, 15, v9
	v_cmp_lt_u64_e32 vcc, s[56:57], v[0:1]
	v_cndmask_b32_e32 v7, v8, v7, vcc
	v_cndmask_b32_e64 v8, 0, 1, vcc
	v_lshrrev_b64 v[0:1], v8, v[0:1]
; %bb.8216:                             ;   in Loop: Header=BB6_7023 Depth=3
	s_andn2_saveexec_b64 vcc, s[30:31]
; %bb.8217:                             ;   in Loop: Header=BB6_7023 Depth=3
	v_bfe_u32 v7, v0, 23, 1
; %bb.8218:                             ;   in Loop: Header=BB6_7023 Depth=3
	s_or_b64 exec, exec, vcc
	v_lshrrev_b64 v[0:1], 21, v[0:1]
	v_cmp_gt_i32_e32 vcc, 32, v7
	v_cndmask_b32_e32 v1, 0, v1, vcc
	v_cndmask_b32_e32 v0, 3, v0, vcc
	v_cmp_eq_u64_e64 s[30:31], 0, v[0:1]
	v_min_i32_e32 v1, 31, v7
	v_cmp_eq_u32_e32 vcc, 0, v7
	v_lshlrev_b32_e32 v1, 2, v1
	v_and_or_b32 v0, v0, 3, v1
	s_and_b64 vcc, vcc, s[30:31]
	v_cndmask_b32_e64 v0, v0, 0, vcc
	v_or_b32_e32 v15, v0, v6
.LBB6_8219:                             ;   in Loop: Header=BB6_7023 Depth=3
	s_or_b64 exec, exec, s[72:73]
.LBB6_8220:                             ;   in Loop: Header=BB6_7023 Depth=3
	s_or_b64 exec, exec, s[70:71]
                                        ; implicit-def: $vgpr0
.LBB6_8221:                             ;   in Loop: Header=BB6_7023 Depth=3
	s_andn2_saveexec_b64 s[30:31], s[68:69]
; %bb.8222:                             ;   in Loop: Header=BB6_7023 Depth=3
	v_or_b32_sdwa v0, v0, s39 dst_sel:DWORD dst_unused:UNUSED_PAD src0_sel:BYTE_3 src1_sel:DWORD
	v_cmp_eq_u64_e32 vcc, 0, v[50:51]
	v_cndmask_b32_e32 v15, v0, v15, vcc
; %bb.8223:                             ;   in Loop: Header=BB6_7023 Depth=3
	s_or_b64 exec, exec, s[30:31]
	v_lshrrev_b16_e32 v50, 8, v2
	v_lshrrev_b16_e32 v0, 8, v10
	s_and_b64 vcc, exec, s[28:29]
	v_cmp_ne_u16_e64 s[30:31], 0, v50
	s_cbranch_vccnz .LBB6_8241
; %bb.8224:                             ;   in Loop: Header=BB6_7023 Depth=3
	v_mov_b32_e32 v1, 0
	v_mov_b32_e32 v6, 0
	s_and_saveexec_b64 s[68:69], s[30:31]
	s_cbranch_execz .LBB6_8232
; %bb.8225:                             ;   in Loop: Header=BB6_7023 Depth=3
	v_cmp_ne_u16_e32 vcc, s97, v50
	v_bfrev_b32_e32 v6, 1
	s_and_saveexec_b64 s[70:71], vcc
	s_cbranch_execz .LBB6_8231
; %bb.8226:                             ;   in Loop: Header=BB6_7023 Depth=3
	v_and_b32_e32 v6, 0x7c, v50
	v_and_b32_e32 v7, 3, v50
	v_cmp_ne_u32_e32 vcc, s95, v6
                                        ; implicit-def: $vgpr6
	s_and_saveexec_b64 s[72:73], vcc
	s_xor_b64 s[72:73], exec, s[72:73]
	s_cbranch_execz .LBB6_8228
; %bb.8227:                             ;   in Loop: Header=BB6_7023 Depth=3
	v_ffbh_u32_e32 v8, v7
	v_min_u32_e32 v49, 32, v8
	v_subrev_u32_e32 v8, 29, v49
	v_bfe_u32 v6, v50, 2, 5
	v_lshlrev_b64 v[8:9], v8, v[50:51]
	v_sub_u32_e32 v9, 30, v49
	v_cmp_eq_u32_e32 vcc, 0, v6
	v_and_b32_e32 v8, 3, v8
	v_cndmask_b32_e32 v6, v6, v9, vcc
	v_bfrev_b32_e32 v9, 28
	v_cndmask_b32_e32 v7, v7, v8, vcc
	v_lshlrev_b32_e32 v8, 16, v2
	v_lshl_add_u32 v6, v6, 23, v9
	v_and_or_b32 v6, v8, s96, v6
	v_lshl_or_b32 v6, v7, 21, v6
                                        ; implicit-def: $vgpr7
.LBB6_8228:                             ;   in Loop: Header=BB6_7023 Depth=3
	s_andn2_saveexec_b64 s[72:73], s[72:73]
; %bb.8229:                             ;   in Loop: Header=BB6_7023 Depth=3
	v_cmp_lt_i16_e32 vcc, -1, v2
	v_mov_b32_e32 v6, 0xc7600000
	v_mov_b32_e32 v8, 0x47600000
	v_cndmask_b32_e32 v6, v6, v8, vcc
	v_cmp_eq_u32_e32 vcc, 0, v7
	v_mov_b32_e32 v7, 0x7f800001
	v_cndmask_b32_e32 v6, v7, v6, vcc
; %bb.8230:                             ;   in Loop: Header=BB6_7023 Depth=3
	s_or_b64 exec, exec, s[72:73]
.LBB6_8231:                             ;   in Loop: Header=BB6_7023 Depth=3
	s_or_b64 exec, exec, s[70:71]
.LBB6_8232:                             ;   in Loop: Header=BB6_7023 Depth=3
	s_or_b64 exec, exec, s[68:69]
	v_cmp_ne_u16_e32 vcc, 0, v0
	s_and_saveexec_b64 s[68:69], vcc
	s_cbranch_execz .LBB6_8240
; %bb.8233:                             ;   in Loop: Header=BB6_7023 Depth=3
	v_cmp_ne_u16_e32 vcc, s97, v0
	v_bfrev_b32_e32 v1, 1
	s_and_saveexec_b64 s[70:71], vcc
	s_cbranch_execz .LBB6_8239
; %bb.8234:                             ;   in Loop: Header=BB6_7023 Depth=3
	v_and_b32_e32 v1, 0x7c, v0
	v_and_b32_e32 v7, 3, v0
	v_cmp_ne_u32_e32 vcc, s95, v1
                                        ; implicit-def: $vgpr1
	s_and_saveexec_b64 s[72:73], vcc
	s_xor_b64 s[72:73], exec, s[72:73]
	s_cbranch_execz .LBB6_8236
; %bb.8235:                             ;   in Loop: Header=BB6_7023 Depth=3
	v_ffbh_u32_e32 v8, v7
	v_min_u32_e32 v52, 32, v8
	v_mov_b32_e32 v1, v51
	v_bfe_u32 v49, v0, 2, 5
	v_subrev_u32_e32 v8, 29, v52
	v_lshlrev_b64 v[8:9], v8, v[0:1]
	v_sub_u32_e32 v1, 30, v52
	v_cmp_eq_u32_e32 vcc, 0, v49
	v_and_b32_e32 v8, 3, v8
	v_cndmask_b32_e32 v1, v49, v1, vcc
	v_bfrev_b32_e32 v9, 28
	v_cndmask_b32_e32 v7, v7, v8, vcc
	v_lshlrev_b32_e32 v8, 16, v10
	v_lshl_add_u32 v1, v1, 23, v9
	v_and_or_b32 v1, v8, s96, v1
	v_lshl_or_b32 v1, v7, 21, v1
                                        ; implicit-def: $vgpr7
.LBB6_8236:                             ;   in Loop: Header=BB6_7023 Depth=3
	s_andn2_saveexec_b64 s[72:73], s[72:73]
; %bb.8237:                             ;   in Loop: Header=BB6_7023 Depth=3
	v_cmp_lt_i16_e32 vcc, -1, v10
	v_mov_b32_e32 v1, 0xc7600000
	v_mov_b32_e32 v8, 0x47600000
	v_cndmask_b32_e32 v1, v1, v8, vcc
	v_cmp_eq_u32_e32 vcc, 0, v7
	v_mov_b32_e32 v7, 0x7f800001
	v_cndmask_b32_e32 v1, v7, v1, vcc
; %bb.8238:                             ;   in Loop: Header=BB6_7023 Depth=3
	s_or_b64 exec, exec, s[72:73]
.LBB6_8239:                             ;   in Loop: Header=BB6_7023 Depth=3
	s_or_b64 exec, exec, s[70:71]
.LBB6_8240:                             ;   in Loop: Header=BB6_7023 Depth=3
	s_or_b64 exec, exec, s[68:69]
	v_max_f32_e32 v1, v1, v1
	v_max_f32_e32 v6, v6, v6
	;; [unrolled: 1-line block ×3, first 2 shown]
	s_branch .LBB6_8259
.LBB6_8241:                             ;   in Loop: Header=BB6_7023 Depth=3
                                        ; implicit-def: $vgpr1
	s_cbranch_execz .LBB6_8259
; %bb.8242:                             ;   in Loop: Header=BB6_7023 Depth=3
	v_mov_b32_e32 v1, 0
	v_mov_b32_e32 v6, 0
	s_and_saveexec_b64 s[68:69], s[30:31]
	s_cbranch_execz .LBB6_8250
; %bb.8243:                             ;   in Loop: Header=BB6_7023 Depth=3
	v_cmp_ne_u16_e32 vcc, s97, v50
	v_bfrev_b32_e32 v6, 1
	s_and_saveexec_b64 s[30:31], vcc
	s_cbranch_execz .LBB6_8249
; %bb.8244:                             ;   in Loop: Header=BB6_7023 Depth=3
	v_and_b32_e32 v6, 0x7c, v50
	v_and_b32_e32 v7, 3, v50
	v_cmp_ne_u32_e32 vcc, s95, v6
                                        ; implicit-def: $vgpr6
	s_and_saveexec_b64 s[70:71], vcc
	s_xor_b64 s[70:71], exec, s[70:71]
	s_cbranch_execz .LBB6_8246
; %bb.8245:                             ;   in Loop: Header=BB6_7023 Depth=3
	v_ffbh_u32_e32 v8, v7
	v_min_u32_e32 v49, 32, v8
	v_subrev_u32_e32 v8, 29, v49
	v_bfe_u32 v6, v50, 2, 5
	v_lshlrev_b64 v[8:9], v8, v[50:51]
	v_sub_u32_e32 v9, 30, v49
	v_cmp_eq_u32_e32 vcc, 0, v6
	v_and_b32_e32 v8, 3, v8
	v_cndmask_b32_e32 v6, v6, v9, vcc
	v_bfrev_b32_e32 v9, 28
	v_cndmask_b32_e32 v7, v7, v8, vcc
	v_lshlrev_b32_e32 v8, 16, v2
	v_lshl_add_u32 v6, v6, 23, v9
	v_and_or_b32 v6, v8, s96, v6
	v_lshl_or_b32 v6, v7, 21, v6
                                        ; implicit-def: $vgpr7
.LBB6_8246:                             ;   in Loop: Header=BB6_7023 Depth=3
	s_andn2_saveexec_b64 s[70:71], s[70:71]
; %bb.8247:                             ;   in Loop: Header=BB6_7023 Depth=3
	v_cmp_lt_i16_e32 vcc, -1, v2
	v_mov_b32_e32 v6, 0xc7600000
	v_mov_b32_e32 v8, 0x47600000
	v_cndmask_b32_e32 v6, v6, v8, vcc
	v_cmp_eq_u32_e32 vcc, 0, v7
	v_mov_b32_e32 v7, 0x7f800001
	v_cndmask_b32_e32 v6, v7, v6, vcc
; %bb.8248:                             ;   in Loop: Header=BB6_7023 Depth=3
	s_or_b64 exec, exec, s[70:71]
.LBB6_8249:                             ;   in Loop: Header=BB6_7023 Depth=3
	s_or_b64 exec, exec, s[30:31]
.LBB6_8250:                             ;   in Loop: Header=BB6_7023 Depth=3
	s_or_b64 exec, exec, s[68:69]
	v_cmp_ne_u16_e32 vcc, 0, v0
	s_and_saveexec_b64 s[30:31], vcc
	s_cbranch_execz .LBB6_8258
; %bb.8251:                             ;   in Loop: Header=BB6_7023 Depth=3
	v_cmp_ne_u16_e32 vcc, s97, v0
	v_bfrev_b32_e32 v1, 1
	s_and_saveexec_b64 s[68:69], vcc
	s_cbranch_execz .LBB6_8257
; %bb.8252:                             ;   in Loop: Header=BB6_7023 Depth=3
	v_and_b32_e32 v1, 0x7c, v0
	v_and_b32_e32 v7, 3, v0
	v_cmp_ne_u32_e32 vcc, s95, v1
                                        ; implicit-def: $vgpr1
	s_and_saveexec_b64 s[70:71], vcc
	s_xor_b64 s[70:71], exec, s[70:71]
	s_cbranch_execz .LBB6_8254
; %bb.8253:                             ;   in Loop: Header=BB6_7023 Depth=3
	v_ffbh_u32_e32 v9, v7
	v_min_u32_e32 v9, 32, v9
	v_mov_b32_e32 v1, v51
	v_subrev_u32_e32 v49, 29, v9
	v_bfe_u32 v8, v0, 2, 5
	v_lshlrev_b64 v[0:1], v49, v[0:1]
	v_sub_u32_e32 v1, 30, v9
	v_cmp_eq_u32_e32 vcc, 0, v8
	v_and_b32_e32 v0, 3, v0
	v_cndmask_b32_e32 v1, v8, v1, vcc
	v_bfrev_b32_e32 v8, 28
	v_cndmask_b32_e32 v0, v7, v0, vcc
	v_lshlrev_b32_e32 v7, 16, v10
	v_lshl_add_u32 v1, v1, 23, v8
	v_and_or_b32 v1, v7, s96, v1
	v_lshl_or_b32 v1, v0, 21, v1
                                        ; implicit-def: $vgpr7
.LBB6_8254:                             ;   in Loop: Header=BB6_7023 Depth=3
	s_andn2_saveexec_b64 s[70:71], s[70:71]
; %bb.8255:                             ;   in Loop: Header=BB6_7023 Depth=3
	v_cmp_lt_i16_e32 vcc, -1, v10
	v_mov_b32_e32 v0, 0xc7600000
	v_mov_b32_e32 v1, 0x47600000
	v_cndmask_b32_e32 v0, v0, v1, vcc
	v_cmp_eq_u32_e32 vcc, 0, v7
	v_mov_b32_e32 v1, 0x7f800001
	v_cndmask_b32_e32 v1, v1, v0, vcc
; %bb.8256:                             ;   in Loop: Header=BB6_7023 Depth=3
	s_or_b64 exec, exec, s[70:71]
.LBB6_8257:                             ;   in Loop: Header=BB6_7023 Depth=3
	s_or_b64 exec, exec, s[68:69]
.LBB6_8258:                             ;   in Loop: Header=BB6_7023 Depth=3
	s_or_b64 exec, exec, s[30:31]
	v_max_f32_e32 v0, v1, v1
	v_max_f32_e32 v1, v6, v6
	v_min_f32_e32 v1, v1, v0
.LBB6_8259:                             ;   in Loop: Header=BB6_7023 Depth=3
	v_and_b32_sdwa v6, v1, s97 dst_sel:DWORD dst_unused:UNUSED_PAD src0_sel:BYTE_3 src1_sel:DWORD
	v_and_b32_e32 v8, 0x7f800000, v1
	v_mov_b32_e32 v9, v51
	v_and_b32_e32 v50, 0x7fffff, v1
	v_or_b32_e32 v49, 0x7b, v6
	v_cmp_ne_u64_e32 vcc, s[52:53], v[8:9]
	s_and_saveexec_b64 s[30:31], vcc
	s_xor_b64 s[68:69], exec, s[30:31]
	s_cbranch_execz .LBB6_8269
; %bb.8260:                             ;   in Loop: Header=BB6_7023 Depth=3
	v_and_b32_e32 v8, 0x7fffffff, v1
	v_mov_b32_e32 v9, v51
	v_cmp_gt_u64_e32 vcc, s[54:55], v[8:9]
	s_and_saveexec_b64 s[70:71], vcc
	s_cbranch_execz .LBB6_8268
; %bb.8261:                             ;   in Loop: Header=BB6_7023 Depth=3
	v_cmp_ne_u32_e32 vcc, 0, v1
	v_mov_b32_e32 v49, 0
	s_and_saveexec_b64 s[72:73], vcc
	s_cbranch_execz .LBB6_8267
; %bb.8262:                             ;   in Loop: Header=BB6_7023 Depth=3
	v_bfe_u32 v0, v1, 23, 8
	v_cmp_eq_u32_e32 vcc, 0, v0
	v_add_u32_e32 v1, 0xffffff81, v0
	v_cmp_gt_u32_e64 s[30:31], s38, v0
	v_sub_u32_e32 v0, 0x71, v0
	v_mov_b32_e32 v8, 0xffffff82
	v_cndmask_b32_e64 v0, 0, v0, s[30:31]
	v_cndmask_b32_e32 v49, v1, v8, vcc
	v_mov_b32_e32 v1, 0x70
	v_cndmask_b32_e32 v52, v0, v1, vcc
	v_add_u32_e32 v0, 21, v52
	v_or_b32_e32 v7, 0x800000, v50
	v_lshlrev_b64 v[0:1], v0, -1
	v_cndmask_b32_e32 v50, v7, v50, vcc
	v_not_b32_e32 v1, v1
	v_not_b32_e32 v0, v0
	v_add_u32_e32 v7, 20, v52
	v_and_b32_e32 v1, 0, v1
	v_and_b32_e32 v0, v50, v0
	v_lshlrev_b64 v[8:9], v7, 1
	v_cmp_eq_u64_e32 vcc, v[0:1], v[8:9]
	v_lshrrev_b64 v[0:1], v52, v[50:51]
	v_lshrrev_b32_e32 v7, 23, v0
	v_add3_u32 v9, v52, v49, v7
	v_bfe_u32 v7, v0, 21, 1
	v_add_u32_e32 v7, -1, v7
	v_cndmask_b32_e32 v7, 0, v7, vcc
	v_add_u32_e32 v7, v7, v0
	v_and_b32_e32 v7, 0x1fffff, v7
	v_add_co_u32_e32 v0, vcc, v7, v0
	v_add_u32_e32 v8, 14, v9
	v_addc_co_u32_e32 v1, vcc, 0, v1, vcc
	v_cmp_ne_u32_e32 vcc, 0, v8
                                        ; implicit-def: $vgpr7
	s_and_saveexec_b64 s[30:31], vcc
	s_xor_b64 s[30:31], exec, s[30:31]
; %bb.8263:                             ;   in Loop: Header=BB6_7023 Depth=3
	v_add_u32_e32 v7, 15, v9
	v_cmp_lt_u64_e32 vcc, s[56:57], v[0:1]
	v_cndmask_b32_e32 v7, v8, v7, vcc
	v_cndmask_b32_e64 v8, 0, 1, vcc
	v_lshrrev_b64 v[0:1], v8, v[0:1]
; %bb.8264:                             ;   in Loop: Header=BB6_7023 Depth=3
	s_andn2_saveexec_b64 vcc, s[30:31]
; %bb.8265:                             ;   in Loop: Header=BB6_7023 Depth=3
	v_bfe_u32 v7, v0, 23, 1
; %bb.8266:                             ;   in Loop: Header=BB6_7023 Depth=3
	s_or_b64 exec, exec, vcc
	v_lshrrev_b64 v[0:1], 21, v[0:1]
	v_cmp_gt_i32_e32 vcc, 32, v7
	v_cndmask_b32_e32 v1, 0, v1, vcc
	v_cndmask_b32_e32 v0, 3, v0, vcc
	v_cmp_eq_u64_e64 s[30:31], 0, v[0:1]
	v_min_i32_e32 v1, 31, v7
	v_cmp_eq_u32_e32 vcc, 0, v7
	v_lshlrev_b32_e32 v1, 2, v1
	v_and_or_b32 v0, v0, 3, v1
	s_and_b64 vcc, vcc, s[30:31]
	v_cndmask_b32_e64 v0, v0, 0, vcc
	v_or_b32_e32 v49, v0, v6
.LBB6_8267:                             ;   in Loop: Header=BB6_7023 Depth=3
	s_or_b64 exec, exec, s[72:73]
.LBB6_8268:                             ;   in Loop: Header=BB6_7023 Depth=3
	s_or_b64 exec, exec, s[70:71]
                                        ; implicit-def: $vgpr1
.LBB6_8269:                             ;   in Loop: Header=BB6_7023 Depth=3
	s_andn2_saveexec_b64 s[30:31], s[68:69]
; %bb.8270:                             ;   in Loop: Header=BB6_7023 Depth=3
	v_or_b32_sdwa v0, v1, s39 dst_sel:DWORD dst_unused:UNUSED_PAD src0_sel:BYTE_3 src1_sel:DWORD
	v_cmp_eq_u64_e32 vcc, 0, v[50:51]
	v_cndmask_b32_e32 v49, v0, v49, vcc
; %bb.8271:                             ;   in Loop: Header=BB6_7023 Depth=3
	s_or_b64 exec, exec, s[30:31]
	v_lshrrev_b32_e32 v6, 16, v2
	v_lshrrev_b32_e32 v0, 16, v10
	s_and_b64 vcc, exec, s[28:29]
	v_cmp_ne_u16_sdwa s[30:31], v6, v51 src0_sel:BYTE_0 src1_sel:DWORD
	s_cbranch_vccnz .LBB6_8289
; %bb.8272:                             ;   in Loop: Header=BB6_7023 Depth=3
	v_mov_b32_e32 v7, 0
	v_mov_b32_e32 v1, 0
	s_and_saveexec_b64 s[68:69], s[30:31]
	s_cbranch_execz .LBB6_8280
; %bb.8273:                             ;   in Loop: Header=BB6_7023 Depth=3
	v_cmp_ne_u16_sdwa vcc, v6, s97 src0_sel:BYTE_0 src1_sel:DWORD
	v_bfrev_b32_e32 v1, 1
	s_and_saveexec_b64 s[70:71], vcc
	s_cbranch_execz .LBB6_8279
; %bb.8274:                             ;   in Loop: Header=BB6_7023 Depth=3
	v_and_b32_e32 v1, 0x7c0000, v2
	v_bfe_u32 v8, v2, 16, 2
	v_cmp_ne_u32_e32 vcc, s36, v1
                                        ; implicit-def: $vgpr1
	s_and_saveexec_b64 s[72:73], vcc
	s_xor_b64 s[72:73], exec, s[72:73]
	s_cbranch_execz .LBB6_8276
; %bb.8275:                             ;   in Loop: Header=BB6_7023 Depth=3
	v_ffbh_u32_e32 v9, v8
	v_min_u32_e32 v9, 32, v9
	v_subrev_u32_e32 v50, 29, v9
	v_bfe_u32 v1, v2, 18, 5
	v_lshlrev_b64 v[52:53], v50, v[6:7]
	v_sub_u32_e32 v9, 30, v9
	v_and_b32_e32 v50, 3, v52
	v_cmp_eq_u32_e32 vcc, 0, v1
	v_cndmask_b32_e32 v1, v1, v9, vcc
	v_cndmask_b32_e32 v8, v8, v50, vcc
	v_bfrev_b32_e32 v50, 28
	v_lshlrev_b32_e32 v9, 24, v6
	v_lshl_add_u32 v1, v1, 23, v50
	v_and_or_b32 v1, v9, s96, v1
	v_lshl_or_b32 v1, v8, 21, v1
                                        ; implicit-def: $vgpr8
.LBB6_8276:                             ;   in Loop: Header=BB6_7023 Depth=3
	s_andn2_saveexec_b64 s[72:73], s[72:73]
; %bb.8277:                             ;   in Loop: Header=BB6_7023 Depth=3
	v_mov_b32_e32 v1, -1
	v_cmp_gt_i16_sdwa vcc, sext(v6), v1 src0_sel:BYTE_0 src1_sel:DWORD
	v_mov_b32_e32 v1, 0xc7600000
	v_mov_b32_e32 v9, 0x47600000
	v_cndmask_b32_e32 v1, v1, v9, vcc
	v_cmp_eq_u32_e32 vcc, 0, v8
	v_mov_b32_e32 v8, 0x7f800001
	v_cndmask_b32_e32 v1, v8, v1, vcc
; %bb.8278:                             ;   in Loop: Header=BB6_7023 Depth=3
	s_or_b64 exec, exec, s[72:73]
.LBB6_8279:                             ;   in Loop: Header=BB6_7023 Depth=3
	s_or_b64 exec, exec, s[70:71]
.LBB6_8280:                             ;   in Loop: Header=BB6_7023 Depth=3
	s_or_b64 exec, exec, s[68:69]
	v_cmp_ne_u16_sdwa vcc, v0, v51 src0_sel:BYTE_0 src1_sel:DWORD
	s_and_saveexec_b64 s[68:69], vcc
	s_cbranch_execz .LBB6_8288
; %bb.8281:                             ;   in Loop: Header=BB6_7023 Depth=3
	v_cmp_ne_u16_sdwa vcc, v0, s97 src0_sel:BYTE_0 src1_sel:DWORD
	v_bfrev_b32_e32 v7, 1
	s_and_saveexec_b64 s[70:71], vcc
	s_cbranch_execz .LBB6_8287
; %bb.8282:                             ;   in Loop: Header=BB6_7023 Depth=3
	v_and_b32_e32 v7, 0x7c0000, v10
	v_bfe_u32 v8, v10, 16, 2
	v_cmp_ne_u32_e32 vcc, s36, v7
                                        ; implicit-def: $vgpr7
	s_and_saveexec_b64 s[72:73], vcc
	s_xor_b64 s[72:73], exec, s[72:73]
	s_cbranch_execz .LBB6_8284
; %bb.8283:                             ;   in Loop: Header=BB6_7023 Depth=3
	v_ffbh_u32_e32 v9, v8
	v_min_u32_e32 v9, 32, v9
	v_subrev_u32_e32 v50, 29, v9
	v_bfe_u32 v7, v10, 18, 5
	v_lshlrev_b64 v[52:53], v50, v[0:1]
	v_sub_u32_e32 v9, 30, v9
	v_and_b32_e32 v50, 3, v52
	v_cmp_eq_u32_e32 vcc, 0, v7
	v_cndmask_b32_e32 v7, v7, v9, vcc
	v_cndmask_b32_e32 v8, v8, v50, vcc
	v_bfrev_b32_e32 v50, 28
	v_lshlrev_b32_e32 v9, 24, v0
	v_lshl_add_u32 v7, v7, 23, v50
	v_and_or_b32 v7, v9, s96, v7
	v_lshl_or_b32 v7, v8, 21, v7
                                        ; implicit-def: $vgpr8
.LBB6_8284:                             ;   in Loop: Header=BB6_7023 Depth=3
	s_andn2_saveexec_b64 s[72:73], s[72:73]
; %bb.8285:                             ;   in Loop: Header=BB6_7023 Depth=3
	v_mov_b32_e32 v7, -1
	v_cmp_gt_i16_sdwa vcc, sext(v0), v7 src0_sel:BYTE_0 src1_sel:DWORD
	v_mov_b32_e32 v7, 0xc7600000
	v_mov_b32_e32 v9, 0x47600000
	v_cndmask_b32_e32 v7, v7, v9, vcc
	v_cmp_eq_u32_e32 vcc, 0, v8
	v_mov_b32_e32 v8, 0x7f800001
	v_cndmask_b32_e32 v7, v8, v7, vcc
; %bb.8286:                             ;   in Loop: Header=BB6_7023 Depth=3
	s_or_b64 exec, exec, s[72:73]
.LBB6_8287:                             ;   in Loop: Header=BB6_7023 Depth=3
	s_or_b64 exec, exec, s[70:71]
.LBB6_8288:                             ;   in Loop: Header=BB6_7023 Depth=3
	s_or_b64 exec, exec, s[68:69]
	v_max_f32_e32 v7, v7, v7
	v_max_f32_e32 v1, v1, v1
	;; [unrolled: 1-line block ×3, first 2 shown]
	s_branch .LBB6_8307
.LBB6_8289:                             ;   in Loop: Header=BB6_7023 Depth=3
                                        ; implicit-def: $vgpr1
	s_cbranch_execz .LBB6_8307
; %bb.8290:                             ;   in Loop: Header=BB6_7023 Depth=3
	v_mov_b32_e32 v7, 0
	v_mov_b32_e32 v1, 0
	s_and_saveexec_b64 s[68:69], s[30:31]
	s_cbranch_execz .LBB6_8298
; %bb.8291:                             ;   in Loop: Header=BB6_7023 Depth=3
	v_cmp_ne_u16_sdwa vcc, v6, s97 src0_sel:BYTE_0 src1_sel:DWORD
	v_bfrev_b32_e32 v1, 1
	s_and_saveexec_b64 s[30:31], vcc
	s_cbranch_execz .LBB6_8297
; %bb.8292:                             ;   in Loop: Header=BB6_7023 Depth=3
	v_and_b32_e32 v1, 0x7c0000, v2
	v_bfe_u32 v8, v2, 16, 2
	v_cmp_ne_u32_e32 vcc, s36, v1
                                        ; implicit-def: $vgpr1
	s_and_saveexec_b64 s[70:71], vcc
	s_xor_b64 s[70:71], exec, s[70:71]
	s_cbranch_execz .LBB6_8294
; %bb.8293:                             ;   in Loop: Header=BB6_7023 Depth=3
	v_ffbh_u32_e32 v9, v8
	v_bfe_u32 v1, v2, 18, 5
	v_min_u32_e32 v9, 32, v9
	v_subrev_u32_e32 v50, 29, v9
	v_sub_u32_e32 v9, 30, v9
	v_cmp_eq_u32_e32 vcc, 0, v1
	v_lshlrev_b64 v[52:53], v50, v[6:7]
	v_cndmask_b32_e32 v1, v1, v9, vcc
	v_bfrev_b32_e32 v9, 28
	v_and_b32_e32 v50, 3, v52
	v_lshlrev_b32_e32 v6, 24, v6
	v_lshl_add_u32 v1, v1, 23, v9
	v_cndmask_b32_e32 v8, v8, v50, vcc
	v_and_or_b32 v1, v6, s96, v1
	v_lshl_or_b32 v1, v8, 21, v1
                                        ; implicit-def: $vgpr8
                                        ; implicit-def: $vgpr6
.LBB6_8294:                             ;   in Loop: Header=BB6_7023 Depth=3
	s_andn2_saveexec_b64 s[70:71], s[70:71]
; %bb.8295:                             ;   in Loop: Header=BB6_7023 Depth=3
	v_mov_b32_e32 v1, -1
	v_cmp_gt_i16_sdwa vcc, sext(v6), v1 src0_sel:BYTE_0 src1_sel:DWORD
	v_mov_b32_e32 v1, 0xc7600000
	v_mov_b32_e32 v6, 0x47600000
	v_cndmask_b32_e32 v1, v1, v6, vcc
	v_cmp_eq_u32_e32 vcc, 0, v8
	v_mov_b32_e32 v6, 0x7f800001
	v_cndmask_b32_e32 v1, v6, v1, vcc
; %bb.8296:                             ;   in Loop: Header=BB6_7023 Depth=3
	s_or_b64 exec, exec, s[70:71]
.LBB6_8297:                             ;   in Loop: Header=BB6_7023 Depth=3
	s_or_b64 exec, exec, s[30:31]
.LBB6_8298:                             ;   in Loop: Header=BB6_7023 Depth=3
	s_or_b64 exec, exec, s[68:69]
	v_cmp_ne_u16_sdwa vcc, v0, v51 src0_sel:BYTE_0 src1_sel:DWORD
	s_and_saveexec_b64 s[30:31], vcc
	s_cbranch_execz .LBB6_8306
; %bb.8299:                             ;   in Loop: Header=BB6_7023 Depth=3
	v_cmp_ne_u16_sdwa vcc, v0, s97 src0_sel:BYTE_0 src1_sel:DWORD
	v_bfrev_b32_e32 v7, 1
	s_and_saveexec_b64 s[68:69], vcc
	s_cbranch_execz .LBB6_8305
; %bb.8300:                             ;   in Loop: Header=BB6_7023 Depth=3
	v_and_b32_e32 v7, 0x7c0000, v10
	v_bfe_u32 v6, v10, 16, 2
	v_cmp_ne_u32_e32 vcc, s36, v7
                                        ; implicit-def: $vgpr7
	s_and_saveexec_b64 s[70:71], vcc
	s_xor_b64 s[70:71], exec, s[70:71]
	s_cbranch_execz .LBB6_8302
; %bb.8301:                             ;   in Loop: Header=BB6_7023 Depth=3
	v_ffbh_u32_e32 v8, v6
	v_min_u32_e32 v50, 32, v8
	v_subrev_u32_e32 v8, 29, v50
	v_bfe_u32 v7, v10, 18, 5
	v_lshlrev_b64 v[8:9], v8, v[0:1]
	v_sub_u32_e32 v9, 30, v50
	v_and_b32_e32 v8, 3, v8
	v_cmp_eq_u32_e32 vcc, 0, v7
	v_cndmask_b32_e32 v7, v7, v9, vcc
	v_cndmask_b32_e32 v6, v6, v8, vcc
	v_bfrev_b32_e32 v8, 28
	v_lshlrev_b32_e32 v0, 24, v0
	v_lshl_add_u32 v7, v7, 23, v8
	v_and_or_b32 v0, v0, s96, v7
	v_lshl_or_b32 v7, v6, 21, v0
                                        ; implicit-def: $vgpr6
                                        ; implicit-def: $vgpr0
.LBB6_8302:                             ;   in Loop: Header=BB6_7023 Depth=3
	s_andn2_saveexec_b64 s[70:71], s[70:71]
; %bb.8303:                             ;   in Loop: Header=BB6_7023 Depth=3
	v_mov_b32_e32 v7, -1
	v_cmp_gt_i16_sdwa vcc, sext(v0), v7 src0_sel:BYTE_0 src1_sel:DWORD
	v_mov_b32_e32 v0, 0xc7600000
	v_mov_b32_e32 v7, 0x47600000
	v_cndmask_b32_e32 v0, v0, v7, vcc
	v_cmp_eq_u32_e32 vcc, 0, v6
	v_mov_b32_e32 v6, 0x7f800001
	v_cndmask_b32_e32 v7, v6, v0, vcc
; %bb.8304:                             ;   in Loop: Header=BB6_7023 Depth=3
	s_or_b64 exec, exec, s[70:71]
.LBB6_8305:                             ;   in Loop: Header=BB6_7023 Depth=3
	s_or_b64 exec, exec, s[68:69]
.LBB6_8306:                             ;   in Loop: Header=BB6_7023 Depth=3
	s_or_b64 exec, exec, s[30:31]
	v_max_f32_e32 v0, v7, v7
	v_max_f32_e32 v1, v1, v1
	v_min_f32_e32 v1, v1, v0
.LBB6_8307:                             ;   in Loop: Header=BB6_7023 Depth=3
	v_and_b32_sdwa v6, v1, s97 dst_sel:DWORD dst_unused:UNUSED_PAD src0_sel:BYTE_3 src1_sel:DWORD
	v_and_b32_e32 v8, 0x7f800000, v1
	v_mov_b32_e32 v9, v51
	v_and_b32_e32 v50, 0x7fffff, v1
	v_or_b32_e32 v52, 0x7b, v6
	v_cmp_ne_u64_e32 vcc, s[52:53], v[8:9]
	s_and_saveexec_b64 s[30:31], vcc
	s_xor_b64 s[68:69], exec, s[30:31]
	s_cbranch_execz .LBB6_8317
; %bb.8308:                             ;   in Loop: Header=BB6_7023 Depth=3
	v_and_b32_e32 v8, 0x7fffffff, v1
	v_mov_b32_e32 v9, v51
	v_cmp_gt_u64_e32 vcc, s[54:55], v[8:9]
	s_and_saveexec_b64 s[70:71], vcc
	s_cbranch_execz .LBB6_8316
; %bb.8309:                             ;   in Loop: Header=BB6_7023 Depth=3
	v_cmp_ne_u32_e32 vcc, 0, v1
	v_mov_b32_e32 v52, 0
	s_and_saveexec_b64 s[72:73], vcc
	s_cbranch_execz .LBB6_8315
; %bb.8310:                             ;   in Loop: Header=BB6_7023 Depth=3
	v_bfe_u32 v0, v1, 23, 8
	v_cmp_eq_u32_e32 vcc, 0, v0
	v_add_u32_e32 v1, 0xffffff81, v0
	v_cmp_gt_u32_e64 s[30:31], s38, v0
	v_sub_u32_e32 v0, 0x71, v0
	v_mov_b32_e32 v8, 0xffffff82
	v_cndmask_b32_e64 v0, 0, v0, s[30:31]
	v_cndmask_b32_e32 v52, v1, v8, vcc
	v_mov_b32_e32 v1, 0x70
	v_cndmask_b32_e32 v53, v0, v1, vcc
	v_add_u32_e32 v0, 21, v53
	v_or_b32_e32 v7, 0x800000, v50
	v_lshlrev_b64 v[0:1], v0, -1
	v_cndmask_b32_e32 v50, v7, v50, vcc
	v_not_b32_e32 v1, v1
	v_not_b32_e32 v0, v0
	v_add_u32_e32 v7, 20, v53
	v_and_b32_e32 v1, 0, v1
	v_and_b32_e32 v0, v50, v0
	v_lshlrev_b64 v[8:9], v7, 1
	v_cmp_eq_u64_e32 vcc, v[0:1], v[8:9]
	v_lshrrev_b64 v[0:1], v53, v[50:51]
	v_lshrrev_b32_e32 v7, 23, v0
	v_add3_u32 v9, v53, v52, v7
	v_bfe_u32 v7, v0, 21, 1
	v_add_u32_e32 v7, -1, v7
	v_cndmask_b32_e32 v7, 0, v7, vcc
	v_add_u32_e32 v7, v7, v0
	v_and_b32_e32 v7, 0x1fffff, v7
	v_add_co_u32_e32 v0, vcc, v7, v0
	v_add_u32_e32 v8, 14, v9
	v_addc_co_u32_e32 v1, vcc, 0, v1, vcc
	v_cmp_ne_u32_e32 vcc, 0, v8
                                        ; implicit-def: $vgpr7
	s_and_saveexec_b64 s[30:31], vcc
	s_xor_b64 s[30:31], exec, s[30:31]
; %bb.8311:                             ;   in Loop: Header=BB6_7023 Depth=3
	v_add_u32_e32 v7, 15, v9
	v_cmp_lt_u64_e32 vcc, s[56:57], v[0:1]
	v_cndmask_b32_e32 v7, v8, v7, vcc
	v_cndmask_b32_e64 v8, 0, 1, vcc
	v_lshrrev_b64 v[0:1], v8, v[0:1]
; %bb.8312:                             ;   in Loop: Header=BB6_7023 Depth=3
	s_andn2_saveexec_b64 vcc, s[30:31]
; %bb.8313:                             ;   in Loop: Header=BB6_7023 Depth=3
	v_bfe_u32 v7, v0, 23, 1
; %bb.8314:                             ;   in Loop: Header=BB6_7023 Depth=3
	s_or_b64 exec, exec, vcc
	v_lshrrev_b64 v[0:1], 21, v[0:1]
	v_cmp_gt_i32_e32 vcc, 32, v7
	v_cndmask_b32_e32 v1, 0, v1, vcc
	v_cndmask_b32_e32 v0, 3, v0, vcc
	v_cmp_eq_u64_e64 s[30:31], 0, v[0:1]
	v_min_i32_e32 v1, 31, v7
	v_cmp_eq_u32_e32 vcc, 0, v7
	v_lshlrev_b32_e32 v1, 2, v1
	v_and_or_b32 v0, v0, 3, v1
	s_and_b64 vcc, vcc, s[30:31]
	v_cndmask_b32_e64 v0, v0, 0, vcc
	v_or_b32_e32 v52, v0, v6
.LBB6_8315:                             ;   in Loop: Header=BB6_7023 Depth=3
	s_or_b64 exec, exec, s[72:73]
.LBB6_8316:                             ;   in Loop: Header=BB6_7023 Depth=3
	s_or_b64 exec, exec, s[70:71]
                                        ; implicit-def: $vgpr1
.LBB6_8317:                             ;   in Loop: Header=BB6_7023 Depth=3
	s_andn2_saveexec_b64 s[30:31], s[68:69]
; %bb.8318:                             ;   in Loop: Header=BB6_7023 Depth=3
	v_or_b32_sdwa v0, v1, s39 dst_sel:DWORD dst_unused:UNUSED_PAD src0_sel:BYTE_3 src1_sel:DWORD
	v_cmp_eq_u64_e32 vcc, 0, v[50:51]
	v_cndmask_b32_e32 v52, v0, v52, vcc
; %bb.8319:                             ;   in Loop: Header=BB6_7023 Depth=3
	s_or_b64 exec, exec, s[30:31]
	v_lshrrev_b32_e32 v6, 24, v2
	v_lshrrev_b32_e32 v0, 24, v10
	s_and_b64 vcc, exec, s[28:29]
	v_cmp_lt_u32_e64 s[30:31], s43, v2
	s_cbranch_vccnz .LBB6_8337
; %bb.8320:                             ;   in Loop: Header=BB6_7023 Depth=3
	v_mov_b32_e32 v7, 0
	v_mov_b32_e32 v1, 0
	s_and_saveexec_b64 s[68:69], s[30:31]
	s_cbranch_execz .LBB6_8328
; %bb.8321:                             ;   in Loop: Header=BB6_7023 Depth=3
	v_cmp_ne_u32_e32 vcc, s97, v6
	v_bfrev_b32_e32 v1, 1
	s_and_saveexec_b64 s[70:71], vcc
	s_cbranch_execz .LBB6_8327
; %bb.8322:                             ;   in Loop: Header=BB6_7023 Depth=3
	v_and_b32_e32 v1, 0x7c000000, v2
	v_bfe_u32 v8, v2, 24, 2
	v_cmp_ne_u32_e32 vcc, s37, v1
                                        ; implicit-def: $vgpr1
	s_and_saveexec_b64 s[72:73], vcc
	s_xor_b64 s[72:73], exec, s[72:73]
	s_cbranch_execz .LBB6_8324
; %bb.8323:                             ;   in Loop: Header=BB6_7023 Depth=3
	v_ffbh_u32_e32 v9, v8
	v_bfe_u32 v1, v2, 26, 5
	v_min_u32_e32 v9, 32, v9
	v_subrev_u32_e32 v50, 29, v9
	v_sub_u32_e32 v9, 30, v9
	v_cmp_eq_u32_e32 vcc, 0, v1
	v_lshlrev_b64 v[54:55], v50, v[6:7]
	v_cndmask_b32_e32 v1, v1, v9, vcc
	v_bfrev_b32_e32 v9, 28
	v_and_b32_e32 v50, 3, v54
	v_lshl_add_u32 v1, v1, 23, v9
	v_cndmask_b32_e32 v8, v8, v50, vcc
	v_and_or_b32 v1, v2, s96, v1
	v_lshl_or_b32 v1, v8, 21, v1
                                        ; implicit-def: $vgpr8
.LBB6_8324:                             ;   in Loop: Header=BB6_7023 Depth=3
	s_andn2_saveexec_b64 s[72:73], s[72:73]
; %bb.8325:                             ;   in Loop: Header=BB6_7023 Depth=3
	v_cmp_lt_i32_e32 vcc, -1, v2
	v_mov_b32_e32 v1, 0xc7600000
	v_mov_b32_e32 v9, 0x47600000
	v_cndmask_b32_e32 v1, v1, v9, vcc
	v_cmp_eq_u32_e32 vcc, 0, v8
	v_mov_b32_e32 v8, 0x7f800001
	v_cndmask_b32_e32 v1, v8, v1, vcc
; %bb.8326:                             ;   in Loop: Header=BB6_7023 Depth=3
	s_or_b64 exec, exec, s[72:73]
.LBB6_8327:                             ;   in Loop: Header=BB6_7023 Depth=3
	s_or_b64 exec, exec, s[70:71]
.LBB6_8328:                             ;   in Loop: Header=BB6_7023 Depth=3
	s_or_b64 exec, exec, s[68:69]
	v_cmp_lt_u32_e32 vcc, s43, v10
	s_and_saveexec_b64 s[68:69], vcc
	s_cbranch_execz .LBB6_8336
; %bb.8329:                             ;   in Loop: Header=BB6_7023 Depth=3
	v_cmp_ne_u32_e32 vcc, s97, v0
	v_bfrev_b32_e32 v7, 1
	s_and_saveexec_b64 s[70:71], vcc
	s_cbranch_execz .LBB6_8335
; %bb.8330:                             ;   in Loop: Header=BB6_7023 Depth=3
	v_and_b32_e32 v7, 0x7c000000, v10
	v_bfe_u32 v8, v10, 24, 2
	v_cmp_ne_u32_e32 vcc, s37, v7
                                        ; implicit-def: $vgpr7
	s_and_saveexec_b64 s[72:73], vcc
	s_xor_b64 s[72:73], exec, s[72:73]
	s_cbranch_execz .LBB6_8332
; %bb.8331:                             ;   in Loop: Header=BB6_7023 Depth=3
	v_ffbh_u32_e32 v9, v8
	v_bfe_u32 v7, v10, 26, 5
	v_min_u32_e32 v9, 32, v9
	v_subrev_u32_e32 v50, 29, v9
	v_sub_u32_e32 v9, 30, v9
	v_cmp_eq_u32_e32 vcc, 0, v7
	v_lshlrev_b64 v[54:55], v50, v[0:1]
	v_cndmask_b32_e32 v7, v7, v9, vcc
	v_bfrev_b32_e32 v9, 28
	v_and_b32_e32 v50, 3, v54
	v_lshl_add_u32 v7, v7, 23, v9
	v_cndmask_b32_e32 v8, v8, v50, vcc
	v_and_or_b32 v7, v10, s96, v7
	v_lshl_or_b32 v7, v8, 21, v7
                                        ; implicit-def: $vgpr8
.LBB6_8332:                             ;   in Loop: Header=BB6_7023 Depth=3
	s_andn2_saveexec_b64 s[72:73], s[72:73]
; %bb.8333:                             ;   in Loop: Header=BB6_7023 Depth=3
	v_cmp_lt_i32_e32 vcc, -1, v10
	v_mov_b32_e32 v7, 0xc7600000
	v_mov_b32_e32 v9, 0x47600000
	v_cndmask_b32_e32 v7, v7, v9, vcc
	v_cmp_eq_u32_e32 vcc, 0, v8
	v_mov_b32_e32 v8, 0x7f800001
	v_cndmask_b32_e32 v7, v8, v7, vcc
; %bb.8334:                             ;   in Loop: Header=BB6_7023 Depth=3
	s_or_b64 exec, exec, s[72:73]
.LBB6_8335:                             ;   in Loop: Header=BB6_7023 Depth=3
	s_or_b64 exec, exec, s[70:71]
.LBB6_8336:                             ;   in Loop: Header=BB6_7023 Depth=3
	s_or_b64 exec, exec, s[68:69]
	v_max_f32_e32 v7, v7, v7
	v_max_f32_e32 v1, v1, v1
	;; [unrolled: 1-line block ×3, first 2 shown]
	s_branch .LBB6_8355
.LBB6_8337:                             ;   in Loop: Header=BB6_7023 Depth=3
                                        ; implicit-def: $vgpr1
	s_cbranch_execz .LBB6_8355
; %bb.8338:                             ;   in Loop: Header=BB6_7023 Depth=3
	v_mov_b32_e32 v7, 0
	v_mov_b32_e32 v1, 0
	s_and_saveexec_b64 s[68:69], s[30:31]
	s_cbranch_execz .LBB6_8346
; %bb.8339:                             ;   in Loop: Header=BB6_7023 Depth=3
	v_cmp_ne_u32_e32 vcc, s97, v6
	v_bfrev_b32_e32 v1, 1
	s_and_saveexec_b64 s[30:31], vcc
	s_cbranch_execz .LBB6_8345
; %bb.8340:                             ;   in Loop: Header=BB6_7023 Depth=3
	v_and_b32_e32 v1, 0x7c000000, v2
	v_bfe_u32 v8, v2, 24, 2
	v_cmp_ne_u32_e32 vcc, s37, v1
                                        ; implicit-def: $vgpr1
	s_and_saveexec_b64 s[70:71], vcc
	s_xor_b64 s[70:71], exec, s[70:71]
	s_cbranch_execz .LBB6_8342
; %bb.8341:                             ;   in Loop: Header=BB6_7023 Depth=3
	v_ffbh_u32_e32 v9, v8
	v_min_u32_e32 v9, 32, v9
	v_subrev_u32_e32 v50, 29, v9
	v_bfe_u32 v1, v2, 26, 5
	v_lshlrev_b64 v[54:55], v50, v[6:7]
	v_sub_u32_e32 v6, 30, v9
	v_and_b32_e32 v9, 3, v54
	v_cmp_eq_u32_e32 vcc, 0, v1
	v_cndmask_b32_e32 v1, v1, v6, vcc
	v_cndmask_b32_e32 v6, v8, v9, vcc
	v_bfrev_b32_e32 v8, 28
	v_lshl_add_u32 v1, v1, 23, v8
	v_and_or_b32 v1, v2, s96, v1
	v_lshl_or_b32 v1, v6, 21, v1
                                        ; implicit-def: $vgpr8
.LBB6_8342:                             ;   in Loop: Header=BB6_7023 Depth=3
	s_andn2_saveexec_b64 s[70:71], s[70:71]
; %bb.8343:                             ;   in Loop: Header=BB6_7023 Depth=3
	v_cmp_lt_i32_e32 vcc, -1, v2
	v_mov_b32_e32 v1, 0xc7600000
	v_mov_b32_e32 v6, 0x47600000
	v_cndmask_b32_e32 v1, v1, v6, vcc
	v_cmp_eq_u32_e32 vcc, 0, v8
	v_mov_b32_e32 v6, 0x7f800001
	v_cndmask_b32_e32 v1, v6, v1, vcc
; %bb.8344:                             ;   in Loop: Header=BB6_7023 Depth=3
	s_or_b64 exec, exec, s[70:71]
.LBB6_8345:                             ;   in Loop: Header=BB6_7023 Depth=3
	s_or_b64 exec, exec, s[30:31]
.LBB6_8346:                             ;   in Loop: Header=BB6_7023 Depth=3
	s_or_b64 exec, exec, s[68:69]
	v_cmp_lt_u32_e32 vcc, s43, v10
	s_and_saveexec_b64 s[30:31], vcc
	s_cbranch_execz .LBB6_8354
; %bb.8347:                             ;   in Loop: Header=BB6_7023 Depth=3
	v_cmp_ne_u32_e32 vcc, s97, v0
	v_bfrev_b32_e32 v7, 1
	s_and_saveexec_b64 s[68:69], vcc
	s_cbranch_execz .LBB6_8353
; %bb.8348:                             ;   in Loop: Header=BB6_7023 Depth=3
	v_and_b32_e32 v7, 0x7c000000, v10
	v_bfe_u32 v6, v10, 24, 2
	v_cmp_ne_u32_e32 vcc, s37, v7
                                        ; implicit-def: $vgpr7
	s_and_saveexec_b64 s[70:71], vcc
	s_xor_b64 s[70:71], exec, s[70:71]
	s_cbranch_execz .LBB6_8350
; %bb.8349:                             ;   in Loop: Header=BB6_7023 Depth=3
	v_ffbh_u32_e32 v8, v6
	v_min_u32_e32 v50, 32, v8
	v_bfe_u32 v7, v10, 26, 5
	v_subrev_u32_e32 v8, 29, v50
	v_lshlrev_b64 v[8:9], v8, v[0:1]
	v_sub_u32_e32 v0, 30, v50
	v_cmp_eq_u32_e32 vcc, 0, v7
	v_cndmask_b32_e32 v0, v7, v0, vcc
	v_bfrev_b32_e32 v7, 28
	v_and_b32_e32 v8, 3, v8
	v_lshl_add_u32 v0, v0, 23, v7
	v_cndmask_b32_e32 v6, v6, v8, vcc
	v_and_or_b32 v0, v10, s96, v0
	v_lshl_or_b32 v7, v6, 21, v0
                                        ; implicit-def: $vgpr6
.LBB6_8350:                             ;   in Loop: Header=BB6_7023 Depth=3
	s_andn2_saveexec_b64 s[70:71], s[70:71]
; %bb.8351:                             ;   in Loop: Header=BB6_7023 Depth=3
	v_cmp_lt_i32_e32 vcc, -1, v10
	v_mov_b32_e32 v0, 0xc7600000
	v_mov_b32_e32 v7, 0x47600000
	v_cndmask_b32_e32 v0, v0, v7, vcc
	v_cmp_eq_u32_e32 vcc, 0, v6
	v_mov_b32_e32 v6, 0x7f800001
	v_cndmask_b32_e32 v7, v6, v0, vcc
; %bb.8352:                             ;   in Loop: Header=BB6_7023 Depth=3
	s_or_b64 exec, exec, s[70:71]
.LBB6_8353:                             ;   in Loop: Header=BB6_7023 Depth=3
	s_or_b64 exec, exec, s[68:69]
.LBB6_8354:                             ;   in Loop: Header=BB6_7023 Depth=3
	s_or_b64 exec, exec, s[30:31]
	v_max_f32_e32 v0, v7, v7
	v_max_f32_e32 v1, v1, v1
	v_min_f32_e32 v1, v1, v0
.LBB6_8355:                             ;   in Loop: Header=BB6_7023 Depth=3
	v_and_b32_sdwa v6, v1, s97 dst_sel:DWORD dst_unused:UNUSED_PAD src0_sel:BYTE_3 src1_sel:DWORD
	v_and_b32_e32 v8, 0x7f800000, v1
	v_mov_b32_e32 v9, v51
	v_and_b32_e32 v50, 0x7fffff, v1
	v_or_b32_e32 v53, 0x7b, v6
	v_cmp_ne_u64_e32 vcc, s[52:53], v[8:9]
	s_and_saveexec_b64 s[30:31], vcc
	s_xor_b64 s[68:69], exec, s[30:31]
	s_cbranch_execz .LBB6_8365
; %bb.8356:                             ;   in Loop: Header=BB6_7023 Depth=3
	v_and_b32_e32 v8, 0x7fffffff, v1
	v_mov_b32_e32 v9, v51
	v_cmp_gt_u64_e32 vcc, s[54:55], v[8:9]
	s_and_saveexec_b64 s[70:71], vcc
	s_cbranch_execz .LBB6_8364
; %bb.8357:                             ;   in Loop: Header=BB6_7023 Depth=3
	v_cmp_ne_u32_e32 vcc, 0, v1
	v_mov_b32_e32 v53, 0
	s_and_saveexec_b64 s[72:73], vcc
	s_cbranch_execz .LBB6_8363
; %bb.8358:                             ;   in Loop: Header=BB6_7023 Depth=3
	v_bfe_u32 v0, v1, 23, 8
	v_cmp_eq_u32_e32 vcc, 0, v0
	v_add_u32_e32 v1, 0xffffff81, v0
	v_cmp_gt_u32_e64 s[30:31], s38, v0
	v_sub_u32_e32 v0, 0x71, v0
	v_mov_b32_e32 v8, 0xffffff82
	v_cndmask_b32_e64 v0, 0, v0, s[30:31]
	v_cndmask_b32_e32 v53, v1, v8, vcc
	v_mov_b32_e32 v1, 0x70
	v_cndmask_b32_e32 v54, v0, v1, vcc
	v_add_u32_e32 v0, 21, v54
	v_or_b32_e32 v7, 0x800000, v50
	v_lshlrev_b64 v[0:1], v0, -1
	v_cndmask_b32_e32 v50, v7, v50, vcc
	v_not_b32_e32 v1, v1
	v_not_b32_e32 v0, v0
	v_add_u32_e32 v7, 20, v54
	v_and_b32_e32 v1, 0, v1
	v_and_b32_e32 v0, v50, v0
	v_lshlrev_b64 v[8:9], v7, 1
	v_cmp_eq_u64_e32 vcc, v[0:1], v[8:9]
	v_lshrrev_b64 v[0:1], v54, v[50:51]
	v_lshrrev_b32_e32 v7, 23, v0
	v_add3_u32 v9, v54, v53, v7
	v_bfe_u32 v7, v0, 21, 1
	v_add_u32_e32 v7, -1, v7
	v_cndmask_b32_e32 v7, 0, v7, vcc
	v_add_u32_e32 v7, v7, v0
	v_and_b32_e32 v7, 0x1fffff, v7
	v_add_co_u32_e32 v0, vcc, v7, v0
	v_add_u32_e32 v8, 14, v9
	v_addc_co_u32_e32 v1, vcc, 0, v1, vcc
	v_cmp_ne_u32_e32 vcc, 0, v8
                                        ; implicit-def: $vgpr7
	s_and_saveexec_b64 s[30:31], vcc
	s_xor_b64 s[30:31], exec, s[30:31]
; %bb.8359:                             ;   in Loop: Header=BB6_7023 Depth=3
	v_add_u32_e32 v7, 15, v9
	v_cmp_lt_u64_e32 vcc, s[56:57], v[0:1]
	v_cndmask_b32_e32 v7, v8, v7, vcc
	v_cndmask_b32_e64 v8, 0, 1, vcc
	v_lshrrev_b64 v[0:1], v8, v[0:1]
; %bb.8360:                             ;   in Loop: Header=BB6_7023 Depth=3
	s_andn2_saveexec_b64 vcc, s[30:31]
; %bb.8361:                             ;   in Loop: Header=BB6_7023 Depth=3
	v_bfe_u32 v7, v0, 23, 1
; %bb.8362:                             ;   in Loop: Header=BB6_7023 Depth=3
	s_or_b64 exec, exec, vcc
	v_lshrrev_b64 v[0:1], 21, v[0:1]
	v_cmp_gt_i32_e32 vcc, 32, v7
	v_cndmask_b32_e32 v1, 0, v1, vcc
	v_cndmask_b32_e32 v0, 3, v0, vcc
	v_cmp_eq_u64_e64 s[30:31], 0, v[0:1]
	v_min_i32_e32 v1, 31, v7
	v_cmp_eq_u32_e32 vcc, 0, v7
	v_lshlrev_b32_e32 v1, 2, v1
	v_and_or_b32 v0, v0, 3, v1
	s_and_b64 vcc, vcc, s[30:31]
	v_cndmask_b32_e64 v0, v0, 0, vcc
	v_or_b32_e32 v53, v0, v6
.LBB6_8363:                             ;   in Loop: Header=BB6_7023 Depth=3
	s_or_b64 exec, exec, s[72:73]
.LBB6_8364:                             ;   in Loop: Header=BB6_7023 Depth=3
	s_or_b64 exec, exec, s[70:71]
                                        ; implicit-def: $vgpr1
.LBB6_8365:                             ;   in Loop: Header=BB6_7023 Depth=3
	s_andn2_saveexec_b64 s[30:31], s[68:69]
; %bb.8366:                             ;   in Loop: Header=BB6_7023 Depth=3
	v_or_b32_sdwa v0, v1, s39 dst_sel:DWORD dst_unused:UNUSED_PAD src0_sel:BYTE_3 src1_sel:DWORD
	v_cmp_eq_u64_e32 vcc, 0, v[50:51]
	v_cndmask_b32_e32 v53, v0, v53, vcc
; %bb.8367:                             ;   in Loop: Header=BB6_7023 Depth=3
	s_or_b64 exec, exec, s[30:31]
	v_mov_b32_e32 v50, v3
	v_mov_b32_e32 v0, v11
	;; [unrolled: 1-line block ×3, first 2 shown]
	s_and_b64 vcc, exec, s[28:29]
	v_cmp_ne_u16_sdwa s[30:31], v3, v51 src0_sel:BYTE_0 src1_sel:DWORD
	s_cbranch_vccnz .LBB6_8385
; %bb.8368:                             ;   in Loop: Header=BB6_7023 Depth=3
	v_mov_b32_e32 v7, 0
	v_mov_b32_e32 v6, 0
	s_and_saveexec_b64 s[68:69], s[30:31]
	s_cbranch_execz .LBB6_8376
; %bb.8369:                             ;   in Loop: Header=BB6_7023 Depth=3
	v_cmp_ne_u16_sdwa vcc, v3, s97 src0_sel:BYTE_0 src1_sel:DWORD
	v_bfrev_b32_e32 v6, 1
	s_and_saveexec_b64 s[70:71], vcc
	s_cbranch_execz .LBB6_8375
; %bb.8370:                             ;   in Loop: Header=BB6_7023 Depth=3
	v_and_b32_e32 v6, 0x7c, v3
	v_and_b32_e32 v8, 3, v3
	v_cmp_ne_u32_e32 vcc, s95, v6
                                        ; implicit-def: $vgpr6
	s_and_saveexec_b64 s[72:73], vcc
	s_xor_b64 s[72:73], exec, s[72:73]
	s_cbranch_execz .LBB6_8372
; %bb.8371:                             ;   in Loop: Header=BB6_7023 Depth=3
	v_ffbh_u32_e32 v9, v8
	v_min_u32_e32 v9, 32, v9
	v_subrev_u32_e32 v54, 29, v9
	v_bfe_u32 v6, v3, 2, 5
	v_lshlrev_b64 v[54:55], v54, v[50:51]
	v_sub_u32_e32 v9, 30, v9
	v_and_b32_e32 v54, 3, v54
	v_cmp_eq_u32_e32 vcc, 0, v6
	v_cndmask_b32_e32 v6, v6, v9, vcc
	v_cndmask_b32_e32 v8, v8, v54, vcc
	v_bfrev_b32_e32 v54, 28
	v_lshlrev_b32_e32 v9, 24, v3
	v_lshl_add_u32 v6, v6, 23, v54
	v_and_or_b32 v6, v9, s96, v6
	v_lshl_or_b32 v6, v8, 21, v6
                                        ; implicit-def: $vgpr8
.LBB6_8372:                             ;   in Loop: Header=BB6_7023 Depth=3
	s_andn2_saveexec_b64 s[72:73], s[72:73]
; %bb.8373:                             ;   in Loop: Header=BB6_7023 Depth=3
	v_mov_b32_e32 v6, -1
	v_cmp_gt_i16_sdwa vcc, sext(v3), v6 src0_sel:BYTE_0 src1_sel:DWORD
	v_mov_b32_e32 v6, 0xc7600000
	v_mov_b32_e32 v9, 0x47600000
	v_cndmask_b32_e32 v6, v6, v9, vcc
	v_cmp_eq_u32_e32 vcc, 0, v8
	v_mov_b32_e32 v8, 0x7f800001
	v_cndmask_b32_e32 v6, v8, v6, vcc
; %bb.8374:                             ;   in Loop: Header=BB6_7023 Depth=3
	s_or_b64 exec, exec, s[72:73]
.LBB6_8375:                             ;   in Loop: Header=BB6_7023 Depth=3
	s_or_b64 exec, exec, s[70:71]
.LBB6_8376:                             ;   in Loop: Header=BB6_7023 Depth=3
	s_or_b64 exec, exec, s[68:69]
	v_cmp_ne_u16_sdwa vcc, v11, v51 src0_sel:BYTE_0 src1_sel:DWORD
	s_and_saveexec_b64 s[68:69], vcc
	s_cbranch_execz .LBB6_8384
; %bb.8377:                             ;   in Loop: Header=BB6_7023 Depth=3
	v_cmp_ne_u16_sdwa vcc, v11, s97 src0_sel:BYTE_0 src1_sel:DWORD
	v_bfrev_b32_e32 v7, 1
	s_and_saveexec_b64 s[70:71], vcc
	s_cbranch_execz .LBB6_8383
; %bb.8378:                             ;   in Loop: Header=BB6_7023 Depth=3
	v_and_b32_e32 v7, 0x7c, v11
	v_and_b32_e32 v8, 3, v11
	v_cmp_ne_u32_e32 vcc, s95, v7
                                        ; implicit-def: $vgpr7
	s_and_saveexec_b64 s[72:73], vcc
	s_xor_b64 s[72:73], exec, s[72:73]
	s_cbranch_execz .LBB6_8380
; %bb.8379:                             ;   in Loop: Header=BB6_7023 Depth=3
	v_ffbh_u32_e32 v9, v8
	v_min_u32_e32 v9, 32, v9
	v_subrev_u32_e32 v54, 29, v9
	v_bfe_u32 v7, v11, 2, 5
	v_lshlrev_b64 v[54:55], v54, v[0:1]
	v_sub_u32_e32 v9, 30, v9
	v_and_b32_e32 v54, 3, v54
	v_cmp_eq_u32_e32 vcc, 0, v7
	v_cndmask_b32_e32 v7, v7, v9, vcc
	v_cndmask_b32_e32 v8, v8, v54, vcc
	v_bfrev_b32_e32 v54, 28
	v_lshlrev_b32_e32 v9, 24, v11
	v_lshl_add_u32 v7, v7, 23, v54
	v_and_or_b32 v7, v9, s96, v7
	v_lshl_or_b32 v7, v8, 21, v7
                                        ; implicit-def: $vgpr8
.LBB6_8380:                             ;   in Loop: Header=BB6_7023 Depth=3
	s_andn2_saveexec_b64 s[72:73], s[72:73]
; %bb.8381:                             ;   in Loop: Header=BB6_7023 Depth=3
	v_mov_b32_e32 v7, -1
	v_cmp_gt_i16_sdwa vcc, sext(v11), v7 src0_sel:BYTE_0 src1_sel:DWORD
	v_mov_b32_e32 v7, 0xc7600000
	v_mov_b32_e32 v9, 0x47600000
	v_cndmask_b32_e32 v7, v7, v9, vcc
	v_cmp_eq_u32_e32 vcc, 0, v8
	v_mov_b32_e32 v8, 0x7f800001
	v_cndmask_b32_e32 v7, v8, v7, vcc
; %bb.8382:                             ;   in Loop: Header=BB6_7023 Depth=3
	s_or_b64 exec, exec, s[72:73]
.LBB6_8383:                             ;   in Loop: Header=BB6_7023 Depth=3
	s_or_b64 exec, exec, s[70:71]
.LBB6_8384:                             ;   in Loop: Header=BB6_7023 Depth=3
	s_or_b64 exec, exec, s[68:69]
	v_max_f32_e32 v7, v7, v7
	v_max_f32_e32 v6, v6, v6
	;; [unrolled: 1-line block ×3, first 2 shown]
	s_branch .LBB6_8403
.LBB6_8385:                             ;   in Loop: Header=BB6_7023 Depth=3
                                        ; implicit-def: $vgpr8
	s_cbranch_execz .LBB6_8403
; %bb.8386:                             ;   in Loop: Header=BB6_7023 Depth=3
	v_mov_b32_e32 v7, 0
	v_mov_b32_e32 v6, 0
	s_and_saveexec_b64 s[68:69], s[30:31]
	s_cbranch_execz .LBB6_8394
; %bb.8387:                             ;   in Loop: Header=BB6_7023 Depth=3
	v_cmp_ne_u16_sdwa vcc, v3, s97 src0_sel:BYTE_0 src1_sel:DWORD
	v_bfrev_b32_e32 v6, 1
	s_and_saveexec_b64 s[30:31], vcc
	s_cbranch_execz .LBB6_8393
; %bb.8388:                             ;   in Loop: Header=BB6_7023 Depth=3
	v_and_b32_e32 v6, 0x7c, v3
	v_and_b32_e32 v8, 3, v3
	v_cmp_ne_u32_e32 vcc, s95, v6
                                        ; implicit-def: $vgpr6
	s_and_saveexec_b64 s[70:71], vcc
	s_xor_b64 s[70:71], exec, s[70:71]
	s_cbranch_execz .LBB6_8390
; %bb.8389:                             ;   in Loop: Header=BB6_7023 Depth=3
	v_ffbh_u32_e32 v9, v8
	v_min_u32_e32 v9, 32, v9
	v_subrev_u32_e32 v54, 29, v9
	v_bfe_u32 v6, v3, 2, 5
	v_lshlrev_b64 v[54:55], v54, v[50:51]
	v_sub_u32_e32 v9, 30, v9
	v_and_b32_e32 v54, 3, v54
	v_cmp_eq_u32_e32 vcc, 0, v6
	v_cndmask_b32_e32 v6, v6, v9, vcc
	v_cndmask_b32_e32 v8, v8, v54, vcc
	v_bfrev_b32_e32 v54, 28
	v_lshlrev_b32_e32 v9, 24, v3
	v_lshl_add_u32 v6, v6, 23, v54
	v_and_or_b32 v6, v9, s96, v6
	v_lshl_or_b32 v6, v8, 21, v6
                                        ; implicit-def: $vgpr8
.LBB6_8390:                             ;   in Loop: Header=BB6_7023 Depth=3
	s_andn2_saveexec_b64 s[70:71], s[70:71]
; %bb.8391:                             ;   in Loop: Header=BB6_7023 Depth=3
	v_mov_b32_e32 v6, -1
	v_cmp_gt_i16_sdwa vcc, sext(v3), v6 src0_sel:BYTE_0 src1_sel:DWORD
	v_mov_b32_e32 v6, 0xc7600000
	v_mov_b32_e32 v9, 0x47600000
	v_cndmask_b32_e32 v6, v6, v9, vcc
	v_cmp_eq_u32_e32 vcc, 0, v8
	v_mov_b32_e32 v8, 0x7f800001
	v_cndmask_b32_e32 v6, v8, v6, vcc
; %bb.8392:                             ;   in Loop: Header=BB6_7023 Depth=3
	s_or_b64 exec, exec, s[70:71]
.LBB6_8393:                             ;   in Loop: Header=BB6_7023 Depth=3
	s_or_b64 exec, exec, s[30:31]
.LBB6_8394:                             ;   in Loop: Header=BB6_7023 Depth=3
	s_or_b64 exec, exec, s[68:69]
	v_cmp_ne_u16_sdwa vcc, v11, v51 src0_sel:BYTE_0 src1_sel:DWORD
	s_and_saveexec_b64 s[30:31], vcc
	s_cbranch_execz .LBB6_8402
; %bb.8395:                             ;   in Loop: Header=BB6_7023 Depth=3
	v_cmp_ne_u16_sdwa vcc, v11, s97 src0_sel:BYTE_0 src1_sel:DWORD
	v_bfrev_b32_e32 v7, 1
	s_and_saveexec_b64 s[68:69], vcc
	s_cbranch_execz .LBB6_8401
; %bb.8396:                             ;   in Loop: Header=BB6_7023 Depth=3
	v_and_b32_e32 v7, 0x7c, v11
	v_and_b32_e32 v8, 3, v11
	v_cmp_ne_u32_e32 vcc, s95, v7
                                        ; implicit-def: $vgpr7
	s_and_saveexec_b64 s[70:71], vcc
	s_xor_b64 s[70:71], exec, s[70:71]
	s_cbranch_execz .LBB6_8398
; %bb.8397:                             ;   in Loop: Header=BB6_7023 Depth=3
	v_ffbh_u32_e32 v9, v8
	v_min_u32_e32 v9, 32, v9
	v_subrev_u32_e32 v54, 29, v9
	v_bfe_u32 v7, v11, 2, 5
	v_lshlrev_b64 v[54:55], v54, v[0:1]
	v_sub_u32_e32 v1, 30, v9
	v_and_b32_e32 v9, 3, v54
	v_cmp_eq_u32_e32 vcc, 0, v7
	v_cndmask_b32_e32 v1, v7, v1, vcc
	v_cndmask_b32_e32 v7, v8, v9, vcc
	v_bfrev_b32_e32 v9, 28
	v_lshlrev_b32_e32 v8, 24, v11
	v_lshl_add_u32 v1, v1, 23, v9
	v_and_or_b32 v1, v8, s96, v1
	v_lshl_or_b32 v7, v7, 21, v1
                                        ; implicit-def: $vgpr8
.LBB6_8398:                             ;   in Loop: Header=BB6_7023 Depth=3
	s_andn2_saveexec_b64 s[70:71], s[70:71]
; %bb.8399:                             ;   in Loop: Header=BB6_7023 Depth=3
	v_mov_b32_e32 v1, -1
	v_cmp_gt_i16_sdwa vcc, sext(v11), v1 src0_sel:BYTE_0 src1_sel:DWORD
	v_mov_b32_e32 v1, 0xc7600000
	v_mov_b32_e32 v7, 0x47600000
	v_cndmask_b32_e32 v1, v1, v7, vcc
	v_cmp_eq_u32_e32 vcc, 0, v8
	v_mov_b32_e32 v7, 0x7f800001
	v_cndmask_b32_e32 v7, v7, v1, vcc
; %bb.8400:                             ;   in Loop: Header=BB6_7023 Depth=3
	s_or_b64 exec, exec, s[70:71]
.LBB6_8401:                             ;   in Loop: Header=BB6_7023 Depth=3
	s_or_b64 exec, exec, s[68:69]
.LBB6_8402:                             ;   in Loop: Header=BB6_7023 Depth=3
	s_or_b64 exec, exec, s[30:31]
	v_max_f32_e32 v1, v7, v7
	v_max_f32_e32 v6, v6, v6
	v_min_f32_e32 v8, v6, v1
.LBB6_8403:                             ;   in Loop: Header=BB6_7023 Depth=3
	v_and_b32_sdwa v1, v8, s97 dst_sel:DWORD dst_unused:UNUSED_PAD src0_sel:BYTE_3 src1_sel:DWORD
	v_and_b32_e32 v42, 0x7f800000, v8
	v_mov_b32_e32 v43, v51
	v_and_b32_e32 v6, 0x7fffff, v8
	v_mov_b32_e32 v7, v51
	v_or_b32_e32 v54, 0x7b, v1
	v_cmp_ne_u64_e32 vcc, s[52:53], v[42:43]
	s_and_saveexec_b64 s[30:31], vcc
	s_xor_b64 s[68:69], exec, s[30:31]
	s_cbranch_execz .LBB6_8413
; %bb.8404:                             ;   in Loop: Header=BB6_7023 Depth=3
	v_and_b32_e32 v42, 0x7fffffff, v8
	v_mov_b32_e32 v43, v51
	v_cmp_gt_u64_e32 vcc, s[54:55], v[42:43]
	s_and_saveexec_b64 s[70:71], vcc
	s_cbranch_execz .LBB6_8412
; %bb.8405:                             ;   in Loop: Header=BB6_7023 Depth=3
	v_cmp_ne_u32_e32 vcc, 0, v8
	v_mov_b32_e32 v54, 0
	s_and_saveexec_b64 s[72:73], vcc
	s_cbranch_execz .LBB6_8411
; %bb.8406:                             ;   in Loop: Header=BB6_7023 Depth=3
	v_bfe_u32 v8, v8, 23, 8
	v_cmp_eq_u32_e32 vcc, 0, v8
	v_add_u32_e32 v9, 0xffffff81, v8
	v_cmp_gt_u32_e64 s[30:31], s38, v8
	v_sub_u32_e32 v8, 0x71, v8
	v_mov_b32_e32 v55, 0xffffff82
	v_cndmask_b32_e64 v8, 0, v8, s[30:31]
	v_cndmask_b32_e32 v42, v9, v55, vcc
	v_mov_b32_e32 v9, 0x70
	v_cndmask_b32_e32 v43, v8, v9, vcc
	v_add_u32_e32 v8, 21, v43
	v_or_b32_e32 v54, 0x800000, v6
	v_lshlrev_b64 v[8:9], v8, -1
	v_cndmask_b32_e32 v6, v54, v6, vcc
	v_not_b32_e32 v9, v9
	v_not_b32_e32 v8, v8
	v_add_u32_e32 v54, 20, v43
	v_and_b32_e32 v9, 0, v9
	v_and_b32_e32 v8, v6, v8
	v_lshlrev_b64 v[54:55], v54, 1
	v_lshrrev_b64 v[6:7], v43, v[6:7]
	v_cmp_eq_u64_e32 vcc, v[8:9], v[54:55]
	v_lshrrev_b32_e32 v8, 23, v6
	v_add3_u32 v54, v43, v42, v8
	v_bfe_u32 v8, v6, 21, 1
	v_add_u32_e32 v8, -1, v8
	v_cndmask_b32_e32 v8, 0, v8, vcc
	v_add_u32_e32 v8, v8, v6
	v_and_b32_e32 v8, 0x1fffff, v8
	v_add_co_u32_e32 v6, vcc, v8, v6
	v_add_u32_e32 v9, 14, v54
	v_addc_co_u32_e32 v7, vcc, 0, v7, vcc
	v_cmp_ne_u32_e32 vcc, 0, v9
                                        ; implicit-def: $vgpr8
	s_and_saveexec_b64 s[30:31], vcc
	s_xor_b64 s[30:31], exec, s[30:31]
; %bb.8407:                             ;   in Loop: Header=BB6_7023 Depth=3
	v_add_u32_e32 v8, 15, v54
	v_cmp_lt_u64_e32 vcc, s[56:57], v[6:7]
	v_cndmask_b32_e32 v8, v9, v8, vcc
	v_cndmask_b32_e64 v9, 0, 1, vcc
	v_lshrrev_b64 v[6:7], v9, v[6:7]
; %bb.8408:                             ;   in Loop: Header=BB6_7023 Depth=3
	s_andn2_saveexec_b64 vcc, s[30:31]
; %bb.8409:                             ;   in Loop: Header=BB6_7023 Depth=3
	v_bfe_u32 v8, v6, 23, 1
; %bb.8410:                             ;   in Loop: Header=BB6_7023 Depth=3
	s_or_b64 exec, exec, vcc
	v_lshrrev_b64 v[6:7], 21, v[6:7]
	v_cmp_gt_i32_e32 vcc, 32, v8
	v_cndmask_b32_e32 v7, 0, v7, vcc
	v_cndmask_b32_e32 v6, 3, v6, vcc
	v_cmp_eq_u64_e64 s[30:31], 0, v[6:7]
	v_min_i32_e32 v7, 31, v8
	v_cmp_eq_u32_e32 vcc, 0, v8
	v_lshlrev_b32_e32 v7, 2, v7
	v_and_or_b32 v6, v6, 3, v7
	s_and_b64 vcc, vcc, s[30:31]
	v_cndmask_b32_e64 v6, v6, 0, vcc
	v_or_b32_e32 v54, v6, v1
.LBB6_8411:                             ;   in Loop: Header=BB6_7023 Depth=3
	s_or_b64 exec, exec, s[72:73]
.LBB6_8412:                             ;   in Loop: Header=BB6_7023 Depth=3
	s_or_b64 exec, exec, s[70:71]
                                        ; implicit-def: $vgpr8
                                        ; implicit-def: $vgpr6_vgpr7
.LBB6_8413:                             ;   in Loop: Header=BB6_7023 Depth=3
	s_andn2_saveexec_b64 s[30:31], s[68:69]
; %bb.8414:                             ;   in Loop: Header=BB6_7023 Depth=3
	v_or_b32_sdwa v1, v8, s39 dst_sel:DWORD dst_unused:UNUSED_PAD src0_sel:BYTE_3 src1_sel:DWORD
	v_cmp_eq_u64_e32 vcc, 0, v[6:7]
	v_cndmask_b32_e32 v54, v1, v54, vcc
; %bb.8415:                             ;   in Loop: Header=BB6_7023 Depth=3
	s_or_b64 exec, exec, s[30:31]
	v_lshrrev_b16_e32 v8, 8, v50
	v_lshrrev_b16_e32 v6, 8, v0
	s_and_b64 vcc, exec, s[28:29]
	v_cmp_ne_u16_e64 s[30:31], 0, v8
	s_cbranch_vccnz .LBB6_8433
; %bb.8416:                             ;   in Loop: Header=BB6_7023 Depth=3
	v_mov_b32_e32 v7, 0
	v_mov_b32_e32 v1, 0
	s_and_saveexec_b64 s[68:69], s[30:31]
	s_cbranch_execz .LBB6_8424
; %bb.8417:                             ;   in Loop: Header=BB6_7023 Depth=3
	v_cmp_ne_u16_e32 vcc, s97, v8
	v_bfrev_b32_e32 v1, 1
	s_and_saveexec_b64 s[70:71], vcc
	s_cbranch_execz .LBB6_8423
; %bb.8418:                             ;   in Loop: Header=BB6_7023 Depth=3
	v_and_b32_e32 v1, 0x7c, v8
	v_and_b32_e32 v55, 3, v8
	v_cmp_ne_u32_e32 vcc, s95, v1
                                        ; implicit-def: $vgpr1
	s_and_saveexec_b64 s[72:73], vcc
	s_xor_b64 s[72:73], exec, s[72:73]
	s_cbranch_execz .LBB6_8420
; %bb.8419:                             ;   in Loop: Header=BB6_7023 Depth=3
	v_ffbh_u32_e32 v42, v55
	v_accvgpr_write_b32 a5, v44
	v_min_u32_e32 v44, 32, v42
	v_mov_b32_e32 v9, v51
	v_subrev_u32_e32 v42, 29, v44
	v_bfe_u32 v1, v8, 2, 5
	v_lshlrev_b64 v[42:43], v42, v[8:9]
	v_sub_u32_e32 v9, 30, v44
	v_and_b32_e32 v42, 3, v42
	v_cmp_eq_u32_e32 vcc, 0, v1
	v_cndmask_b32_e32 v1, v1, v9, vcc
	v_cndmask_b32_e32 v9, v55, v42, vcc
	v_bfrev_b32_e32 v42, 28
	v_lshlrev_b32_e32 v55, 16, v50
	v_lshl_add_u32 v1, v1, 23, v42
	v_and_or_b32 v1, v55, s96, v1
	v_accvgpr_read_b32 v44, a5
	v_lshl_or_b32 v1, v9, 21, v1
                                        ; implicit-def: $vgpr55
.LBB6_8420:                             ;   in Loop: Header=BB6_7023 Depth=3
	s_andn2_saveexec_b64 s[72:73], s[72:73]
; %bb.8421:                             ;   in Loop: Header=BB6_7023 Depth=3
	v_cmp_lt_i16_e32 vcc, -1, v50
	v_mov_b32_e32 v1, 0xc7600000
	v_mov_b32_e32 v9, 0x47600000
	v_cndmask_b32_e32 v1, v1, v9, vcc
	v_cmp_eq_u32_e32 vcc, 0, v55
	v_mov_b32_e32 v9, 0x7f800001
	v_cndmask_b32_e32 v1, v9, v1, vcc
; %bb.8422:                             ;   in Loop: Header=BB6_7023 Depth=3
	s_or_b64 exec, exec, s[72:73]
.LBB6_8423:                             ;   in Loop: Header=BB6_7023 Depth=3
	s_or_b64 exec, exec, s[70:71]
.LBB6_8424:                             ;   in Loop: Header=BB6_7023 Depth=3
	s_or_b64 exec, exec, s[68:69]
	v_cmp_ne_u16_e32 vcc, 0, v6
	s_and_saveexec_b64 s[68:69], vcc
	s_cbranch_execz .LBB6_8432
; %bb.8425:                             ;   in Loop: Header=BB6_7023 Depth=3
	v_cmp_ne_u16_e32 vcc, s97, v6
	v_bfrev_b32_e32 v7, 1
	s_and_saveexec_b64 s[70:71], vcc
	s_cbranch_execz .LBB6_8431
; %bb.8426:                             ;   in Loop: Header=BB6_7023 Depth=3
	v_and_b32_e32 v7, 0x7c, v6
	v_and_b32_e32 v9, 3, v6
	v_cmp_ne_u32_e32 vcc, s95, v7
                                        ; implicit-def: $vgpr7
	s_and_saveexec_b64 s[72:73], vcc
	s_xor_b64 s[72:73], exec, s[72:73]
	s_cbranch_execz .LBB6_8428
; %bb.8427:                             ;   in Loop: Header=BB6_7023 Depth=3
	v_ffbh_u32_e32 v42, v9
	v_accvgpr_write_b32 a5, v44
	v_min_u32_e32 v44, 32, v42
	v_mov_b32_e32 v7, v51
	v_subrev_u32_e32 v42, 29, v44
	v_bfe_u32 v55, v6, 2, 5
	v_lshlrev_b64 v[42:43], v42, v[6:7]
	v_sub_u32_e32 v7, 30, v44
	v_and_b32_e32 v42, 3, v42
	v_cmp_eq_u32_e32 vcc, 0, v55
	v_cndmask_b32_e32 v7, v55, v7, vcc
	v_cndmask_b32_e32 v9, v9, v42, vcc
	v_bfrev_b32_e32 v42, 28
	v_lshlrev_b32_e32 v55, 16, v0
	v_lshl_add_u32 v7, v7, 23, v42
	v_and_or_b32 v7, v55, s96, v7
	v_accvgpr_read_b32 v44, a5
	v_lshl_or_b32 v7, v9, 21, v7
                                        ; implicit-def: $vgpr9
.LBB6_8428:                             ;   in Loop: Header=BB6_7023 Depth=3
	s_andn2_saveexec_b64 s[72:73], s[72:73]
; %bb.8429:                             ;   in Loop: Header=BB6_7023 Depth=3
	v_cmp_lt_i16_e32 vcc, -1, v0
	v_mov_b32_e32 v7, 0xc7600000
	v_mov_b32_e32 v55, 0x47600000
	v_cndmask_b32_e32 v7, v7, v55, vcc
	v_cmp_eq_u32_e32 vcc, 0, v9
	v_mov_b32_e32 v9, 0x7f800001
	v_cndmask_b32_e32 v7, v9, v7, vcc
; %bb.8430:                             ;   in Loop: Header=BB6_7023 Depth=3
	s_or_b64 exec, exec, s[72:73]
.LBB6_8431:                             ;   in Loop: Header=BB6_7023 Depth=3
	s_or_b64 exec, exec, s[70:71]
.LBB6_8432:                             ;   in Loop: Header=BB6_7023 Depth=3
	s_or_b64 exec, exec, s[68:69]
	v_max_f32_e32 v7, v7, v7
	v_max_f32_e32 v1, v1, v1
	;; [unrolled: 1-line block ×3, first 2 shown]
	s_branch .LBB6_8451
.LBB6_8433:                             ;   in Loop: Header=BB6_7023 Depth=3
                                        ; implicit-def: $vgpr1
	s_cbranch_execz .LBB6_8451
; %bb.8434:                             ;   in Loop: Header=BB6_7023 Depth=3
	v_mov_b32_e32 v7, 0
	v_mov_b32_e32 v9, 0
	s_and_saveexec_b64 s[68:69], s[30:31]
	s_cbranch_execz .LBB6_8442
; %bb.8435:                             ;   in Loop: Header=BB6_7023 Depth=3
	v_cmp_ne_u16_e32 vcc, s97, v8
	v_bfrev_b32_e32 v9, 1
	s_and_saveexec_b64 s[30:31], vcc
	s_cbranch_execz .LBB6_8441
; %bb.8436:                             ;   in Loop: Header=BB6_7023 Depth=3
	v_and_b32_e32 v9, 0x7c, v8
	v_and_b32_e32 v1, 3, v8
	v_cmp_ne_u32_e32 vcc, s95, v9
                                        ; implicit-def: $vgpr9
	s_and_saveexec_b64 s[70:71], vcc
	s_xor_b64 s[70:71], exec, s[70:71]
	s_cbranch_execz .LBB6_8438
; %bb.8437:                             ;   in Loop: Header=BB6_7023 Depth=3
	v_ffbh_u32_e32 v42, v1
	v_min_u32_e32 v42, 32, v42
	v_mov_b32_e32 v9, v51
	v_subrev_u32_e32 v43, 29, v42
	v_bfe_u32 v55, v8, 2, 5
	v_lshlrev_b64 v[8:9], v43, v[8:9]
	v_sub_u32_e32 v9, 30, v42
	v_and_b32_e32 v8, 3, v8
	v_cmp_eq_u32_e32 vcc, 0, v55
	v_cndmask_b32_e32 v9, v55, v9, vcc
	v_cndmask_b32_e32 v1, v1, v8, vcc
	v_lshlrev_b32_e32 v8, 16, v50
	v_bfrev_b32_e32 v50, 28
	v_lshl_add_u32 v9, v9, 23, v50
	v_and_or_b32 v8, v8, s96, v9
	v_lshl_or_b32 v9, v1, 21, v8
                                        ; implicit-def: $vgpr1
.LBB6_8438:                             ;   in Loop: Header=BB6_7023 Depth=3
	s_andn2_saveexec_b64 s[70:71], s[70:71]
; %bb.8439:                             ;   in Loop: Header=BB6_7023 Depth=3
	v_cmp_lt_i16_e32 vcc, -1, v50
	v_mov_b32_e32 v8, 0xc7600000
	v_mov_b32_e32 v9, 0x47600000
	v_cndmask_b32_e32 v8, v8, v9, vcc
	v_cmp_eq_u32_e32 vcc, 0, v1
	v_mov_b32_e32 v1, 0x7f800001
	v_cndmask_b32_e32 v9, v1, v8, vcc
; %bb.8440:                             ;   in Loop: Header=BB6_7023 Depth=3
	s_or_b64 exec, exec, s[70:71]
.LBB6_8441:                             ;   in Loop: Header=BB6_7023 Depth=3
	s_or_b64 exec, exec, s[30:31]
.LBB6_8442:                             ;   in Loop: Header=BB6_7023 Depth=3
	s_or_b64 exec, exec, s[68:69]
	v_cmp_ne_u16_e32 vcc, 0, v6
	s_and_saveexec_b64 s[30:31], vcc
	s_cbranch_execz .LBB6_8450
; %bb.8443:                             ;   in Loop: Header=BB6_7023 Depth=3
	v_cmp_ne_u16_e32 vcc, s97, v6
	v_bfrev_b32_e32 v7, 1
	s_and_saveexec_b64 s[68:69], vcc
	s_cbranch_execz .LBB6_8449
; %bb.8444:                             ;   in Loop: Header=BB6_7023 Depth=3
	v_and_b32_e32 v1, 0x7c, v6
	v_and_b32_e32 v8, 3, v6
	v_cmp_ne_u32_e32 vcc, s95, v1
                                        ; implicit-def: $vgpr7
	s_and_saveexec_b64 s[70:71], vcc
	s_xor_b64 s[70:71], exec, s[70:71]
	s_cbranch_execz .LBB6_8446
; %bb.8445:                             ;   in Loop: Header=BB6_7023 Depth=3
	v_ffbh_u32_e32 v50, v8
	v_min_u32_e32 v50, 32, v50
	v_mov_b32_e32 v7, v51
	v_subrev_u32_e32 v55, 29, v50
	v_bfe_u32 v1, v6, 2, 5
	v_lshlrev_b64 v[6:7], v55, v[6:7]
	v_sub_u32_e32 v7, 30, v50
	v_cmp_eq_u32_e32 vcc, 0, v1
	v_cndmask_b32_e32 v1, v1, v7, vcc
	v_bfrev_b32_e32 v7, 28
	v_and_b32_e32 v6, 3, v6
	v_lshlrev_b32_e32 v0, 16, v0
	v_lshl_add_u32 v1, v1, 23, v7
	v_cndmask_b32_e32 v6, v8, v6, vcc
	v_and_or_b32 v0, v0, s96, v1
	v_lshl_or_b32 v7, v6, 21, v0
                                        ; implicit-def: $vgpr8
                                        ; implicit-def: $vgpr0_vgpr1
.LBB6_8446:                             ;   in Loop: Header=BB6_7023 Depth=3
	s_andn2_saveexec_b64 s[70:71], s[70:71]
; %bb.8447:                             ;   in Loop: Header=BB6_7023 Depth=3
	v_cmp_lt_i16_e32 vcc, -1, v0
	v_mov_b32_e32 v0, 0xc7600000
	v_mov_b32_e32 v1, 0x47600000
	v_cndmask_b32_e32 v0, v0, v1, vcc
	v_cmp_eq_u32_e32 vcc, 0, v8
	v_mov_b32_e32 v1, 0x7f800001
	v_cndmask_b32_e32 v7, v1, v0, vcc
; %bb.8448:                             ;   in Loop: Header=BB6_7023 Depth=3
	s_or_b64 exec, exec, s[70:71]
.LBB6_8449:                             ;   in Loop: Header=BB6_7023 Depth=3
	s_or_b64 exec, exec, s[68:69]
.LBB6_8450:                             ;   in Loop: Header=BB6_7023 Depth=3
	s_or_b64 exec, exec, s[30:31]
	v_max_f32_e32 v0, v7, v7
	v_max_f32_e32 v1, v9, v9
	v_min_f32_e32 v1, v1, v0
.LBB6_8451:                             ;   in Loop: Header=BB6_7023 Depth=3
	v_and_b32_sdwa v6, v1, s97 dst_sel:DWORD dst_unused:UNUSED_PAD src0_sel:BYTE_3 src1_sel:DWORD
	v_and_b32_e32 v8, 0x7f800000, v1
	v_mov_b32_e32 v9, v51
	v_and_b32_e32 v50, 0x7fffff, v1
	v_or_b32_e32 v7, 0x7b, v6
	v_cmp_ne_u64_e32 vcc, s[52:53], v[8:9]
	s_and_saveexec_b64 s[30:31], vcc
	s_xor_b64 s[68:69], exec, s[30:31]
	s_cbranch_execz .LBB6_8461
; %bb.8452:                             ;   in Loop: Header=BB6_7023 Depth=3
	v_and_b32_e32 v8, 0x7fffffff, v1
	v_mov_b32_e32 v9, v51
	v_cmp_gt_u64_e32 vcc, s[54:55], v[8:9]
	s_and_saveexec_b64 s[70:71], vcc
	s_cbranch_execz .LBB6_8460
; %bb.8453:                             ;   in Loop: Header=BB6_7023 Depth=3
	v_cmp_ne_u32_e32 vcc, 0, v1
	v_mov_b32_e32 v7, 0
	s_and_saveexec_b64 s[72:73], vcc
	s_cbranch_execz .LBB6_8459
; %bb.8454:                             ;   in Loop: Header=BB6_7023 Depth=3
	v_bfe_u32 v0, v1, 23, 8
	v_cmp_eq_u32_e32 vcc, 0, v0
	v_add_u32_e32 v1, 0xffffff81, v0
	v_cmp_gt_u32_e64 s[30:31], s38, v0
	v_sub_u32_e32 v0, 0x71, v0
	v_mov_b32_e32 v8, 0xffffff82
	v_cndmask_b32_e64 v0, 0, v0, s[30:31]
	v_cndmask_b32_e32 v55, v1, v8, vcc
	v_mov_b32_e32 v1, 0x70
	v_cndmask_b32_e32 v42, v0, v1, vcc
	v_add_u32_e32 v0, 21, v42
	v_or_b32_e32 v7, 0x800000, v50
	v_lshlrev_b64 v[0:1], v0, -1
	v_cndmask_b32_e32 v50, v7, v50, vcc
	v_not_b32_e32 v1, v1
	v_not_b32_e32 v0, v0
	v_add_u32_e32 v7, 20, v42
	v_and_b32_e32 v1, 0, v1
	v_and_b32_e32 v0, v50, v0
	v_lshlrev_b64 v[8:9], v7, 1
	v_cmp_eq_u64_e32 vcc, v[0:1], v[8:9]
	v_lshrrev_b64 v[0:1], v42, v[50:51]
	v_lshrrev_b32_e32 v7, 23, v0
	v_add3_u32 v9, v42, v55, v7
	v_bfe_u32 v7, v0, 21, 1
	v_add_u32_e32 v7, -1, v7
	v_cndmask_b32_e32 v7, 0, v7, vcc
	v_add_u32_e32 v7, v7, v0
	v_and_b32_e32 v7, 0x1fffff, v7
	v_add_co_u32_e32 v0, vcc, v7, v0
	v_add_u32_e32 v8, 14, v9
	v_addc_co_u32_e32 v1, vcc, 0, v1, vcc
	v_cmp_ne_u32_e32 vcc, 0, v8
                                        ; implicit-def: $vgpr7
	s_and_saveexec_b64 s[30:31], vcc
	s_xor_b64 s[30:31], exec, s[30:31]
; %bb.8455:                             ;   in Loop: Header=BB6_7023 Depth=3
	v_add_u32_e32 v7, 15, v9
	v_cmp_lt_u64_e32 vcc, s[56:57], v[0:1]
	v_cndmask_b32_e32 v7, v8, v7, vcc
	v_cndmask_b32_e64 v8, 0, 1, vcc
	v_lshrrev_b64 v[0:1], v8, v[0:1]
; %bb.8456:                             ;   in Loop: Header=BB6_7023 Depth=3
	s_andn2_saveexec_b64 vcc, s[30:31]
; %bb.8457:                             ;   in Loop: Header=BB6_7023 Depth=3
	v_bfe_u32 v7, v0, 23, 1
; %bb.8458:                             ;   in Loop: Header=BB6_7023 Depth=3
	s_or_b64 exec, exec, vcc
	v_lshrrev_b64 v[0:1], 21, v[0:1]
	v_cmp_gt_i32_e32 vcc, 32, v7
	v_cndmask_b32_e32 v1, 0, v1, vcc
	v_cndmask_b32_e32 v0, 3, v0, vcc
	v_cmp_eq_u64_e64 s[30:31], 0, v[0:1]
	v_min_i32_e32 v1, 31, v7
	v_cmp_eq_u32_e32 vcc, 0, v7
	v_lshlrev_b32_e32 v1, 2, v1
	v_and_or_b32 v0, v0, 3, v1
	s_and_b64 vcc, vcc, s[30:31]
	v_cndmask_b32_e64 v0, v0, 0, vcc
	v_or_b32_e32 v7, v0, v6
.LBB6_8459:                             ;   in Loop: Header=BB6_7023 Depth=3
	s_or_b64 exec, exec, s[72:73]
.LBB6_8460:                             ;   in Loop: Header=BB6_7023 Depth=3
	s_or_b64 exec, exec, s[70:71]
                                        ; implicit-def: $vgpr1
.LBB6_8461:                             ;   in Loop: Header=BB6_7023 Depth=3
	s_andn2_saveexec_b64 s[30:31], s[68:69]
; %bb.8462:                             ;   in Loop: Header=BB6_7023 Depth=3
	v_or_b32_sdwa v0, v1, s39 dst_sel:DWORD dst_unused:UNUSED_PAD src0_sel:BYTE_3 src1_sel:DWORD
	v_cmp_eq_u64_e32 vcc, 0, v[50:51]
	v_cndmask_b32_e32 v7, v0, v7, vcc
; %bb.8463:                             ;   in Loop: Header=BB6_7023 Depth=3
	s_or_b64 exec, exec, s[30:31]
	v_lshrrev_b32_e32 v6, 16, v3
	v_lshrrev_b32_e32 v0, 16, v11
	s_and_b64 vcc, exec, s[28:29]
	v_cmp_ne_u16_sdwa s[30:31], v6, v51 src0_sel:BYTE_0 src1_sel:DWORD
	s_cbranch_vccnz .LBB6_8481
; %bb.8464:                             ;   in Loop: Header=BB6_7023 Depth=3
	v_mov_b32_e32 v8, 0
	v_mov_b32_e32 v1, 0
	s_and_saveexec_b64 s[68:69], s[30:31]
	s_cbranch_execz .LBB6_8472
; %bb.8465:                             ;   in Loop: Header=BB6_7023 Depth=3
	v_cmp_ne_u16_sdwa vcc, v6, s97 src0_sel:BYTE_0 src1_sel:DWORD
	v_bfrev_b32_e32 v1, 1
	s_and_saveexec_b64 s[70:71], vcc
	s_cbranch_execz .LBB6_8471
; %bb.8466:                             ;   in Loop: Header=BB6_7023 Depth=3
	v_and_b32_e32 v1, 0x7c0000, v3
	v_bfe_u32 v9, v3, 16, 2
	v_cmp_ne_u32_e32 vcc, s36, v1
                                        ; implicit-def: $vgpr1
	s_and_saveexec_b64 s[72:73], vcc
	s_xor_b64 s[72:73], exec, s[72:73]
	s_cbranch_execz .LBB6_8468
; %bb.8467:                             ;   in Loop: Header=BB6_7023 Depth=3
	v_ffbh_u32_e32 v50, v9
	v_min_u32_e32 v50, 32, v50
	v_subrev_u32_e32 v55, 29, v50
	v_bfe_u32 v1, v3, 18, 5
	v_lshlrev_b64 v[42:43], v55, v[6:7]
	v_sub_u32_e32 v50, 30, v50
	v_and_b32_e32 v55, 3, v42
	v_cmp_eq_u32_e32 vcc, 0, v1
	v_cndmask_b32_e32 v1, v1, v50, vcc
	v_cndmask_b32_e32 v9, v9, v55, vcc
	v_bfrev_b32_e32 v55, 28
	v_lshlrev_b32_e32 v50, 24, v6
	v_lshl_add_u32 v1, v1, 23, v55
	v_and_or_b32 v1, v50, s96, v1
	v_lshl_or_b32 v1, v9, 21, v1
                                        ; implicit-def: $vgpr9
.LBB6_8468:                             ;   in Loop: Header=BB6_7023 Depth=3
	s_andn2_saveexec_b64 s[72:73], s[72:73]
; %bb.8469:                             ;   in Loop: Header=BB6_7023 Depth=3
	v_mov_b32_e32 v1, -1
	v_cmp_gt_i16_sdwa vcc, sext(v6), v1 src0_sel:BYTE_0 src1_sel:DWORD
	v_mov_b32_e32 v1, 0xc7600000
	v_mov_b32_e32 v50, 0x47600000
	v_cndmask_b32_e32 v1, v1, v50, vcc
	v_cmp_eq_u32_e32 vcc, 0, v9
	v_mov_b32_e32 v9, 0x7f800001
	v_cndmask_b32_e32 v1, v9, v1, vcc
; %bb.8470:                             ;   in Loop: Header=BB6_7023 Depth=3
	s_or_b64 exec, exec, s[72:73]
.LBB6_8471:                             ;   in Loop: Header=BB6_7023 Depth=3
	s_or_b64 exec, exec, s[70:71]
.LBB6_8472:                             ;   in Loop: Header=BB6_7023 Depth=3
	s_or_b64 exec, exec, s[68:69]
	v_cmp_ne_u16_sdwa vcc, v0, v51 src0_sel:BYTE_0 src1_sel:DWORD
	s_and_saveexec_b64 s[68:69], vcc
	s_cbranch_execz .LBB6_8480
; %bb.8473:                             ;   in Loop: Header=BB6_7023 Depth=3
	v_cmp_ne_u16_sdwa vcc, v0, s97 src0_sel:BYTE_0 src1_sel:DWORD
	v_bfrev_b32_e32 v8, 1
	s_and_saveexec_b64 s[70:71], vcc
	s_cbranch_execz .LBB6_8479
; %bb.8474:                             ;   in Loop: Header=BB6_7023 Depth=3
	v_and_b32_e32 v8, 0x7c0000, v11
	v_bfe_u32 v9, v11, 16, 2
	v_cmp_ne_u32_e32 vcc, s36, v8
                                        ; implicit-def: $vgpr8
	s_and_saveexec_b64 s[72:73], vcc
	s_xor_b64 s[72:73], exec, s[72:73]
	s_cbranch_execz .LBB6_8476
; %bb.8475:                             ;   in Loop: Header=BB6_7023 Depth=3
	v_ffbh_u32_e32 v50, v9
	v_min_u32_e32 v50, 32, v50
	v_subrev_u32_e32 v55, 29, v50
	v_bfe_u32 v8, v11, 18, 5
	v_lshlrev_b64 v[42:43], v55, v[0:1]
	v_sub_u32_e32 v50, 30, v50
	v_and_b32_e32 v55, 3, v42
	v_cmp_eq_u32_e32 vcc, 0, v8
	v_cndmask_b32_e32 v8, v8, v50, vcc
	v_cndmask_b32_e32 v9, v9, v55, vcc
	v_bfrev_b32_e32 v55, 28
	v_lshlrev_b32_e32 v50, 24, v0
	v_lshl_add_u32 v8, v8, 23, v55
	v_and_or_b32 v8, v50, s96, v8
	v_lshl_or_b32 v8, v9, 21, v8
                                        ; implicit-def: $vgpr9
.LBB6_8476:                             ;   in Loop: Header=BB6_7023 Depth=3
	s_andn2_saveexec_b64 s[72:73], s[72:73]
; %bb.8477:                             ;   in Loop: Header=BB6_7023 Depth=3
	v_mov_b32_e32 v8, -1
	v_cmp_gt_i16_sdwa vcc, sext(v0), v8 src0_sel:BYTE_0 src1_sel:DWORD
	v_mov_b32_e32 v8, 0xc7600000
	v_mov_b32_e32 v50, 0x47600000
	v_cndmask_b32_e32 v8, v8, v50, vcc
	v_cmp_eq_u32_e32 vcc, 0, v9
	v_mov_b32_e32 v9, 0x7f800001
	v_cndmask_b32_e32 v8, v9, v8, vcc
; %bb.8478:                             ;   in Loop: Header=BB6_7023 Depth=3
	s_or_b64 exec, exec, s[72:73]
.LBB6_8479:                             ;   in Loop: Header=BB6_7023 Depth=3
	s_or_b64 exec, exec, s[70:71]
.LBB6_8480:                             ;   in Loop: Header=BB6_7023 Depth=3
	s_or_b64 exec, exec, s[68:69]
	v_max_f32_e32 v8, v8, v8
	v_max_f32_e32 v1, v1, v1
	;; [unrolled: 1-line block ×3, first 2 shown]
	s_branch .LBB6_8499
.LBB6_8481:                             ;   in Loop: Header=BB6_7023 Depth=3
                                        ; implicit-def: $vgpr1
	s_cbranch_execz .LBB6_8499
; %bb.8482:                             ;   in Loop: Header=BB6_7023 Depth=3
	v_mov_b32_e32 v8, 0
	v_mov_b32_e32 v1, 0
	s_and_saveexec_b64 s[68:69], s[30:31]
	s_cbranch_execz .LBB6_8490
; %bb.8483:                             ;   in Loop: Header=BB6_7023 Depth=3
	v_cmp_ne_u16_sdwa vcc, v6, s97 src0_sel:BYTE_0 src1_sel:DWORD
	v_bfrev_b32_e32 v1, 1
	s_and_saveexec_b64 s[30:31], vcc
	s_cbranch_execz .LBB6_8489
; %bb.8484:                             ;   in Loop: Header=BB6_7023 Depth=3
	v_and_b32_e32 v1, 0x7c0000, v3
	v_bfe_u32 v9, v3, 16, 2
	v_cmp_ne_u32_e32 vcc, s36, v1
                                        ; implicit-def: $vgpr1
	s_and_saveexec_b64 s[70:71], vcc
	s_xor_b64 s[70:71], exec, s[70:71]
	s_cbranch_execz .LBB6_8486
; %bb.8485:                             ;   in Loop: Header=BB6_7023 Depth=3
	v_ffbh_u32_e32 v50, v9
	v_bfe_u32 v1, v3, 18, 5
	v_min_u32_e32 v50, 32, v50
	v_subrev_u32_e32 v55, 29, v50
	v_sub_u32_e32 v50, 30, v50
	v_cmp_eq_u32_e32 vcc, 0, v1
	v_lshlrev_b64 v[42:43], v55, v[6:7]
	v_cndmask_b32_e32 v1, v1, v50, vcc
	v_bfrev_b32_e32 v50, 28
	v_and_b32_e32 v55, 3, v42
	v_lshlrev_b32_e32 v6, 24, v6
	v_lshl_add_u32 v1, v1, 23, v50
	v_cndmask_b32_e32 v9, v9, v55, vcc
	v_and_or_b32 v1, v6, s96, v1
	v_lshl_or_b32 v1, v9, 21, v1
                                        ; implicit-def: $vgpr9
                                        ; implicit-def: $vgpr6
.LBB6_8486:                             ;   in Loop: Header=BB6_7023 Depth=3
	s_andn2_saveexec_b64 s[70:71], s[70:71]
; %bb.8487:                             ;   in Loop: Header=BB6_7023 Depth=3
	v_mov_b32_e32 v1, -1
	v_cmp_gt_i16_sdwa vcc, sext(v6), v1 src0_sel:BYTE_0 src1_sel:DWORD
	v_mov_b32_e32 v1, 0xc7600000
	v_mov_b32_e32 v6, 0x47600000
	v_cndmask_b32_e32 v1, v1, v6, vcc
	v_cmp_eq_u32_e32 vcc, 0, v9
	v_mov_b32_e32 v6, 0x7f800001
	v_cndmask_b32_e32 v1, v6, v1, vcc
; %bb.8488:                             ;   in Loop: Header=BB6_7023 Depth=3
	s_or_b64 exec, exec, s[70:71]
.LBB6_8489:                             ;   in Loop: Header=BB6_7023 Depth=3
	s_or_b64 exec, exec, s[30:31]
.LBB6_8490:                             ;   in Loop: Header=BB6_7023 Depth=3
	s_or_b64 exec, exec, s[68:69]
	v_cmp_ne_u16_sdwa vcc, v0, v51 src0_sel:BYTE_0 src1_sel:DWORD
	s_and_saveexec_b64 s[30:31], vcc
	s_cbranch_execz .LBB6_8498
; %bb.8491:                             ;   in Loop: Header=BB6_7023 Depth=3
	v_cmp_ne_u16_sdwa vcc, v0, s97 src0_sel:BYTE_0 src1_sel:DWORD
	v_bfrev_b32_e32 v8, 1
	s_and_saveexec_b64 s[68:69], vcc
	s_cbranch_execz .LBB6_8497
; %bb.8492:                             ;   in Loop: Header=BB6_7023 Depth=3
	v_and_b32_e32 v8, 0x7c0000, v11
	v_bfe_u32 v6, v11, 16, 2
	v_cmp_ne_u32_e32 vcc, s36, v8
                                        ; implicit-def: $vgpr8
	s_and_saveexec_b64 s[70:71], vcc
	s_xor_b64 s[70:71], exec, s[70:71]
	s_cbranch_execz .LBB6_8494
; %bb.8493:                             ;   in Loop: Header=BB6_7023 Depth=3
	v_ffbh_u32_e32 v8, v6
	v_min_u32_e32 v55, 32, v8
	v_subrev_u32_e32 v8, 29, v55
	v_bfe_u32 v50, v11, 18, 5
	v_lshlrev_b64 v[8:9], v8, v[0:1]
	v_sub_u32_e32 v9, 30, v55
	v_and_b32_e32 v8, 3, v8
	v_cmp_eq_u32_e32 vcc, 0, v50
	v_cndmask_b32_e32 v9, v50, v9, vcc
	v_cndmask_b32_e32 v6, v6, v8, vcc
	v_bfrev_b32_e32 v8, 28
	v_lshlrev_b32_e32 v0, 24, v0
	v_lshl_add_u32 v8, v9, 23, v8
	v_and_or_b32 v0, v0, s96, v8
	v_lshl_or_b32 v8, v6, 21, v0
                                        ; implicit-def: $vgpr6
                                        ; implicit-def: $vgpr0
.LBB6_8494:                             ;   in Loop: Header=BB6_7023 Depth=3
	s_andn2_saveexec_b64 s[70:71], s[70:71]
; %bb.8495:                             ;   in Loop: Header=BB6_7023 Depth=3
	v_mov_b32_e32 v8, -1
	v_cmp_gt_i16_sdwa vcc, sext(v0), v8 src0_sel:BYTE_0 src1_sel:DWORD
	v_mov_b32_e32 v0, 0xc7600000
	v_mov_b32_e32 v8, 0x47600000
	v_cndmask_b32_e32 v0, v0, v8, vcc
	v_cmp_eq_u32_e32 vcc, 0, v6
	v_mov_b32_e32 v6, 0x7f800001
	v_cndmask_b32_e32 v8, v6, v0, vcc
; %bb.8496:                             ;   in Loop: Header=BB6_7023 Depth=3
	s_or_b64 exec, exec, s[70:71]
.LBB6_8497:                             ;   in Loop: Header=BB6_7023 Depth=3
	s_or_b64 exec, exec, s[68:69]
.LBB6_8498:                             ;   in Loop: Header=BB6_7023 Depth=3
	s_or_b64 exec, exec, s[30:31]
	v_max_f32_e32 v0, v8, v8
	v_max_f32_e32 v1, v1, v1
	v_min_f32_e32 v1, v1, v0
.LBB6_8499:                             ;   in Loop: Header=BB6_7023 Depth=3
	v_and_b32_sdwa v6, v1, s97 dst_sel:DWORD dst_unused:UNUSED_PAD src0_sel:BYTE_3 src1_sel:DWORD
	v_and_b32_e32 v42, 0x7f800000, v1
	v_mov_b32_e32 v43, v51
	v_and_b32_e32 v50, 0x7fffff, v1
	v_or_b32_e32 v8, 0x7b, v6
	v_cmp_ne_u64_e32 vcc, s[52:53], v[42:43]
	s_and_saveexec_b64 s[30:31], vcc
	s_xor_b64 s[68:69], exec, s[30:31]
	s_cbranch_execz .LBB6_8509
; %bb.8500:                             ;   in Loop: Header=BB6_7023 Depth=3
	v_and_b32_e32 v42, 0x7fffffff, v1
	v_mov_b32_e32 v43, v51
	v_cmp_gt_u64_e32 vcc, s[54:55], v[42:43]
	s_and_saveexec_b64 s[70:71], vcc
	s_cbranch_execz .LBB6_8508
; %bb.8501:                             ;   in Loop: Header=BB6_7023 Depth=3
	v_cmp_ne_u32_e32 vcc, 0, v1
	v_mov_b32_e32 v8, 0
	s_and_saveexec_b64 s[72:73], vcc
	s_cbranch_execz .LBB6_8507
; %bb.8502:                             ;   in Loop: Header=BB6_7023 Depth=3
	v_bfe_u32 v0, v1, 23, 8
	v_cmp_eq_u32_e32 vcc, 0, v0
	v_add_u32_e32 v1, 0xffffff81, v0
	v_cmp_gt_u32_e64 s[30:31], s38, v0
	v_sub_u32_e32 v0, 0x71, v0
	v_mov_b32_e32 v9, 0xffffff82
	v_cndmask_b32_e64 v0, 0, v0, s[30:31]
	v_cndmask_b32_e32 v55, v1, v9, vcc
	v_mov_b32_e32 v1, 0x70
	v_cndmask_b32_e32 v42, v0, v1, vcc
	v_add_u32_e32 v0, 21, v42
	v_or_b32_e32 v8, 0x800000, v50
	v_lshlrev_b64 v[0:1], v0, -1
	v_cndmask_b32_e32 v50, v8, v50, vcc
	v_not_b32_e32 v1, v1
	v_not_b32_e32 v0, v0
	v_add_u32_e32 v8, 20, v42
	v_and_b32_e32 v1, 0, v1
	v_and_b32_e32 v0, v50, v0
	v_lshlrev_b64 v[8:9], v8, 1
	v_cmp_eq_u64_e32 vcc, v[0:1], v[8:9]
	v_lshrrev_b64 v[0:1], v42, v[50:51]
	v_lshrrev_b32_e32 v8, 23, v0
	v_add3_u32 v50, v42, v55, v8
	v_bfe_u32 v8, v0, 21, 1
	v_add_u32_e32 v8, -1, v8
	v_cndmask_b32_e32 v8, 0, v8, vcc
	v_add_u32_e32 v8, v8, v0
	v_and_b32_e32 v8, 0x1fffff, v8
	v_add_co_u32_e32 v0, vcc, v8, v0
	v_add_u32_e32 v9, 14, v50
	v_addc_co_u32_e32 v1, vcc, 0, v1, vcc
	v_cmp_ne_u32_e32 vcc, 0, v9
                                        ; implicit-def: $vgpr8
	s_and_saveexec_b64 s[30:31], vcc
	s_xor_b64 s[30:31], exec, s[30:31]
; %bb.8503:                             ;   in Loop: Header=BB6_7023 Depth=3
	v_add_u32_e32 v8, 15, v50
	v_cmp_lt_u64_e32 vcc, s[56:57], v[0:1]
	v_cndmask_b32_e32 v8, v9, v8, vcc
	v_cndmask_b32_e64 v9, 0, 1, vcc
	v_lshrrev_b64 v[0:1], v9, v[0:1]
; %bb.8504:                             ;   in Loop: Header=BB6_7023 Depth=3
	s_andn2_saveexec_b64 vcc, s[30:31]
; %bb.8505:                             ;   in Loop: Header=BB6_7023 Depth=3
	v_bfe_u32 v8, v0, 23, 1
; %bb.8506:                             ;   in Loop: Header=BB6_7023 Depth=3
	s_or_b64 exec, exec, vcc
	v_lshrrev_b64 v[0:1], 21, v[0:1]
	v_cmp_gt_i32_e32 vcc, 32, v8
	v_cndmask_b32_e32 v1, 0, v1, vcc
	v_cndmask_b32_e32 v0, 3, v0, vcc
	v_cmp_eq_u64_e64 s[30:31], 0, v[0:1]
	v_min_i32_e32 v1, 31, v8
	v_cmp_eq_u32_e32 vcc, 0, v8
	v_lshlrev_b32_e32 v1, 2, v1
	v_and_or_b32 v0, v0, 3, v1
	s_and_b64 vcc, vcc, s[30:31]
	v_cndmask_b32_e64 v0, v0, 0, vcc
	v_or_b32_e32 v8, v0, v6
.LBB6_8507:                             ;   in Loop: Header=BB6_7023 Depth=3
	s_or_b64 exec, exec, s[72:73]
.LBB6_8508:                             ;   in Loop: Header=BB6_7023 Depth=3
	s_or_b64 exec, exec, s[70:71]
                                        ; implicit-def: $vgpr1
.LBB6_8509:                             ;   in Loop: Header=BB6_7023 Depth=3
	s_andn2_saveexec_b64 s[30:31], s[68:69]
; %bb.8510:                             ;   in Loop: Header=BB6_7023 Depth=3
	v_or_b32_sdwa v0, v1, s39 dst_sel:DWORD dst_unused:UNUSED_PAD src0_sel:BYTE_3 src1_sel:DWORD
	v_cmp_eq_u64_e32 vcc, 0, v[50:51]
	v_cndmask_b32_e32 v8, v0, v8, vcc
; %bb.8511:                             ;   in Loop: Header=BB6_7023 Depth=3
	s_or_b64 exec, exec, s[30:31]
	v_lshrrev_b32_e32 v6, 24, v3
	v_lshrrev_b32_e32 v0, 24, v11
	s_and_b64 vcc, exec, s[28:29]
	v_cmp_lt_u64_e64 s[28:29], s[42:43], v[2:3]
	s_cbranch_vccnz .LBB6_8529
; %bb.8512:                             ;   in Loop: Header=BB6_7023 Depth=3
	v_mov_b32_e32 v9, 0
	v_mov_b32_e32 v1, 0
	s_and_saveexec_b64 s[30:31], s[28:29]
	s_cbranch_execz .LBB6_8520
; %bb.8513:                             ;   in Loop: Header=BB6_7023 Depth=3
	v_cmp_ne_u32_e32 vcc, s97, v6
	v_bfrev_b32_e32 v1, 1
	s_and_saveexec_b64 s[68:69], vcc
	s_cbranch_execz .LBB6_8519
; %bb.8514:                             ;   in Loop: Header=BB6_7023 Depth=3
	v_and_b32_e32 v1, 0x7c000000, v3
	v_bfe_u32 v50, v3, 24, 2
	v_cmp_ne_u32_e32 vcc, s37, v1
                                        ; implicit-def: $vgpr1
	s_and_saveexec_b64 s[70:71], vcc
	s_xor_b64 s[70:71], exec, s[70:71]
	s_cbranch_execz .LBB6_8516
; %bb.8515:                             ;   in Loop: Header=BB6_7023 Depth=3
	v_ffbh_u32_e32 v55, v50
	v_bfe_u32 v1, v3, 26, 5
	v_min_u32_e32 v55, 32, v55
	v_subrev_u32_e32 v42, 29, v55
	v_sub_u32_e32 v55, 30, v55
	v_cmp_eq_u32_e32 vcc, 0, v1
	v_lshlrev_b64 v[42:43], v42, v[6:7]
	v_cndmask_b32_e32 v1, v1, v55, vcc
	v_bfrev_b32_e32 v55, 28
	v_and_b32_e32 v42, 3, v42
	v_lshl_add_u32 v1, v1, 23, v55
	v_cndmask_b32_e32 v50, v50, v42, vcc
	v_and_or_b32 v1, v3, s96, v1
	v_lshl_or_b32 v1, v50, 21, v1
                                        ; implicit-def: $vgpr50
.LBB6_8516:                             ;   in Loop: Header=BB6_7023 Depth=3
	s_andn2_saveexec_b64 s[70:71], s[70:71]
; %bb.8517:                             ;   in Loop: Header=BB6_7023 Depth=3
	v_cmp_lt_i64_e32 vcc, -1, v[2:3]
	v_mov_b32_e32 v1, 0xc7600000
	v_mov_b32_e32 v55, 0x47600000
	v_cndmask_b32_e32 v1, v1, v55, vcc
	v_cmp_eq_u32_e32 vcc, 0, v50
	v_mov_b32_e32 v50, 0x7f800001
	v_cndmask_b32_e32 v1, v50, v1, vcc
; %bb.8518:                             ;   in Loop: Header=BB6_7023 Depth=3
	s_or_b64 exec, exec, s[70:71]
.LBB6_8519:                             ;   in Loop: Header=BB6_7023 Depth=3
	s_or_b64 exec, exec, s[68:69]
.LBB6_8520:                             ;   in Loop: Header=BB6_7023 Depth=3
	s_or_b64 exec, exec, s[30:31]
	v_cmp_lt_u64_e32 vcc, s[42:43], v[10:11]
	s_and_saveexec_b64 s[30:31], vcc
	s_cbranch_execz .LBB6_8528
; %bb.8521:                             ;   in Loop: Header=BB6_7023 Depth=3
	v_cmp_ne_u32_e32 vcc, s97, v0
	v_bfrev_b32_e32 v9, 1
	s_and_saveexec_b64 s[68:69], vcc
	s_cbranch_execz .LBB6_8527
; %bb.8522:                             ;   in Loop: Header=BB6_7023 Depth=3
	v_and_b32_e32 v9, 0x7c000000, v11
	v_bfe_u32 v50, v11, 24, 2
	v_cmp_ne_u32_e32 vcc, s37, v9
                                        ; implicit-def: $vgpr9
	s_and_saveexec_b64 s[70:71], vcc
	s_xor_b64 s[70:71], exec, s[70:71]
	s_cbranch_execz .LBB6_8524
; %bb.8523:                             ;   in Loop: Header=BB6_7023 Depth=3
	v_ffbh_u32_e32 v55, v50
	v_bfe_u32 v9, v11, 26, 5
	v_min_u32_e32 v55, 32, v55
	v_subrev_u32_e32 v42, 29, v55
	v_sub_u32_e32 v55, 30, v55
	v_cmp_eq_u32_e32 vcc, 0, v9
	v_lshlrev_b64 v[42:43], v42, v[0:1]
	v_cndmask_b32_e32 v9, v9, v55, vcc
	v_bfrev_b32_e32 v55, 28
	v_and_b32_e32 v42, 3, v42
	v_lshl_add_u32 v9, v9, 23, v55
	v_cndmask_b32_e32 v50, v50, v42, vcc
	v_and_or_b32 v9, v11, s96, v9
	v_lshl_or_b32 v9, v50, 21, v9
                                        ; implicit-def: $vgpr50
.LBB6_8524:                             ;   in Loop: Header=BB6_7023 Depth=3
	s_andn2_saveexec_b64 s[70:71], s[70:71]
; %bb.8525:                             ;   in Loop: Header=BB6_7023 Depth=3
	v_cmp_lt_i64_e32 vcc, -1, v[10:11]
	v_mov_b32_e32 v9, 0xc7600000
	v_mov_b32_e32 v55, 0x47600000
	v_cndmask_b32_e32 v9, v9, v55, vcc
	v_cmp_eq_u32_e32 vcc, 0, v50
	v_mov_b32_e32 v50, 0x7f800001
	v_cndmask_b32_e32 v9, v50, v9, vcc
; %bb.8526:                             ;   in Loop: Header=BB6_7023 Depth=3
	s_or_b64 exec, exec, s[70:71]
.LBB6_8527:                             ;   in Loop: Header=BB6_7023 Depth=3
	s_or_b64 exec, exec, s[68:69]
.LBB6_8528:                             ;   in Loop: Header=BB6_7023 Depth=3
	s_or_b64 exec, exec, s[30:31]
	v_max_f32_e32 v9, v9, v9
	v_max_f32_e32 v1, v1, v1
	;; [unrolled: 1-line block ×3, first 2 shown]
	s_branch .LBB6_8547
.LBB6_8529:                             ;   in Loop: Header=BB6_7023 Depth=3
                                        ; implicit-def: $vgpr1
	s_cbranch_execz .LBB6_8547
; %bb.8530:                             ;   in Loop: Header=BB6_7023 Depth=3
	v_mov_b32_e32 v9, 0
	v_mov_b32_e32 v1, 0
	s_and_saveexec_b64 s[30:31], s[28:29]
	s_cbranch_execz .LBB6_8538
; %bb.8531:                             ;   in Loop: Header=BB6_7023 Depth=3
	v_cmp_ne_u32_e32 vcc, s97, v6
	v_bfrev_b32_e32 v1, 1
	s_and_saveexec_b64 s[28:29], vcc
	s_cbranch_execz .LBB6_8537
; %bb.8532:                             ;   in Loop: Header=BB6_7023 Depth=3
	v_and_b32_e32 v1, 0x7c000000, v3
	v_bfe_u32 v50, v3, 24, 2
	v_cmp_ne_u32_e32 vcc, s37, v1
                                        ; implicit-def: $vgpr1
	s_and_saveexec_b64 s[68:69], vcc
	s_xor_b64 s[68:69], exec, s[68:69]
	s_cbranch_execz .LBB6_8534
; %bb.8533:                             ;   in Loop: Header=BB6_7023 Depth=3
	v_ffbh_u32_e32 v2, v50
	v_min_u32_e32 v2, 32, v2
	v_subrev_u32_e32 v55, 29, v2
	v_bfe_u32 v1, v3, 26, 5
	v_lshlrev_b64 v[42:43], v55, v[6:7]
	v_sub_u32_e32 v2, 30, v2
	v_and_b32_e32 v6, 3, v42
	v_cmp_eq_u32_e32 vcc, 0, v1
	v_cndmask_b32_e32 v1, v1, v2, vcc
	v_cndmask_b32_e32 v2, v50, v6, vcc
	v_bfrev_b32_e32 v6, 28
	v_lshl_add_u32 v1, v1, 23, v6
	v_and_or_b32 v1, v3, s96, v1
	v_lshl_or_b32 v1, v2, 21, v1
                                        ; implicit-def: $vgpr50
                                        ; implicit-def: $vgpr2_vgpr3
.LBB6_8534:                             ;   in Loop: Header=BB6_7023 Depth=3
	s_andn2_saveexec_b64 s[68:69], s[68:69]
; %bb.8535:                             ;   in Loop: Header=BB6_7023 Depth=3
	v_cmp_lt_i64_e32 vcc, -1, v[2:3]
	v_mov_b32_e32 v1, 0xc7600000
	v_mov_b32_e32 v2, 0x47600000
	v_cndmask_b32_e32 v1, v1, v2, vcc
	v_cmp_eq_u32_e32 vcc, 0, v50
	v_mov_b32_e32 v2, 0x7f800001
	v_cndmask_b32_e32 v1, v2, v1, vcc
; %bb.8536:                             ;   in Loop: Header=BB6_7023 Depth=3
	s_or_b64 exec, exec, s[68:69]
.LBB6_8537:                             ;   in Loop: Header=BB6_7023 Depth=3
	s_or_b64 exec, exec, s[28:29]
.LBB6_8538:                             ;   in Loop: Header=BB6_7023 Depth=3
	s_or_b64 exec, exec, s[30:31]
	v_cmp_lt_u64_e32 vcc, s[42:43], v[10:11]
	s_and_saveexec_b64 s[28:29], vcc
	s_cbranch_execz .LBB6_8546
; %bb.8539:                             ;   in Loop: Header=BB6_7023 Depth=3
	v_cmp_ne_u32_e32 vcc, s97, v0
	v_bfrev_b32_e32 v9, 1
	s_and_saveexec_b64 s[30:31], vcc
	s_cbranch_execz .LBB6_8545
; %bb.8540:                             ;   in Loop: Header=BB6_7023 Depth=3
	v_and_b32_e32 v3, 0x7c000000, v11
	v_bfe_u32 v2, v11, 24, 2
	v_cmp_ne_u32_e32 vcc, s37, v3
                                        ; implicit-def: $vgpr9
	s_and_saveexec_b64 s[68:69], vcc
	s_xor_b64 s[68:69], exec, s[68:69]
	s_cbranch_execz .LBB6_8542
; %bb.8541:                             ;   in Loop: Header=BB6_7023 Depth=3
	v_ffbh_u32_e32 v6, v2
	v_min_u32_e32 v6, 32, v6
	v_bfe_u32 v3, v11, 26, 5
	v_subrev_u32_e32 v9, 29, v6
	v_lshlrev_b64 v[42:43], v9, v[0:1]
	v_sub_u32_e32 v0, 30, v6
	v_cmp_eq_u32_e32 vcc, 0, v3
	v_cndmask_b32_e32 v0, v3, v0, vcc
	v_bfrev_b32_e32 v3, 28
	v_and_b32_e32 v6, 3, v42
	v_lshl_add_u32 v0, v0, 23, v3
	v_cndmask_b32_e32 v2, v2, v6, vcc
	v_and_or_b32 v0, v11, s96, v0
	v_lshl_or_b32 v9, v2, 21, v0
                                        ; implicit-def: $vgpr2
                                        ; implicit-def: $vgpr10_vgpr11
.LBB6_8542:                             ;   in Loop: Header=BB6_7023 Depth=3
	s_andn2_saveexec_b64 s[68:69], s[68:69]
; %bb.8543:                             ;   in Loop: Header=BB6_7023 Depth=3
	v_cmp_lt_i64_e32 vcc, -1, v[10:11]
	v_mov_b32_e32 v0, 0xc7600000
	v_mov_b32_e32 v3, 0x47600000
	v_cndmask_b32_e32 v0, v0, v3, vcc
	v_cmp_eq_u32_e32 vcc, 0, v2
	v_mov_b32_e32 v2, 0x7f800001
	v_cndmask_b32_e32 v9, v2, v0, vcc
; %bb.8544:                             ;   in Loop: Header=BB6_7023 Depth=3
	s_or_b64 exec, exec, s[68:69]
.LBB6_8545:                             ;   in Loop: Header=BB6_7023 Depth=3
	s_or_b64 exec, exec, s[30:31]
.LBB6_8546:                             ;   in Loop: Header=BB6_7023 Depth=3
	s_or_b64 exec, exec, s[28:29]
	v_max_f32_e32 v0, v9, v9
	v_max_f32_e32 v1, v1, v1
	v_min_f32_e32 v1, v1, v0
.LBB6_8547:                             ;   in Loop: Header=BB6_7023 Depth=3
	v_and_b32_sdwa v2, v1, s97 dst_sel:DWORD dst_unused:UNUSED_PAD src0_sel:BYTE_3 src1_sel:DWORD
	v_and_b32_e32 v10, 0x7f800000, v1
	v_mov_b32_e32 v11, v51
	v_and_b32_e32 v50, 0x7fffff, v1
	v_or_b32_e32 v0, 0x7b, v2
	v_cmp_ne_u64_e32 vcc, s[52:53], v[10:11]
	s_and_saveexec_b64 s[28:29], vcc
	s_xor_b64 s[30:31], exec, s[28:29]
	s_cbranch_execz .LBB6_8557
; %bb.8548:                             ;   in Loop: Header=BB6_7023 Depth=3
	v_and_b32_e32 v10, 0x7fffffff, v1
	v_mov_b32_e32 v11, v51
	v_cmp_gt_u64_e32 vcc, s[54:55], v[10:11]
	s_and_saveexec_b64 s[68:69], vcc
	s_cbranch_execz .LBB6_8556
; %bb.8549:                             ;   in Loop: Header=BB6_7023 Depth=3
	v_cmp_ne_u32_e32 vcc, 0, v1
	v_mov_b32_e32 v0, 0
	s_and_saveexec_b64 s[70:71], vcc
	s_cbranch_execz .LBB6_8555
; %bb.8550:                             ;   in Loop: Header=BB6_7023 Depth=3
	v_bfe_u32 v0, v1, 23, 8
	v_cmp_eq_u32_e32 vcc, 0, v0
	v_add_u32_e32 v1, 0xffffff81, v0
	v_cmp_gt_u32_e64 s[28:29], s38, v0
	v_sub_u32_e32 v0, 0x71, v0
	v_mov_b32_e32 v6, 0xffffff82
	v_cndmask_b32_e64 v0, 0, v0, s[28:29]
	v_cndmask_b32_e32 v6, v1, v6, vcc
	v_mov_b32_e32 v1, 0x70
	v_cndmask_b32_e32 v9, v0, v1, vcc
	v_add_u32_e32 v0, 21, v9
	v_or_b32_e32 v3, 0x800000, v50
	v_lshlrev_b64 v[0:1], v0, -1
	v_cndmask_b32_e32 v50, v3, v50, vcc
	v_not_b32_e32 v1, v1
	v_not_b32_e32 v0, v0
	v_add_u32_e32 v3, 20, v9
	v_and_b32_e32 v1, 0, v1
	v_and_b32_e32 v0, v50, v0
	v_lshlrev_b64 v[10:11], v3, 1
	v_cmp_eq_u64_e32 vcc, v[0:1], v[10:11]
	v_lshrrev_b64 v[0:1], v9, v[50:51]
	v_lshrrev_b32_e32 v3, 23, v0
	v_add3_u32 v9, v9, v6, v3
	v_bfe_u32 v3, v0, 21, 1
	v_add_u32_e32 v3, -1, v3
	v_cndmask_b32_e32 v3, 0, v3, vcc
	v_add_u32_e32 v3, v3, v0
	v_and_b32_e32 v3, 0x1fffff, v3
	v_add_co_u32_e32 v0, vcc, v3, v0
	v_add_u32_e32 v6, 14, v9
	v_addc_co_u32_e32 v1, vcc, 0, v1, vcc
	v_cmp_ne_u32_e32 vcc, 0, v6
                                        ; implicit-def: $vgpr3
	s_and_saveexec_b64 s[28:29], vcc
	s_xor_b64 s[28:29], exec, s[28:29]
; %bb.8551:                             ;   in Loop: Header=BB6_7023 Depth=3
	v_add_u32_e32 v3, 15, v9
	v_cmp_lt_u64_e32 vcc, s[56:57], v[0:1]
	v_cndmask_b32_e32 v3, v6, v3, vcc
	v_cndmask_b32_e64 v6, 0, 1, vcc
	v_lshrrev_b64 v[0:1], v6, v[0:1]
; %bb.8552:                             ;   in Loop: Header=BB6_7023 Depth=3
	s_andn2_saveexec_b64 s[28:29], s[28:29]
; %bb.8553:                             ;   in Loop: Header=BB6_7023 Depth=3
	v_bfe_u32 v3, v0, 23, 1
; %bb.8554:                             ;   in Loop: Header=BB6_7023 Depth=3
	s_or_b64 exec, exec, s[28:29]
	v_lshrrev_b64 v[0:1], 21, v[0:1]
	v_cmp_gt_i32_e32 vcc, 32, v3
	v_cndmask_b32_e32 v1, 0, v1, vcc
	v_cndmask_b32_e32 v0, 3, v0, vcc
	v_cmp_eq_u64_e64 s[28:29], 0, v[0:1]
	v_min_i32_e32 v1, 31, v3
	v_lshlrev_b32_e32 v1, 2, v1
	v_cmp_eq_u32_e32 vcc, 0, v3
	v_and_b32_e32 v1, 0xfc, v1
	v_and_or_b32 v0, v0, 3, v1
	s_and_b64 s[28:29], vcc, s[28:29]
	v_cndmask_b32_e64 v0, v0, 0, s[28:29]
	v_or_b32_e32 v0, v0, v2
.LBB6_8555:                             ;   in Loop: Header=BB6_7023 Depth=3
	s_or_b64 exec, exec, s[70:71]
.LBB6_8556:                             ;   in Loop: Header=BB6_7023 Depth=3
	s_or_b64 exec, exec, s[68:69]
                                        ; implicit-def: $vgpr1
.LBB6_8557:                             ;   in Loop: Header=BB6_7023 Depth=3
	s_andn2_saveexec_b64 s[28:29], s[30:31]
	s_cbranch_execz .LBB6_7022
; %bb.8558:                             ;   in Loop: Header=BB6_7023 Depth=3
	v_or_b32_sdwa v1, v1, s39 dst_sel:DWORD dst_unused:UNUSED_PAD src0_sel:BYTE_3 src1_sel:DWORD
	v_cmp_eq_u64_e32 vcc, 0, v[50:51]
	v_cndmask_b32_e32 v0, v1, v0, vcc
	s_branch .LBB6_7022
.LBB6_8559:                             ;   in Loop: Header=BB6_3679 Depth=2
	s_or_b64 exec, exec, s[64:65]
	v_accvgpr_read_b32 v40, a30
.LBB6_8560:                             ;   in Loop: Header=BB6_3679 Depth=2
	s_or_b64 exec, exec, s[34:35]
	v_lshlrev_b32_e32 v20, 11, v27
	v_cmp_ne_u32_e32 vcc, v44, v20
	s_mov_b64 s[28:29], 0
	v_mov_b32_e32 v9, 0
                                        ; implicit-def: $vgpr3
                                        ; implicit-def: $vgpr2
                                        ; implicit-def: $vgpr0
	s_and_saveexec_b64 s[34:35], vcc
	s_cbranch_execz .LBB6_9336
; %bb.8561:                             ;   in Loop: Header=BB6_3679 Depth=2
	v_lshlrev_b32_e32 v0, 6, v26
	v_accvgpr_read_b32 v2, a46
	v_sub_u32_e32 v0, v2, v0
	v_ashrrev_i32_e32 v2, 31, v0
	v_lshrrev_b32_e32 v2, 26, v2
	v_add_u32_e32 v2, v0, v2
	v_sub_u32_e32 v1, v44, v20
	v_ashrrev_i32_e32 v3, 6, v2
	v_and_b32_e32 v2, 0xffffffc0, v2
	v_sub_u32_e32 v21, v0, v2
	v_ashrrev_i32_e32 v2, 31, v1
	v_lshrrev_b32_e32 v2, 22, v2
	v_add_u32_e32 v2, v1, v2
	v_and_b32_e32 v22, 0xfffffc00, v2
	v_lshlrev_b32_e32 v0, 4, v21
	v_sub_u32_e32 v24, v1, v22
	v_lshl_add_u32 v0, v3, 10, v0
	v_ashrrev_i32_e32 v4, 10, v2
	v_cmp_lt_i32_e64 s[28:29], 15, v24
	v_sub_u32_e32 v25, v1, v0
	v_addc_co_u32_e64 v1, vcc, 0, v4, s[28:29]
	v_sub_u32_e32 v23, v1, v3
	v_cmp_lt_i32_e32 vcc, 15, v25
	s_and_saveexec_b64 s[64:65], vcc
	s_cbranch_execz .LBB6_9333
; %bb.8562:                             ;   in Loop: Header=BB6_3679 Depth=2
	v_add_u32_e32 v6, v0, v20
	s_trap 2
	ds_read_b128 v[0:3], v0
	v_ashrrev_i32_e32 v7, 31, v6
	s_bitcmp1_b32 s27, 0
	s_mov_b64 s[66:67], 0
	s_cselect_b64 s[68:69], -1, 0
	s_waitcnt lgkmcnt(0)
	v_add_co_u32_e32 v4, vcc, v0, v6
	v_addc_co_u32_e32 v5, vcc, v1, v7, vcc
	ds_read_b64 v[0:1], v0
	v_add_co_u32_e32 v16, vcc, v2, v6
	v_addc_co_u32_e32 v17, vcc, v3, v7, vcc
	s_waitcnt lgkmcnt(0)
	v_add_co_u32_e32 v18, vcc, v0, v6
	v_addc_co_u32_e32 v19, vcc, v1, v7, vcc
	s_branch .LBB6_8564
.LBB6_8563:                             ;   in Loop: Header=BB6_8564 Depth=3
	s_or_b64 exec, exec, s[30:31]
	v_lshlrev_b32_e32 v1, 16, v14
	v_lshlrev_b32_e32 v2, 8, v13
	v_perm_b32 v1, v12, v1, s82
	v_perm_b32 v2, v2, v30, s9
	v_or_b32_e32 v11, v1, v2
	v_and_b32_e32 v1, 0xff, v28
	v_lshlrev_b32_e32 v3, 8, v27
	v_lshlrev_b32_e32 v2, 24, v29
	;; [unrolled: 1-line block ×3, first 2 shown]
	v_perm_b32 v3, v3, v26, s9
	v_or3_b32 v10, v2, v1, v3
	v_and_b32_e32 v1, 0xff, v32
	v_lshlrev_b32_e32 v3, 8, v31
	v_lshlrev_b32_e32 v2, 24, v33
	;; [unrolled: 1-line block ×3, first 2 shown]
	v_perm_b32 v3, v3, v15, s9
	v_or3_b32 v12, v2, v1, v3
	v_lshlrev_b32_e32 v1, 8, v7
	v_lshlrev_b32_e32 v2, 16, v8
	v_perm_b32 v1, v1, v34, s9
	v_perm_b32 v0, v0, v2, s82
	v_or_b32_e32 v13, v0, v1
	v_accvgpr_read_b32 v0, a47
	v_add_co_u32_e32 v4, vcc, v4, v0
	v_accvgpr_read_b32 v1, a48
	v_addc_co_u32_e32 v5, vcc, v5, v1, vcc
	v_add_co_u32_e32 v16, vcc, v16, v0
	v_addc_co_u32_e32 v17, vcc, v17, v1, vcc
	global_store_dwordx4 v[18:19], v[10:13], off glc slc
	v_add_co_u32_e32 v18, vcc, v18, v0
	v_addc_co_u32_e32 v19, vcc, v19, v1, vcc
	v_sub_u32_e32 v25, v25, v6
	v_cmp_gt_i32_e32 vcc, 16, v25
	s_or_b64 s[66:67], vcc, s[66:67]
	v_sub_u32_e32 v23, v23, v40
	s_andn2_b64 exec, exec, s[66:67]
	s_cbranch_execz .LBB6_9332
.LBB6_8564:                             ;   Parent Loop BB6_47 Depth=1
                                        ;     Parent Loop BB6_3679 Depth=2
                                        ; =>    This Inner Loop Header: Depth=3
	global_load_dwordx4 v[0:3], v[4:5], off glc slc
	global_load_dwordx4 v[8:11], v[16:17], off glc slc
	s_and_b64 vcc, exec, s[68:69]
	s_waitcnt vmcnt(0)
	v_cmp_ne_u16_sdwa s[30:31], v0, v51 src0_sel:BYTE_0 src1_sel:DWORD
	s_cbranch_vccz .LBB6_8582
; %bb.8565:                             ;   in Loop: Header=BB6_8564 Depth=3
	v_mov_b32_e32 v7, 0
	v_mov_b32_e32 v6, 0
	s_and_saveexec_b64 s[70:71], s[30:31]
	s_cbranch_execz .LBB6_8573
; %bb.8566:                             ;   in Loop: Header=BB6_8564 Depth=3
	v_cmp_ne_u16_sdwa vcc, sext(v0), s94 src0_sel:BYTE_0 src1_sel:DWORD
	v_bfrev_b32_e32 v6, 1
	s_and_saveexec_b64 s[72:73], vcc
	s_cbranch_execz .LBB6_8572
; %bb.8567:                             ;   in Loop: Header=BB6_8564 Depth=3
	v_and_b32_e32 v6, 0x7c, v0
	v_and_b32_e32 v12, 3, v0
	v_cmp_ne_u32_e32 vcc, s95, v6
                                        ; implicit-def: $vgpr6
	s_and_saveexec_b64 s[74:75], vcc
	s_xor_b64 s[74:75], exec, s[74:75]
	s_cbranch_execz .LBB6_8569
; %bb.8568:                             ;   in Loop: Header=BB6_8564 Depth=3
	v_ffbh_u32_e32 v13, v12
	v_min_u32_e32 v13, 32, v13
	v_subrev_u32_e32 v14, 29, v13
	v_bfe_u32 v6, v0, 2, 5
	v_lshlrev_b64 v[14:15], v14, v[0:1]
	v_sub_u32_e32 v13, 30, v13
	v_and_b32_e32 v14, 3, v14
	v_cmp_eq_u32_e32 vcc, 0, v6
	v_cndmask_b32_e32 v6, v6, v13, vcc
	v_cndmask_b32_e32 v12, v12, v14, vcc
	v_bfrev_b32_e32 v14, 28
	v_lshlrev_b32_e32 v13, 24, v0
	v_lshl_add_u32 v6, v6, 23, v14
	v_and_or_b32 v6, v13, s96, v6
	v_lshl_or_b32 v6, v12, 21, v6
                                        ; implicit-def: $vgpr12
.LBB6_8569:                             ;   in Loop: Header=BB6_8564 Depth=3
	s_andn2_saveexec_b64 s[74:75], s[74:75]
; %bb.8570:                             ;   in Loop: Header=BB6_8564 Depth=3
	v_mov_b32_e32 v6, -1
	v_cmp_gt_i16_sdwa vcc, sext(v0), v6 src0_sel:BYTE_0 src1_sel:DWORD
	v_mov_b32_e32 v6, 0xc7600000
	v_mov_b32_e32 v13, 0x47600000
	v_cndmask_b32_e32 v6, v6, v13, vcc
	v_cmp_eq_u32_e32 vcc, 0, v12
	v_mov_b32_e32 v12, 0x7f800001
	v_cndmask_b32_e32 v6, v12, v6, vcc
; %bb.8571:                             ;   in Loop: Header=BB6_8564 Depth=3
	s_or_b64 exec, exec, s[74:75]
.LBB6_8572:                             ;   in Loop: Header=BB6_8564 Depth=3
	s_or_b64 exec, exec, s[72:73]
.LBB6_8573:                             ;   in Loop: Header=BB6_8564 Depth=3
	s_or_b64 exec, exec, s[70:71]
	v_cmp_ne_u16_sdwa vcc, sext(v8), v51 src0_sel:BYTE_0 src1_sel:DWORD
	s_and_saveexec_b64 s[70:71], vcc
	s_cbranch_execz .LBB6_8581
; %bb.8574:                             ;   in Loop: Header=BB6_8564 Depth=3
	v_cmp_ne_u16_sdwa vcc, sext(v8), s94 src0_sel:BYTE_0 src1_sel:DWORD
	v_bfrev_b32_e32 v7, 1
	s_and_saveexec_b64 s[72:73], vcc
	s_cbranch_execz .LBB6_8580
; %bb.8575:                             ;   in Loop: Header=BB6_8564 Depth=3
	v_and_b32_e32 v7, 0x7c, v8
	v_and_b32_e32 v12, 3, v8
	v_cmp_ne_u32_e32 vcc, s95, v7
                                        ; implicit-def: $vgpr7
	s_and_saveexec_b64 s[74:75], vcc
	s_xor_b64 s[74:75], exec, s[74:75]
	s_cbranch_execz .LBB6_8577
; %bb.8576:                             ;   in Loop: Header=BB6_8564 Depth=3
	v_ffbh_u32_e32 v13, v12
	v_min_u32_e32 v13, 32, v13
	v_subrev_u32_e32 v14, 29, v13
	v_bfe_u32 v7, v8, 2, 5
	v_lshlrev_b64 v[14:15], v14, v[8:9]
	v_sub_u32_e32 v13, 30, v13
	v_and_b32_e32 v14, 3, v14
	v_cmp_eq_u32_e32 vcc, 0, v7
	v_cndmask_b32_e32 v7, v7, v13, vcc
	v_cndmask_b32_e32 v12, v12, v14, vcc
	v_bfrev_b32_e32 v14, 28
	v_lshlrev_b32_e32 v13, 24, v8
	v_lshl_add_u32 v7, v7, 23, v14
	v_and_or_b32 v7, v13, s96, v7
	v_lshl_or_b32 v7, v12, 21, v7
                                        ; implicit-def: $vgpr12
.LBB6_8577:                             ;   in Loop: Header=BB6_8564 Depth=3
	s_andn2_saveexec_b64 s[74:75], s[74:75]
; %bb.8578:                             ;   in Loop: Header=BB6_8564 Depth=3
	v_mov_b32_e32 v7, -1
	v_cmp_gt_i16_sdwa vcc, sext(v8), v7 src0_sel:BYTE_0 src1_sel:DWORD
	v_mov_b32_e32 v7, 0xc7600000
	v_mov_b32_e32 v13, 0x47600000
	v_cndmask_b32_e32 v7, v7, v13, vcc
	v_cmp_eq_u32_e32 vcc, 0, v12
	v_mov_b32_e32 v12, 0x7f800001
	v_cndmask_b32_e32 v7, v12, v7, vcc
; %bb.8579:                             ;   in Loop: Header=BB6_8564 Depth=3
	s_or_b64 exec, exec, s[74:75]
.LBB6_8580:                             ;   in Loop: Header=BB6_8564 Depth=3
	s_or_b64 exec, exec, s[72:73]
.LBB6_8581:                             ;   in Loop: Header=BB6_8564 Depth=3
	s_or_b64 exec, exec, s[70:71]
	v_max_f32_e32 v7, v7, v7
	v_max_f32_e32 v6, v6, v6
	;; [unrolled: 1-line block ×3, first 2 shown]
	s_branch .LBB6_8600
.LBB6_8582:                             ;   in Loop: Header=BB6_8564 Depth=3
                                        ; implicit-def: $vgpr6
	s_cbranch_execz .LBB6_8600
; %bb.8583:                             ;   in Loop: Header=BB6_8564 Depth=3
	v_mov_b32_e32 v7, 0
	v_mov_b32_e32 v6, 0
	s_and_saveexec_b64 s[70:71], s[30:31]
	s_cbranch_execz .LBB6_8591
; %bb.8584:                             ;   in Loop: Header=BB6_8564 Depth=3
	v_cmp_ne_u16_sdwa vcc, sext(v0), s94 src0_sel:BYTE_0 src1_sel:DWORD
	v_bfrev_b32_e32 v6, 1
	s_and_saveexec_b64 s[30:31], vcc
	s_cbranch_execz .LBB6_8590
; %bb.8585:                             ;   in Loop: Header=BB6_8564 Depth=3
	v_and_b32_e32 v6, 0x7c, v0
	v_and_b32_e32 v12, 3, v0
	v_cmp_ne_u32_e32 vcc, s95, v6
                                        ; implicit-def: $vgpr6
	s_and_saveexec_b64 s[72:73], vcc
	s_xor_b64 s[72:73], exec, s[72:73]
	s_cbranch_execz .LBB6_8587
; %bb.8586:                             ;   in Loop: Header=BB6_8564 Depth=3
	v_ffbh_u32_e32 v13, v12
	v_min_u32_e32 v13, 32, v13
	v_subrev_u32_e32 v14, 29, v13
	v_bfe_u32 v6, v0, 2, 5
	v_lshlrev_b64 v[14:15], v14, v[0:1]
	v_sub_u32_e32 v13, 30, v13
	v_and_b32_e32 v14, 3, v14
	v_cmp_eq_u32_e32 vcc, 0, v6
	v_cndmask_b32_e32 v6, v6, v13, vcc
	v_cndmask_b32_e32 v12, v12, v14, vcc
	v_bfrev_b32_e32 v14, 28
	v_lshlrev_b32_e32 v13, 24, v0
	v_lshl_add_u32 v6, v6, 23, v14
	v_and_or_b32 v6, v13, s96, v6
	v_lshl_or_b32 v6, v12, 21, v6
                                        ; implicit-def: $vgpr12
.LBB6_8587:                             ;   in Loop: Header=BB6_8564 Depth=3
	s_andn2_saveexec_b64 s[72:73], s[72:73]
; %bb.8588:                             ;   in Loop: Header=BB6_8564 Depth=3
	v_mov_b32_e32 v6, -1
	v_cmp_gt_i16_sdwa vcc, sext(v0), v6 src0_sel:BYTE_0 src1_sel:DWORD
	v_mov_b32_e32 v6, 0xc7600000
	v_mov_b32_e32 v13, 0x47600000
	v_cndmask_b32_e32 v6, v6, v13, vcc
	v_cmp_eq_u32_e32 vcc, 0, v12
	v_mov_b32_e32 v12, 0x7f800001
	v_cndmask_b32_e32 v6, v12, v6, vcc
; %bb.8589:                             ;   in Loop: Header=BB6_8564 Depth=3
	s_or_b64 exec, exec, s[72:73]
.LBB6_8590:                             ;   in Loop: Header=BB6_8564 Depth=3
	s_or_b64 exec, exec, s[30:31]
.LBB6_8591:                             ;   in Loop: Header=BB6_8564 Depth=3
	s_or_b64 exec, exec, s[70:71]
	v_cmp_ne_u16_sdwa vcc, sext(v8), v51 src0_sel:BYTE_0 src1_sel:DWORD
	s_and_saveexec_b64 s[30:31], vcc
	s_cbranch_execz .LBB6_8599
; %bb.8592:                             ;   in Loop: Header=BB6_8564 Depth=3
	v_cmp_ne_u16_sdwa vcc, sext(v8), s94 src0_sel:BYTE_0 src1_sel:DWORD
	v_bfrev_b32_e32 v7, 1
	s_and_saveexec_b64 s[70:71], vcc
	s_cbranch_execz .LBB6_8598
; %bb.8593:                             ;   in Loop: Header=BB6_8564 Depth=3
	v_and_b32_e32 v7, 0x7c, v8
	v_and_b32_e32 v12, 3, v8
	v_cmp_ne_u32_e32 vcc, s95, v7
                                        ; implicit-def: $vgpr7
	s_and_saveexec_b64 s[72:73], vcc
	s_xor_b64 s[72:73], exec, s[72:73]
	s_cbranch_execz .LBB6_8595
; %bb.8594:                             ;   in Loop: Header=BB6_8564 Depth=3
	v_ffbh_u32_e32 v13, v12
	v_min_u32_e32 v13, 32, v13
	v_subrev_u32_e32 v14, 29, v13
	v_bfe_u32 v7, v8, 2, 5
	v_lshlrev_b64 v[14:15], v14, v[8:9]
	v_sub_u32_e32 v13, 30, v13
	v_and_b32_e32 v14, 3, v14
	v_cmp_eq_u32_e32 vcc, 0, v7
	v_cndmask_b32_e32 v7, v7, v13, vcc
	v_cndmask_b32_e32 v12, v12, v14, vcc
	v_bfrev_b32_e32 v14, 28
	v_lshlrev_b32_e32 v13, 24, v8
	v_lshl_add_u32 v7, v7, 23, v14
	v_and_or_b32 v7, v13, s96, v7
	v_lshl_or_b32 v7, v12, 21, v7
                                        ; implicit-def: $vgpr12
.LBB6_8595:                             ;   in Loop: Header=BB6_8564 Depth=3
	s_andn2_saveexec_b64 s[72:73], s[72:73]
; %bb.8596:                             ;   in Loop: Header=BB6_8564 Depth=3
	v_mov_b32_e32 v7, -1
	v_cmp_gt_i16_sdwa vcc, sext(v8), v7 src0_sel:BYTE_0 src1_sel:DWORD
	v_mov_b32_e32 v7, 0xc7600000
	v_mov_b32_e32 v13, 0x47600000
	v_cndmask_b32_e32 v7, v7, v13, vcc
	v_cmp_eq_u32_e32 vcc, 0, v12
	v_mov_b32_e32 v12, 0x7f800001
	v_cndmask_b32_e32 v7, v12, v7, vcc
; %bb.8597:                             ;   in Loop: Header=BB6_8564 Depth=3
	s_or_b64 exec, exec, s[72:73]
.LBB6_8598:                             ;   in Loop: Header=BB6_8564 Depth=3
	s_or_b64 exec, exec, s[70:71]
.LBB6_8599:                             ;   in Loop: Header=BB6_8564 Depth=3
	s_or_b64 exec, exec, s[30:31]
	v_max_f32_e32 v7, v7, v7
	v_max_f32_e32 v6, v6, v6
	v_min_f32_e32 v6, v6, v7
.LBB6_8600:                             ;   in Loop: Header=BB6_8564 Depth=3
	v_and_b32_sdwa v12, v6, s97 dst_sel:DWORD dst_unused:UNUSED_PAD src0_sel:BYTE_3 src1_sel:DWORD
	v_and_b32_e32 v14, 0x7f800000, v6
	v_mov_b32_e32 v15, v51
	v_and_b32_e32 v50, 0x7fffff, v6
	v_or_b32_e32 v26, 0x7b, v12
	v_cmp_ne_u64_e32 vcc, s[52:53], v[14:15]
	s_and_saveexec_b64 s[30:31], vcc
	s_xor_b64 s[70:71], exec, s[30:31]
	s_cbranch_execz .LBB6_8610
; %bb.8601:                             ;   in Loop: Header=BB6_8564 Depth=3
	v_and_b32_e32 v14, 0x7fffffff, v6
	v_mov_b32_e32 v15, v51
	v_cmp_gt_u64_e32 vcc, s[54:55], v[14:15]
	s_and_saveexec_b64 s[72:73], vcc
	s_cbranch_execz .LBB6_8609
; %bb.8602:                             ;   in Loop: Header=BB6_8564 Depth=3
	v_cmp_ne_u32_e32 vcc, 0, v6
	v_mov_b32_e32 v26, 0
	s_and_saveexec_b64 s[74:75], vcc
	s_cbranch_execz .LBB6_8608
; %bb.8603:                             ;   in Loop: Header=BB6_8564 Depth=3
	v_bfe_u32 v6, v6, 23, 8
	v_cmp_eq_u32_e32 vcc, 0, v6
	v_add_u32_e32 v7, 0xffffff81, v6
	v_cmp_gt_u32_e64 s[30:31], s38, v6
	v_sub_u32_e32 v6, 0x71, v6
	v_mov_b32_e32 v14, 0xffffff82
	v_cndmask_b32_e64 v6, 0, v6, s[30:31]
	v_cndmask_b32_e32 v26, v7, v14, vcc
	v_mov_b32_e32 v7, 0x70
	v_cndmask_b32_e32 v27, v6, v7, vcc
	v_add_u32_e32 v6, 21, v27
	v_or_b32_e32 v13, 0x800000, v50
	v_lshlrev_b64 v[6:7], v6, -1
	v_cndmask_b32_e32 v50, v13, v50, vcc
	v_not_b32_e32 v7, v7
	v_not_b32_e32 v6, v6
	v_add_u32_e32 v13, 20, v27
	v_and_b32_e32 v7, 0, v7
	v_and_b32_e32 v6, v50, v6
	v_lshlrev_b64 v[14:15], v13, 1
	v_cmp_eq_u64_e32 vcc, v[6:7], v[14:15]
	v_lshrrev_b64 v[6:7], v27, v[50:51]
	v_lshrrev_b32_e32 v13, 23, v6
	v_add3_u32 v15, v27, v26, v13
	v_bfe_u32 v13, v6, 21, 1
	v_add_u32_e32 v13, -1, v13
	v_cndmask_b32_e32 v13, 0, v13, vcc
	v_add_u32_e32 v13, v13, v6
	v_and_b32_e32 v13, 0x1fffff, v13
	v_add_co_u32_e32 v6, vcc, v13, v6
	v_add_u32_e32 v14, 14, v15
	v_addc_co_u32_e32 v7, vcc, 0, v7, vcc
	v_cmp_ne_u32_e32 vcc, 0, v14
                                        ; implicit-def: $vgpr13
	s_and_saveexec_b64 s[30:31], vcc
	s_xor_b64 s[30:31], exec, s[30:31]
; %bb.8604:                             ;   in Loop: Header=BB6_8564 Depth=3
	v_add_u32_e32 v13, 15, v15
	v_cmp_lt_u64_e32 vcc, s[56:57], v[6:7]
	v_cndmask_b32_e32 v13, v14, v13, vcc
	v_cndmask_b32_e64 v14, 0, 1, vcc
	v_lshrrev_b64 v[6:7], v14, v[6:7]
; %bb.8605:                             ;   in Loop: Header=BB6_8564 Depth=3
	s_andn2_saveexec_b64 vcc, s[30:31]
; %bb.8606:                             ;   in Loop: Header=BB6_8564 Depth=3
	v_bfe_u32 v13, v6, 23, 1
; %bb.8607:                             ;   in Loop: Header=BB6_8564 Depth=3
	s_or_b64 exec, exec, vcc
	v_lshrrev_b64 v[6:7], 21, v[6:7]
	v_cmp_gt_i32_e32 vcc, 32, v13
	v_cndmask_b32_e32 v7, 0, v7, vcc
	v_cndmask_b32_e32 v6, 3, v6, vcc
	v_cmp_eq_u64_e64 s[30:31], 0, v[6:7]
	v_min_i32_e32 v7, 31, v13
	v_cmp_eq_u32_e32 vcc, 0, v13
	v_lshlrev_b32_e32 v7, 2, v7
	v_and_or_b32 v6, v6, 3, v7
	s_and_b64 vcc, vcc, s[30:31]
	v_cndmask_b32_e64 v6, v6, 0, vcc
	v_or_b32_e32 v26, v6, v12
.LBB6_8608:                             ;   in Loop: Header=BB6_8564 Depth=3
	s_or_b64 exec, exec, s[74:75]
.LBB6_8609:                             ;   in Loop: Header=BB6_8564 Depth=3
	s_or_b64 exec, exec, s[72:73]
                                        ; implicit-def: $vgpr6
.LBB6_8610:                             ;   in Loop: Header=BB6_8564 Depth=3
	s_andn2_saveexec_b64 s[30:31], s[70:71]
; %bb.8611:                             ;   in Loop: Header=BB6_8564 Depth=3
	v_or_b32_sdwa v6, v6, s39 dst_sel:DWORD dst_unused:UNUSED_PAD src0_sel:BYTE_3 src1_sel:DWORD
	v_cmp_eq_u64_e32 vcc, 0, v[50:51]
	v_cndmask_b32_e32 v26, v6, v26, vcc
; %bb.8612:                             ;   in Loop: Header=BB6_8564 Depth=3
	s_or_b64 exec, exec, s[30:31]
	v_lshrrev_b16_e32 v50, 8, v0
	v_lshrrev_b16_e32 v6, 8, v8
	v_cmp_ne_u16_e64 s[30:31], 0, v50
	s_and_b64 vcc, exec, s[68:69]
	s_cbranch_vccz .LBB6_8630
; %bb.8613:                             ;   in Loop: Header=BB6_8564 Depth=3
	v_mov_b32_e32 v7, 0
	v_mov_b32_e32 v12, 0
	s_and_saveexec_b64 s[70:71], s[30:31]
	s_cbranch_execz .LBB6_8621
; %bb.8614:                             ;   in Loop: Header=BB6_8564 Depth=3
	v_cmp_ne_u16_e32 vcc, s97, v50
	v_bfrev_b32_e32 v12, 1
	s_and_saveexec_b64 s[72:73], vcc
	s_cbranch_execz .LBB6_8620
; %bb.8615:                             ;   in Loop: Header=BB6_8564 Depth=3
	v_and_b32_e32 v12, 0x7c, v50
	v_and_b32_e32 v13, 3, v50
	v_cmp_ne_u32_e32 vcc, s95, v12
                                        ; implicit-def: $vgpr12
	s_and_saveexec_b64 s[74:75], vcc
	s_xor_b64 s[74:75], exec, s[74:75]
	s_cbranch_execz .LBB6_8617
; %bb.8616:                             ;   in Loop: Header=BB6_8564 Depth=3
	v_ffbh_u32_e32 v14, v13
	v_min_u32_e32 v27, 32, v14
	v_subrev_u32_e32 v14, 29, v27
	v_bfe_u32 v12, v50, 2, 5
	v_lshlrev_b64 v[14:15], v14, v[50:51]
	v_sub_u32_e32 v15, 30, v27
	v_cmp_eq_u32_e32 vcc, 0, v12
	v_and_b32_e32 v14, 3, v14
	v_cndmask_b32_e32 v12, v12, v15, vcc
	v_bfrev_b32_e32 v15, 28
	v_cndmask_b32_e32 v13, v13, v14, vcc
	v_lshlrev_b32_e32 v14, 16, v0
	v_lshl_add_u32 v12, v12, 23, v15
	v_and_or_b32 v12, v14, s96, v12
	v_lshl_or_b32 v12, v13, 21, v12
                                        ; implicit-def: $vgpr13
.LBB6_8617:                             ;   in Loop: Header=BB6_8564 Depth=3
	s_andn2_saveexec_b64 s[74:75], s[74:75]
; %bb.8618:                             ;   in Loop: Header=BB6_8564 Depth=3
	v_cmp_lt_i16_e32 vcc, -1, v0
	v_mov_b32_e32 v12, 0xc7600000
	v_mov_b32_e32 v14, 0x47600000
	v_cndmask_b32_e32 v12, v12, v14, vcc
	v_cmp_eq_u32_e32 vcc, 0, v13
	v_mov_b32_e32 v13, 0x7f800001
	v_cndmask_b32_e32 v12, v13, v12, vcc
; %bb.8619:                             ;   in Loop: Header=BB6_8564 Depth=3
	s_or_b64 exec, exec, s[74:75]
.LBB6_8620:                             ;   in Loop: Header=BB6_8564 Depth=3
	s_or_b64 exec, exec, s[72:73]
.LBB6_8621:                             ;   in Loop: Header=BB6_8564 Depth=3
	s_or_b64 exec, exec, s[70:71]
	v_cmp_ne_u16_e32 vcc, 0, v6
	s_and_saveexec_b64 s[70:71], vcc
	s_cbranch_execz .LBB6_8629
; %bb.8622:                             ;   in Loop: Header=BB6_8564 Depth=3
	v_cmp_ne_u16_e32 vcc, s97, v6
	v_bfrev_b32_e32 v7, 1
	s_and_saveexec_b64 s[72:73], vcc
	s_cbranch_execz .LBB6_8628
; %bb.8623:                             ;   in Loop: Header=BB6_8564 Depth=3
	v_and_b32_e32 v7, 0x7c, v6
	v_and_b32_e32 v13, 3, v6
	v_cmp_ne_u32_e32 vcc, s95, v7
                                        ; implicit-def: $vgpr7
	s_and_saveexec_b64 s[74:75], vcc
	s_xor_b64 s[74:75], exec, s[74:75]
	s_cbranch_execz .LBB6_8625
; %bb.8624:                             ;   in Loop: Header=BB6_8564 Depth=3
	v_ffbh_u32_e32 v14, v13
	v_min_u32_e32 v28, 32, v14
	v_mov_b32_e32 v7, v51
	v_bfe_u32 v27, v6, 2, 5
	v_subrev_u32_e32 v14, 29, v28
	v_lshlrev_b64 v[14:15], v14, v[6:7]
	v_sub_u32_e32 v7, 30, v28
	v_cmp_eq_u32_e32 vcc, 0, v27
	v_and_b32_e32 v14, 3, v14
	v_cndmask_b32_e32 v7, v27, v7, vcc
	v_bfrev_b32_e32 v15, 28
	v_cndmask_b32_e32 v13, v13, v14, vcc
	v_lshlrev_b32_e32 v14, 16, v8
	v_lshl_add_u32 v7, v7, 23, v15
	v_and_or_b32 v7, v14, s96, v7
	v_lshl_or_b32 v7, v13, 21, v7
                                        ; implicit-def: $vgpr13
.LBB6_8625:                             ;   in Loop: Header=BB6_8564 Depth=3
	s_andn2_saveexec_b64 s[74:75], s[74:75]
; %bb.8626:                             ;   in Loop: Header=BB6_8564 Depth=3
	v_cmp_lt_i16_e32 vcc, -1, v8
	v_mov_b32_e32 v7, 0xc7600000
	v_mov_b32_e32 v14, 0x47600000
	v_cndmask_b32_e32 v7, v7, v14, vcc
	v_cmp_eq_u32_e32 vcc, 0, v13
	v_mov_b32_e32 v13, 0x7f800001
	v_cndmask_b32_e32 v7, v13, v7, vcc
; %bb.8627:                             ;   in Loop: Header=BB6_8564 Depth=3
	s_or_b64 exec, exec, s[74:75]
.LBB6_8628:                             ;   in Loop: Header=BB6_8564 Depth=3
	s_or_b64 exec, exec, s[72:73]
.LBB6_8629:                             ;   in Loop: Header=BB6_8564 Depth=3
	s_or_b64 exec, exec, s[70:71]
	v_max_f32_e32 v7, v7, v7
	v_max_f32_e32 v12, v12, v12
	;; [unrolled: 1-line block ×3, first 2 shown]
	s_branch .LBB6_8648
.LBB6_8630:                             ;   in Loop: Header=BB6_8564 Depth=3
                                        ; implicit-def: $vgpr7
	s_cbranch_execz .LBB6_8648
; %bb.8631:                             ;   in Loop: Header=BB6_8564 Depth=3
	v_mov_b32_e32 v7, 0
	v_mov_b32_e32 v12, 0
	s_and_saveexec_b64 s[70:71], s[30:31]
	s_cbranch_execz .LBB6_8639
; %bb.8632:                             ;   in Loop: Header=BB6_8564 Depth=3
	v_cmp_ne_u16_e32 vcc, s97, v50
	v_bfrev_b32_e32 v12, 1
	s_and_saveexec_b64 s[30:31], vcc
	s_cbranch_execz .LBB6_8638
; %bb.8633:                             ;   in Loop: Header=BB6_8564 Depth=3
	v_and_b32_e32 v12, 0x7c, v50
	v_and_b32_e32 v13, 3, v50
	v_cmp_ne_u32_e32 vcc, s95, v12
                                        ; implicit-def: $vgpr12
	s_and_saveexec_b64 s[72:73], vcc
	s_xor_b64 s[72:73], exec, s[72:73]
	s_cbranch_execz .LBB6_8635
; %bb.8634:                             ;   in Loop: Header=BB6_8564 Depth=3
	v_ffbh_u32_e32 v14, v13
	v_min_u32_e32 v27, 32, v14
	v_subrev_u32_e32 v14, 29, v27
	v_bfe_u32 v12, v50, 2, 5
	v_lshlrev_b64 v[14:15], v14, v[50:51]
	v_sub_u32_e32 v15, 30, v27
	v_cmp_eq_u32_e32 vcc, 0, v12
	v_and_b32_e32 v14, 3, v14
	v_cndmask_b32_e32 v12, v12, v15, vcc
	v_bfrev_b32_e32 v15, 28
	v_cndmask_b32_e32 v13, v13, v14, vcc
	v_lshlrev_b32_e32 v14, 16, v0
	v_lshl_add_u32 v12, v12, 23, v15
	v_and_or_b32 v12, v14, s96, v12
	v_lshl_or_b32 v12, v13, 21, v12
                                        ; implicit-def: $vgpr13
.LBB6_8635:                             ;   in Loop: Header=BB6_8564 Depth=3
	s_andn2_saveexec_b64 s[72:73], s[72:73]
; %bb.8636:                             ;   in Loop: Header=BB6_8564 Depth=3
	v_cmp_lt_i16_e32 vcc, -1, v0
	v_mov_b32_e32 v12, 0xc7600000
	v_mov_b32_e32 v14, 0x47600000
	v_cndmask_b32_e32 v12, v12, v14, vcc
	v_cmp_eq_u32_e32 vcc, 0, v13
	v_mov_b32_e32 v13, 0x7f800001
	v_cndmask_b32_e32 v12, v13, v12, vcc
; %bb.8637:                             ;   in Loop: Header=BB6_8564 Depth=3
	s_or_b64 exec, exec, s[72:73]
.LBB6_8638:                             ;   in Loop: Header=BB6_8564 Depth=3
	s_or_b64 exec, exec, s[30:31]
.LBB6_8639:                             ;   in Loop: Header=BB6_8564 Depth=3
	s_or_b64 exec, exec, s[70:71]
	v_cmp_ne_u16_e32 vcc, 0, v6
	s_and_saveexec_b64 s[30:31], vcc
	s_cbranch_execz .LBB6_8647
; %bb.8640:                             ;   in Loop: Header=BB6_8564 Depth=3
	v_cmp_ne_u16_e32 vcc, s97, v6
	v_bfrev_b32_e32 v7, 1
	s_and_saveexec_b64 s[70:71], vcc
	s_cbranch_execz .LBB6_8646
; %bb.8641:                             ;   in Loop: Header=BB6_8564 Depth=3
	v_and_b32_e32 v7, 0x7c, v6
	v_and_b32_e32 v13, 3, v6
	v_cmp_ne_u32_e32 vcc, s95, v7
                                        ; implicit-def: $vgpr7
	s_and_saveexec_b64 s[72:73], vcc
	s_xor_b64 s[72:73], exec, s[72:73]
	s_cbranch_execz .LBB6_8643
; %bb.8642:                             ;   in Loop: Header=BB6_8564 Depth=3
	v_ffbh_u32_e32 v15, v13
	v_min_u32_e32 v15, 32, v15
	v_mov_b32_e32 v7, v51
	v_subrev_u32_e32 v27, 29, v15
	v_bfe_u32 v14, v6, 2, 5
	v_lshlrev_b64 v[6:7], v27, v[6:7]
	v_sub_u32_e32 v7, 30, v15
	v_cmp_eq_u32_e32 vcc, 0, v14
	v_and_b32_e32 v6, 3, v6
	v_cndmask_b32_e32 v7, v14, v7, vcc
	v_bfrev_b32_e32 v14, 28
	v_cndmask_b32_e32 v6, v13, v6, vcc
	v_lshlrev_b32_e32 v13, 16, v8
	v_lshl_add_u32 v7, v7, 23, v14
	v_and_or_b32 v7, v13, s96, v7
	v_lshl_or_b32 v7, v6, 21, v7
                                        ; implicit-def: $vgpr13
.LBB6_8643:                             ;   in Loop: Header=BB6_8564 Depth=3
	s_andn2_saveexec_b64 s[72:73], s[72:73]
; %bb.8644:                             ;   in Loop: Header=BB6_8564 Depth=3
	v_cmp_lt_i16_e32 vcc, -1, v8
	v_mov_b32_e32 v6, 0xc7600000
	v_mov_b32_e32 v7, 0x47600000
	v_cndmask_b32_e32 v6, v6, v7, vcc
	v_cmp_eq_u32_e32 vcc, 0, v13
	v_mov_b32_e32 v7, 0x7f800001
	v_cndmask_b32_e32 v7, v7, v6, vcc
; %bb.8645:                             ;   in Loop: Header=BB6_8564 Depth=3
	s_or_b64 exec, exec, s[72:73]
.LBB6_8646:                             ;   in Loop: Header=BB6_8564 Depth=3
	s_or_b64 exec, exec, s[70:71]
.LBB6_8647:                             ;   in Loop: Header=BB6_8564 Depth=3
	s_or_b64 exec, exec, s[30:31]
	v_max_f32_e32 v6, v7, v7
	v_max_f32_e32 v7, v12, v12
	v_min_f32_e32 v7, v7, v6
.LBB6_8648:                             ;   in Loop: Header=BB6_8564 Depth=3
	v_and_b32_sdwa v12, v7, s97 dst_sel:DWORD dst_unused:UNUSED_PAD src0_sel:BYTE_3 src1_sel:DWORD
	v_and_b32_e32 v14, 0x7f800000, v7
	v_mov_b32_e32 v15, v51
	v_and_b32_e32 v50, 0x7fffff, v7
	v_or_b32_e32 v27, 0x7b, v12
	v_cmp_ne_u64_e32 vcc, s[52:53], v[14:15]
	s_and_saveexec_b64 s[30:31], vcc
	s_xor_b64 s[70:71], exec, s[30:31]
	s_cbranch_execz .LBB6_8658
; %bb.8649:                             ;   in Loop: Header=BB6_8564 Depth=3
	v_and_b32_e32 v14, 0x7fffffff, v7
	v_mov_b32_e32 v15, v51
	v_cmp_gt_u64_e32 vcc, s[54:55], v[14:15]
	s_and_saveexec_b64 s[72:73], vcc
	s_cbranch_execz .LBB6_8657
; %bb.8650:                             ;   in Loop: Header=BB6_8564 Depth=3
	v_cmp_ne_u32_e32 vcc, 0, v7
	v_mov_b32_e32 v27, 0
	s_and_saveexec_b64 s[74:75], vcc
	s_cbranch_execz .LBB6_8656
; %bb.8651:                             ;   in Loop: Header=BB6_8564 Depth=3
	v_bfe_u32 v6, v7, 23, 8
	v_cmp_eq_u32_e32 vcc, 0, v6
	v_add_u32_e32 v7, 0xffffff81, v6
	v_cmp_gt_u32_e64 s[30:31], s38, v6
	v_sub_u32_e32 v6, 0x71, v6
	v_mov_b32_e32 v14, 0xffffff82
	v_cndmask_b32_e64 v6, 0, v6, s[30:31]
	v_cndmask_b32_e32 v27, v7, v14, vcc
	v_mov_b32_e32 v7, 0x70
	v_cndmask_b32_e32 v28, v6, v7, vcc
	v_add_u32_e32 v6, 21, v28
	v_or_b32_e32 v13, 0x800000, v50
	v_lshlrev_b64 v[6:7], v6, -1
	v_cndmask_b32_e32 v50, v13, v50, vcc
	v_not_b32_e32 v7, v7
	v_not_b32_e32 v6, v6
	v_add_u32_e32 v13, 20, v28
	v_and_b32_e32 v7, 0, v7
	v_and_b32_e32 v6, v50, v6
	v_lshlrev_b64 v[14:15], v13, 1
	v_cmp_eq_u64_e32 vcc, v[6:7], v[14:15]
	v_lshrrev_b64 v[6:7], v28, v[50:51]
	v_lshrrev_b32_e32 v13, 23, v6
	v_add3_u32 v15, v28, v27, v13
	v_bfe_u32 v13, v6, 21, 1
	v_add_u32_e32 v13, -1, v13
	v_cndmask_b32_e32 v13, 0, v13, vcc
	v_add_u32_e32 v13, v13, v6
	v_and_b32_e32 v13, 0x1fffff, v13
	v_add_co_u32_e32 v6, vcc, v13, v6
	v_add_u32_e32 v14, 14, v15
	v_addc_co_u32_e32 v7, vcc, 0, v7, vcc
	v_cmp_ne_u32_e32 vcc, 0, v14
                                        ; implicit-def: $vgpr13
	s_and_saveexec_b64 s[30:31], vcc
	s_xor_b64 s[30:31], exec, s[30:31]
; %bb.8652:                             ;   in Loop: Header=BB6_8564 Depth=3
	v_add_u32_e32 v13, 15, v15
	v_cmp_lt_u64_e32 vcc, s[56:57], v[6:7]
	v_cndmask_b32_e32 v13, v14, v13, vcc
	v_cndmask_b32_e64 v14, 0, 1, vcc
	v_lshrrev_b64 v[6:7], v14, v[6:7]
; %bb.8653:                             ;   in Loop: Header=BB6_8564 Depth=3
	s_andn2_saveexec_b64 vcc, s[30:31]
; %bb.8654:                             ;   in Loop: Header=BB6_8564 Depth=3
	v_bfe_u32 v13, v6, 23, 1
; %bb.8655:                             ;   in Loop: Header=BB6_8564 Depth=3
	s_or_b64 exec, exec, vcc
	v_lshrrev_b64 v[6:7], 21, v[6:7]
	v_cmp_gt_i32_e32 vcc, 32, v13
	v_cndmask_b32_e32 v7, 0, v7, vcc
	v_cndmask_b32_e32 v6, 3, v6, vcc
	v_cmp_eq_u64_e64 s[30:31], 0, v[6:7]
	v_min_i32_e32 v7, 31, v13
	v_cmp_eq_u32_e32 vcc, 0, v13
	v_lshlrev_b32_e32 v7, 2, v7
	v_and_or_b32 v6, v6, 3, v7
	s_and_b64 vcc, vcc, s[30:31]
	v_cndmask_b32_e64 v6, v6, 0, vcc
	v_or_b32_e32 v27, v6, v12
.LBB6_8656:                             ;   in Loop: Header=BB6_8564 Depth=3
	s_or_b64 exec, exec, s[74:75]
.LBB6_8657:                             ;   in Loop: Header=BB6_8564 Depth=3
	s_or_b64 exec, exec, s[72:73]
                                        ; implicit-def: $vgpr7
.LBB6_8658:                             ;   in Loop: Header=BB6_8564 Depth=3
	s_andn2_saveexec_b64 s[30:31], s[70:71]
; %bb.8659:                             ;   in Loop: Header=BB6_8564 Depth=3
	v_or_b32_sdwa v6, v7, s39 dst_sel:DWORD dst_unused:UNUSED_PAD src0_sel:BYTE_3 src1_sel:DWORD
	v_cmp_eq_u64_e32 vcc, 0, v[50:51]
	v_cndmask_b32_e32 v27, v6, v27, vcc
; %bb.8660:                             ;   in Loop: Header=BB6_8564 Depth=3
	s_or_b64 exec, exec, s[30:31]
	v_lshrrev_b32_e32 v12, 16, v0
	v_lshrrev_b32_e32 v6, 16, v8
	v_cmp_ne_u16_sdwa s[30:31], v12, v51 src0_sel:BYTE_0 src1_sel:DWORD
	s_and_b64 vcc, exec, s[68:69]
	s_cbranch_vccz .LBB6_8678
; %bb.8661:                             ;   in Loop: Header=BB6_8564 Depth=3
	v_mov_b32_e32 v13, 0
	v_mov_b32_e32 v7, 0
	s_and_saveexec_b64 s[70:71], s[30:31]
	s_cbranch_execz .LBB6_8669
; %bb.8662:                             ;   in Loop: Header=BB6_8564 Depth=3
	v_cmp_ne_u16_sdwa vcc, v12, s97 src0_sel:BYTE_0 src1_sel:DWORD
	v_bfrev_b32_e32 v7, 1
	s_and_saveexec_b64 s[72:73], vcc
	s_cbranch_execz .LBB6_8668
; %bb.8663:                             ;   in Loop: Header=BB6_8564 Depth=3
	v_and_b32_e32 v7, 0x7c0000, v0
	v_bfe_u32 v14, v0, 16, 2
	v_cmp_ne_u32_e32 vcc, s36, v7
                                        ; implicit-def: $vgpr7
	s_and_saveexec_b64 s[74:75], vcc
	s_xor_b64 s[74:75], exec, s[74:75]
	s_cbranch_execz .LBB6_8665
; %bb.8664:                             ;   in Loop: Header=BB6_8564 Depth=3
	v_ffbh_u32_e32 v15, v14
	v_min_u32_e32 v15, 32, v15
	v_subrev_u32_e32 v28, 29, v15
	v_bfe_u32 v7, v0, 18, 5
	v_lshlrev_b64 v[28:29], v28, v[12:13]
	v_sub_u32_e32 v15, 30, v15
	v_and_b32_e32 v28, 3, v28
	v_cmp_eq_u32_e32 vcc, 0, v7
	v_cndmask_b32_e32 v7, v7, v15, vcc
	v_cndmask_b32_e32 v14, v14, v28, vcc
	v_bfrev_b32_e32 v28, 28
	v_lshlrev_b32_e32 v15, 24, v12
	v_lshl_add_u32 v7, v7, 23, v28
	v_and_or_b32 v7, v15, s96, v7
	v_lshl_or_b32 v7, v14, 21, v7
                                        ; implicit-def: $vgpr14
.LBB6_8665:                             ;   in Loop: Header=BB6_8564 Depth=3
	s_andn2_saveexec_b64 s[74:75], s[74:75]
; %bb.8666:                             ;   in Loop: Header=BB6_8564 Depth=3
	v_mov_b32_e32 v7, -1
	v_cmp_gt_i16_sdwa vcc, sext(v12), v7 src0_sel:BYTE_0 src1_sel:DWORD
	v_mov_b32_e32 v7, 0xc7600000
	v_mov_b32_e32 v15, 0x47600000
	v_cndmask_b32_e32 v7, v7, v15, vcc
	v_cmp_eq_u32_e32 vcc, 0, v14
	v_mov_b32_e32 v14, 0x7f800001
	v_cndmask_b32_e32 v7, v14, v7, vcc
; %bb.8667:                             ;   in Loop: Header=BB6_8564 Depth=3
	s_or_b64 exec, exec, s[74:75]
.LBB6_8668:                             ;   in Loop: Header=BB6_8564 Depth=3
	s_or_b64 exec, exec, s[72:73]
.LBB6_8669:                             ;   in Loop: Header=BB6_8564 Depth=3
	s_or_b64 exec, exec, s[70:71]
	v_cmp_ne_u16_sdwa vcc, v6, v51 src0_sel:BYTE_0 src1_sel:DWORD
	s_and_saveexec_b64 s[70:71], vcc
	s_cbranch_execz .LBB6_8677
; %bb.8670:                             ;   in Loop: Header=BB6_8564 Depth=3
	v_cmp_ne_u16_sdwa vcc, v6, s97 src0_sel:BYTE_0 src1_sel:DWORD
	v_bfrev_b32_e32 v13, 1
	s_and_saveexec_b64 s[72:73], vcc
	s_cbranch_execz .LBB6_8676
; %bb.8671:                             ;   in Loop: Header=BB6_8564 Depth=3
	v_and_b32_e32 v13, 0x7c0000, v8
	v_bfe_u32 v14, v8, 16, 2
	v_cmp_ne_u32_e32 vcc, s36, v13
                                        ; implicit-def: $vgpr13
	s_and_saveexec_b64 s[74:75], vcc
	s_xor_b64 s[74:75], exec, s[74:75]
	s_cbranch_execz .LBB6_8673
; %bb.8672:                             ;   in Loop: Header=BB6_8564 Depth=3
	v_ffbh_u32_e32 v15, v14
	v_min_u32_e32 v15, 32, v15
	v_subrev_u32_e32 v28, 29, v15
	v_bfe_u32 v13, v8, 18, 5
	v_lshlrev_b64 v[28:29], v28, v[6:7]
	v_sub_u32_e32 v15, 30, v15
	v_and_b32_e32 v28, 3, v28
	v_cmp_eq_u32_e32 vcc, 0, v13
	v_cndmask_b32_e32 v13, v13, v15, vcc
	v_cndmask_b32_e32 v14, v14, v28, vcc
	v_bfrev_b32_e32 v28, 28
	v_lshlrev_b32_e32 v15, 24, v6
	v_lshl_add_u32 v13, v13, 23, v28
	v_and_or_b32 v13, v15, s96, v13
	v_lshl_or_b32 v13, v14, 21, v13
                                        ; implicit-def: $vgpr14
.LBB6_8673:                             ;   in Loop: Header=BB6_8564 Depth=3
	s_andn2_saveexec_b64 s[74:75], s[74:75]
; %bb.8674:                             ;   in Loop: Header=BB6_8564 Depth=3
	v_mov_b32_e32 v13, -1
	v_cmp_gt_i16_sdwa vcc, sext(v6), v13 src0_sel:BYTE_0 src1_sel:DWORD
	v_mov_b32_e32 v13, 0xc7600000
	v_mov_b32_e32 v15, 0x47600000
	v_cndmask_b32_e32 v13, v13, v15, vcc
	v_cmp_eq_u32_e32 vcc, 0, v14
	v_mov_b32_e32 v14, 0x7f800001
	v_cndmask_b32_e32 v13, v14, v13, vcc
; %bb.8675:                             ;   in Loop: Header=BB6_8564 Depth=3
	s_or_b64 exec, exec, s[74:75]
.LBB6_8676:                             ;   in Loop: Header=BB6_8564 Depth=3
	s_or_b64 exec, exec, s[72:73]
.LBB6_8677:                             ;   in Loop: Header=BB6_8564 Depth=3
	s_or_b64 exec, exec, s[70:71]
	v_max_f32_e32 v13, v13, v13
	v_max_f32_e32 v7, v7, v7
	;; [unrolled: 1-line block ×3, first 2 shown]
	s_branch .LBB6_8696
.LBB6_8678:                             ;   in Loop: Header=BB6_8564 Depth=3
                                        ; implicit-def: $vgpr7
	s_cbranch_execz .LBB6_8696
; %bb.8679:                             ;   in Loop: Header=BB6_8564 Depth=3
	v_mov_b32_e32 v13, 0
	v_mov_b32_e32 v7, 0
	s_and_saveexec_b64 s[70:71], s[30:31]
	s_cbranch_execz .LBB6_8687
; %bb.8680:                             ;   in Loop: Header=BB6_8564 Depth=3
	v_cmp_ne_u16_sdwa vcc, v12, s97 src0_sel:BYTE_0 src1_sel:DWORD
	v_bfrev_b32_e32 v7, 1
	s_and_saveexec_b64 s[30:31], vcc
	s_cbranch_execz .LBB6_8686
; %bb.8681:                             ;   in Loop: Header=BB6_8564 Depth=3
	v_and_b32_e32 v7, 0x7c0000, v0
	v_bfe_u32 v14, v0, 16, 2
	v_cmp_ne_u32_e32 vcc, s36, v7
                                        ; implicit-def: $vgpr7
	s_and_saveexec_b64 s[72:73], vcc
	s_xor_b64 s[72:73], exec, s[72:73]
	s_cbranch_execz .LBB6_8683
; %bb.8682:                             ;   in Loop: Header=BB6_8564 Depth=3
	v_ffbh_u32_e32 v15, v14
	v_bfe_u32 v7, v0, 18, 5
	v_min_u32_e32 v15, 32, v15
	v_subrev_u32_e32 v28, 29, v15
	v_sub_u32_e32 v15, 30, v15
	v_cmp_eq_u32_e32 vcc, 0, v7
	v_lshlrev_b64 v[28:29], v28, v[12:13]
	v_cndmask_b32_e32 v7, v7, v15, vcc
	v_bfrev_b32_e32 v15, 28
	v_and_b32_e32 v28, 3, v28
	v_lshlrev_b32_e32 v12, 24, v12
	v_lshl_add_u32 v7, v7, 23, v15
	v_cndmask_b32_e32 v14, v14, v28, vcc
	v_and_or_b32 v7, v12, s96, v7
	v_lshl_or_b32 v7, v14, 21, v7
                                        ; implicit-def: $vgpr14
                                        ; implicit-def: $vgpr12
.LBB6_8683:                             ;   in Loop: Header=BB6_8564 Depth=3
	s_andn2_saveexec_b64 s[72:73], s[72:73]
; %bb.8684:                             ;   in Loop: Header=BB6_8564 Depth=3
	v_mov_b32_e32 v7, -1
	v_cmp_gt_i16_sdwa vcc, sext(v12), v7 src0_sel:BYTE_0 src1_sel:DWORD
	v_mov_b32_e32 v7, 0xc7600000
	v_mov_b32_e32 v12, 0x47600000
	v_cndmask_b32_e32 v7, v7, v12, vcc
	v_cmp_eq_u32_e32 vcc, 0, v14
	v_mov_b32_e32 v12, 0x7f800001
	v_cndmask_b32_e32 v7, v12, v7, vcc
; %bb.8685:                             ;   in Loop: Header=BB6_8564 Depth=3
	s_or_b64 exec, exec, s[72:73]
.LBB6_8686:                             ;   in Loop: Header=BB6_8564 Depth=3
	s_or_b64 exec, exec, s[30:31]
.LBB6_8687:                             ;   in Loop: Header=BB6_8564 Depth=3
	s_or_b64 exec, exec, s[70:71]
	v_cmp_ne_u16_sdwa vcc, v6, v51 src0_sel:BYTE_0 src1_sel:DWORD
	s_and_saveexec_b64 s[30:31], vcc
	s_cbranch_execz .LBB6_8695
; %bb.8688:                             ;   in Loop: Header=BB6_8564 Depth=3
	v_cmp_ne_u16_sdwa vcc, v6, s97 src0_sel:BYTE_0 src1_sel:DWORD
	v_bfrev_b32_e32 v13, 1
	s_and_saveexec_b64 s[70:71], vcc
	s_cbranch_execz .LBB6_8694
; %bb.8689:                             ;   in Loop: Header=BB6_8564 Depth=3
	v_and_b32_e32 v13, 0x7c0000, v8
	v_bfe_u32 v12, v8, 16, 2
	v_cmp_ne_u32_e32 vcc, s36, v13
                                        ; implicit-def: $vgpr13
	s_and_saveexec_b64 s[72:73], vcc
	s_xor_b64 s[72:73], exec, s[72:73]
	s_cbranch_execz .LBB6_8691
; %bb.8690:                             ;   in Loop: Header=BB6_8564 Depth=3
	v_ffbh_u32_e32 v14, v12
	v_min_u32_e32 v28, 32, v14
	v_subrev_u32_e32 v14, 29, v28
	v_bfe_u32 v13, v8, 18, 5
	v_lshlrev_b64 v[14:15], v14, v[6:7]
	v_sub_u32_e32 v15, 30, v28
	v_and_b32_e32 v14, 3, v14
	v_cmp_eq_u32_e32 vcc, 0, v13
	v_cndmask_b32_e32 v13, v13, v15, vcc
	v_cndmask_b32_e32 v12, v12, v14, vcc
	v_bfrev_b32_e32 v14, 28
	v_lshlrev_b32_e32 v6, 24, v6
	v_lshl_add_u32 v13, v13, 23, v14
	v_and_or_b32 v6, v6, s96, v13
	v_lshl_or_b32 v13, v12, 21, v6
                                        ; implicit-def: $vgpr12
                                        ; implicit-def: $vgpr6
.LBB6_8691:                             ;   in Loop: Header=BB6_8564 Depth=3
	s_andn2_saveexec_b64 s[72:73], s[72:73]
; %bb.8692:                             ;   in Loop: Header=BB6_8564 Depth=3
	v_mov_b32_e32 v13, -1
	v_cmp_gt_i16_sdwa vcc, sext(v6), v13 src0_sel:BYTE_0 src1_sel:DWORD
	v_mov_b32_e32 v6, 0xc7600000
	v_mov_b32_e32 v13, 0x47600000
	v_cndmask_b32_e32 v6, v6, v13, vcc
	v_cmp_eq_u32_e32 vcc, 0, v12
	v_mov_b32_e32 v12, 0x7f800001
	v_cndmask_b32_e32 v13, v12, v6, vcc
; %bb.8693:                             ;   in Loop: Header=BB6_8564 Depth=3
	s_or_b64 exec, exec, s[72:73]
.LBB6_8694:                             ;   in Loop: Header=BB6_8564 Depth=3
	s_or_b64 exec, exec, s[70:71]
.LBB6_8695:                             ;   in Loop: Header=BB6_8564 Depth=3
	s_or_b64 exec, exec, s[30:31]
	v_max_f32_e32 v6, v13, v13
	v_max_f32_e32 v7, v7, v7
	v_min_f32_e32 v7, v7, v6
.LBB6_8696:                             ;   in Loop: Header=BB6_8564 Depth=3
	v_and_b32_sdwa v12, v7, s97 dst_sel:DWORD dst_unused:UNUSED_PAD src0_sel:BYTE_3 src1_sel:DWORD
	v_and_b32_e32 v14, 0x7f800000, v7
	v_mov_b32_e32 v15, v51
	v_and_b32_e32 v50, 0x7fffff, v7
	v_or_b32_e32 v28, 0x7b, v12
	v_cmp_ne_u64_e32 vcc, s[52:53], v[14:15]
	s_and_saveexec_b64 s[30:31], vcc
	s_xor_b64 s[70:71], exec, s[30:31]
	s_cbranch_execz .LBB6_8706
; %bb.8697:                             ;   in Loop: Header=BB6_8564 Depth=3
	v_and_b32_e32 v14, 0x7fffffff, v7
	v_mov_b32_e32 v15, v51
	v_cmp_gt_u64_e32 vcc, s[54:55], v[14:15]
	s_and_saveexec_b64 s[72:73], vcc
	s_cbranch_execz .LBB6_8705
; %bb.8698:                             ;   in Loop: Header=BB6_8564 Depth=3
	v_cmp_ne_u32_e32 vcc, 0, v7
	v_mov_b32_e32 v28, 0
	s_and_saveexec_b64 s[74:75], vcc
	s_cbranch_execz .LBB6_8704
; %bb.8699:                             ;   in Loop: Header=BB6_8564 Depth=3
	v_bfe_u32 v6, v7, 23, 8
	v_cmp_eq_u32_e32 vcc, 0, v6
	v_add_u32_e32 v7, 0xffffff81, v6
	v_cmp_gt_u32_e64 s[30:31], s38, v6
	v_sub_u32_e32 v6, 0x71, v6
	v_mov_b32_e32 v14, 0xffffff82
	v_cndmask_b32_e64 v6, 0, v6, s[30:31]
	v_cndmask_b32_e32 v28, v7, v14, vcc
	v_mov_b32_e32 v7, 0x70
	v_cndmask_b32_e32 v29, v6, v7, vcc
	v_add_u32_e32 v6, 21, v29
	v_or_b32_e32 v13, 0x800000, v50
	v_lshlrev_b64 v[6:7], v6, -1
	v_cndmask_b32_e32 v50, v13, v50, vcc
	v_not_b32_e32 v7, v7
	v_not_b32_e32 v6, v6
	v_add_u32_e32 v13, 20, v29
	v_and_b32_e32 v7, 0, v7
	v_and_b32_e32 v6, v50, v6
	v_lshlrev_b64 v[14:15], v13, 1
	v_cmp_eq_u64_e32 vcc, v[6:7], v[14:15]
	v_lshrrev_b64 v[6:7], v29, v[50:51]
	v_lshrrev_b32_e32 v13, 23, v6
	v_add3_u32 v15, v29, v28, v13
	v_bfe_u32 v13, v6, 21, 1
	v_add_u32_e32 v13, -1, v13
	v_cndmask_b32_e32 v13, 0, v13, vcc
	v_add_u32_e32 v13, v13, v6
	v_and_b32_e32 v13, 0x1fffff, v13
	v_add_co_u32_e32 v6, vcc, v13, v6
	v_add_u32_e32 v14, 14, v15
	v_addc_co_u32_e32 v7, vcc, 0, v7, vcc
	v_cmp_ne_u32_e32 vcc, 0, v14
                                        ; implicit-def: $vgpr13
	s_and_saveexec_b64 s[30:31], vcc
	s_xor_b64 s[30:31], exec, s[30:31]
; %bb.8700:                             ;   in Loop: Header=BB6_8564 Depth=3
	v_add_u32_e32 v13, 15, v15
	v_cmp_lt_u64_e32 vcc, s[56:57], v[6:7]
	v_cndmask_b32_e32 v13, v14, v13, vcc
	v_cndmask_b32_e64 v14, 0, 1, vcc
	v_lshrrev_b64 v[6:7], v14, v[6:7]
; %bb.8701:                             ;   in Loop: Header=BB6_8564 Depth=3
	s_andn2_saveexec_b64 vcc, s[30:31]
; %bb.8702:                             ;   in Loop: Header=BB6_8564 Depth=3
	v_bfe_u32 v13, v6, 23, 1
; %bb.8703:                             ;   in Loop: Header=BB6_8564 Depth=3
	s_or_b64 exec, exec, vcc
	v_lshrrev_b64 v[6:7], 21, v[6:7]
	v_cmp_gt_i32_e32 vcc, 32, v13
	v_cndmask_b32_e32 v7, 0, v7, vcc
	v_cndmask_b32_e32 v6, 3, v6, vcc
	v_cmp_eq_u64_e64 s[30:31], 0, v[6:7]
	v_min_i32_e32 v7, 31, v13
	v_cmp_eq_u32_e32 vcc, 0, v13
	v_lshlrev_b32_e32 v7, 2, v7
	v_and_or_b32 v6, v6, 3, v7
	s_and_b64 vcc, vcc, s[30:31]
	v_cndmask_b32_e64 v6, v6, 0, vcc
	v_or_b32_e32 v28, v6, v12
.LBB6_8704:                             ;   in Loop: Header=BB6_8564 Depth=3
	s_or_b64 exec, exec, s[74:75]
.LBB6_8705:                             ;   in Loop: Header=BB6_8564 Depth=3
	s_or_b64 exec, exec, s[72:73]
                                        ; implicit-def: $vgpr7
.LBB6_8706:                             ;   in Loop: Header=BB6_8564 Depth=3
	s_andn2_saveexec_b64 s[30:31], s[70:71]
; %bb.8707:                             ;   in Loop: Header=BB6_8564 Depth=3
	v_or_b32_sdwa v6, v7, s39 dst_sel:DWORD dst_unused:UNUSED_PAD src0_sel:BYTE_3 src1_sel:DWORD
	v_cmp_eq_u64_e32 vcc, 0, v[50:51]
	v_cndmask_b32_e32 v28, v6, v28, vcc
; %bb.8708:                             ;   in Loop: Header=BB6_8564 Depth=3
	s_or_b64 exec, exec, s[30:31]
	v_lshrrev_b32_e32 v12, 24, v0
	v_lshrrev_b32_e32 v6, 24, v8
	v_cmp_lt_u32_e64 s[30:31], s43, v0
	s_and_b64 vcc, exec, s[68:69]
	s_cbranch_vccz .LBB6_8726
; %bb.8709:                             ;   in Loop: Header=BB6_8564 Depth=3
	v_mov_b32_e32 v13, 0
	v_mov_b32_e32 v7, 0
	s_and_saveexec_b64 s[70:71], s[30:31]
	s_cbranch_execz .LBB6_8717
; %bb.8710:                             ;   in Loop: Header=BB6_8564 Depth=3
	v_cmp_ne_u32_e32 vcc, s97, v12
	v_bfrev_b32_e32 v7, 1
	s_and_saveexec_b64 s[72:73], vcc
	s_cbranch_execz .LBB6_8716
; %bb.8711:                             ;   in Loop: Header=BB6_8564 Depth=3
	v_and_b32_e32 v7, 0x7c000000, v0
	v_bfe_u32 v14, v0, 24, 2
	v_cmp_ne_u32_e32 vcc, s37, v7
                                        ; implicit-def: $vgpr7
	s_and_saveexec_b64 s[74:75], vcc
	s_xor_b64 s[74:75], exec, s[74:75]
	s_cbranch_execz .LBB6_8713
; %bb.8712:                             ;   in Loop: Header=BB6_8564 Depth=3
	v_ffbh_u32_e32 v15, v14
	v_bfe_u32 v7, v0, 26, 5
	v_min_u32_e32 v15, 32, v15
	v_subrev_u32_e32 v29, 29, v15
	v_sub_u32_e32 v15, 30, v15
	v_cmp_eq_u32_e32 vcc, 0, v7
	v_lshlrev_b64 v[30:31], v29, v[12:13]
	v_cndmask_b32_e32 v7, v7, v15, vcc
	v_bfrev_b32_e32 v15, 28
	v_and_b32_e32 v29, 3, v30
	v_lshl_add_u32 v7, v7, 23, v15
	v_cndmask_b32_e32 v14, v14, v29, vcc
	v_and_or_b32 v7, v0, s96, v7
	v_lshl_or_b32 v7, v14, 21, v7
                                        ; implicit-def: $vgpr14
.LBB6_8713:                             ;   in Loop: Header=BB6_8564 Depth=3
	s_andn2_saveexec_b64 s[74:75], s[74:75]
; %bb.8714:                             ;   in Loop: Header=BB6_8564 Depth=3
	v_cmp_lt_i32_e32 vcc, -1, v0
	v_mov_b32_e32 v7, 0xc7600000
	v_mov_b32_e32 v15, 0x47600000
	v_cndmask_b32_e32 v7, v7, v15, vcc
	v_cmp_eq_u32_e32 vcc, 0, v14
	v_mov_b32_e32 v14, 0x7f800001
	v_cndmask_b32_e32 v7, v14, v7, vcc
; %bb.8715:                             ;   in Loop: Header=BB6_8564 Depth=3
	s_or_b64 exec, exec, s[74:75]
.LBB6_8716:                             ;   in Loop: Header=BB6_8564 Depth=3
	s_or_b64 exec, exec, s[72:73]
.LBB6_8717:                             ;   in Loop: Header=BB6_8564 Depth=3
	s_or_b64 exec, exec, s[70:71]
	v_cmp_lt_u32_e32 vcc, s43, v8
	s_and_saveexec_b64 s[70:71], vcc
	s_cbranch_execz .LBB6_8725
; %bb.8718:                             ;   in Loop: Header=BB6_8564 Depth=3
	v_cmp_ne_u32_e32 vcc, s97, v6
	v_bfrev_b32_e32 v13, 1
	s_and_saveexec_b64 s[72:73], vcc
	s_cbranch_execz .LBB6_8724
; %bb.8719:                             ;   in Loop: Header=BB6_8564 Depth=3
	v_and_b32_e32 v13, 0x7c000000, v8
	v_bfe_u32 v14, v8, 24, 2
	v_cmp_ne_u32_e32 vcc, s37, v13
                                        ; implicit-def: $vgpr13
	s_and_saveexec_b64 s[74:75], vcc
	s_xor_b64 s[74:75], exec, s[74:75]
	s_cbranch_execz .LBB6_8721
; %bb.8720:                             ;   in Loop: Header=BB6_8564 Depth=3
	v_ffbh_u32_e32 v15, v14
	v_bfe_u32 v13, v8, 26, 5
	v_min_u32_e32 v15, 32, v15
	v_subrev_u32_e32 v29, 29, v15
	v_sub_u32_e32 v15, 30, v15
	v_cmp_eq_u32_e32 vcc, 0, v13
	v_lshlrev_b64 v[30:31], v29, v[6:7]
	v_cndmask_b32_e32 v13, v13, v15, vcc
	v_bfrev_b32_e32 v15, 28
	v_and_b32_e32 v29, 3, v30
	v_lshl_add_u32 v13, v13, 23, v15
	v_cndmask_b32_e32 v14, v14, v29, vcc
	v_and_or_b32 v13, v8, s96, v13
	v_lshl_or_b32 v13, v14, 21, v13
                                        ; implicit-def: $vgpr14
.LBB6_8721:                             ;   in Loop: Header=BB6_8564 Depth=3
	s_andn2_saveexec_b64 s[74:75], s[74:75]
; %bb.8722:                             ;   in Loop: Header=BB6_8564 Depth=3
	v_cmp_lt_i32_e32 vcc, -1, v8
	v_mov_b32_e32 v13, 0xc7600000
	v_mov_b32_e32 v15, 0x47600000
	v_cndmask_b32_e32 v13, v13, v15, vcc
	v_cmp_eq_u32_e32 vcc, 0, v14
	v_mov_b32_e32 v14, 0x7f800001
	v_cndmask_b32_e32 v13, v14, v13, vcc
; %bb.8723:                             ;   in Loop: Header=BB6_8564 Depth=3
	s_or_b64 exec, exec, s[74:75]
.LBB6_8724:                             ;   in Loop: Header=BB6_8564 Depth=3
	s_or_b64 exec, exec, s[72:73]
.LBB6_8725:                             ;   in Loop: Header=BB6_8564 Depth=3
	s_or_b64 exec, exec, s[70:71]
	v_max_f32_e32 v13, v13, v13
	v_max_f32_e32 v7, v7, v7
	;; [unrolled: 1-line block ×3, first 2 shown]
	s_branch .LBB6_8744
.LBB6_8726:                             ;   in Loop: Header=BB6_8564 Depth=3
                                        ; implicit-def: $vgpr7
	s_cbranch_execz .LBB6_8744
; %bb.8727:                             ;   in Loop: Header=BB6_8564 Depth=3
	v_mov_b32_e32 v13, 0
	v_mov_b32_e32 v7, 0
	s_and_saveexec_b64 s[70:71], s[30:31]
	s_cbranch_execz .LBB6_8735
; %bb.8728:                             ;   in Loop: Header=BB6_8564 Depth=3
	v_cmp_ne_u32_e32 vcc, s97, v12
	v_bfrev_b32_e32 v7, 1
	s_and_saveexec_b64 s[30:31], vcc
	s_cbranch_execz .LBB6_8734
; %bb.8729:                             ;   in Loop: Header=BB6_8564 Depth=3
	v_and_b32_e32 v7, 0x7c000000, v0
	v_bfe_u32 v14, v0, 24, 2
	v_cmp_ne_u32_e32 vcc, s37, v7
                                        ; implicit-def: $vgpr7
	s_and_saveexec_b64 s[72:73], vcc
	s_xor_b64 s[72:73], exec, s[72:73]
	s_cbranch_execz .LBB6_8731
; %bb.8730:                             ;   in Loop: Header=BB6_8564 Depth=3
	v_ffbh_u32_e32 v15, v14
	v_min_u32_e32 v15, 32, v15
	v_subrev_u32_e32 v29, 29, v15
	v_bfe_u32 v7, v0, 26, 5
	v_lshlrev_b64 v[30:31], v29, v[12:13]
	v_sub_u32_e32 v12, 30, v15
	v_and_b32_e32 v15, 3, v30
	v_cmp_eq_u32_e32 vcc, 0, v7
	v_cndmask_b32_e32 v7, v7, v12, vcc
	v_cndmask_b32_e32 v12, v14, v15, vcc
	v_bfrev_b32_e32 v14, 28
	v_lshl_add_u32 v7, v7, 23, v14
	v_and_or_b32 v7, v0, s96, v7
	v_lshl_or_b32 v7, v12, 21, v7
                                        ; implicit-def: $vgpr14
.LBB6_8731:                             ;   in Loop: Header=BB6_8564 Depth=3
	s_andn2_saveexec_b64 s[72:73], s[72:73]
; %bb.8732:                             ;   in Loop: Header=BB6_8564 Depth=3
	v_cmp_lt_i32_e32 vcc, -1, v0
	v_mov_b32_e32 v7, 0xc7600000
	v_mov_b32_e32 v12, 0x47600000
	v_cndmask_b32_e32 v7, v7, v12, vcc
	v_cmp_eq_u32_e32 vcc, 0, v14
	v_mov_b32_e32 v12, 0x7f800001
	v_cndmask_b32_e32 v7, v12, v7, vcc
; %bb.8733:                             ;   in Loop: Header=BB6_8564 Depth=3
	s_or_b64 exec, exec, s[72:73]
.LBB6_8734:                             ;   in Loop: Header=BB6_8564 Depth=3
	s_or_b64 exec, exec, s[30:31]
.LBB6_8735:                             ;   in Loop: Header=BB6_8564 Depth=3
	s_or_b64 exec, exec, s[70:71]
	v_cmp_lt_u32_e32 vcc, s43, v8
	s_and_saveexec_b64 s[30:31], vcc
	s_cbranch_execz .LBB6_8743
; %bb.8736:                             ;   in Loop: Header=BB6_8564 Depth=3
	v_cmp_ne_u32_e32 vcc, s97, v6
	v_bfrev_b32_e32 v13, 1
	s_and_saveexec_b64 s[70:71], vcc
	s_cbranch_execz .LBB6_8742
; %bb.8737:                             ;   in Loop: Header=BB6_8564 Depth=3
	v_and_b32_e32 v13, 0x7c000000, v8
	v_bfe_u32 v12, v8, 24, 2
	v_cmp_ne_u32_e32 vcc, s37, v13
                                        ; implicit-def: $vgpr13
	s_and_saveexec_b64 s[72:73], vcc
	s_xor_b64 s[72:73], exec, s[72:73]
	s_cbranch_execz .LBB6_8739
; %bb.8738:                             ;   in Loop: Header=BB6_8564 Depth=3
	v_ffbh_u32_e32 v14, v12
	v_min_u32_e32 v29, 32, v14
	v_bfe_u32 v13, v8, 26, 5
	v_subrev_u32_e32 v14, 29, v29
	v_lshlrev_b64 v[14:15], v14, v[6:7]
	v_sub_u32_e32 v6, 30, v29
	v_cmp_eq_u32_e32 vcc, 0, v13
	v_cndmask_b32_e32 v6, v13, v6, vcc
	v_bfrev_b32_e32 v13, 28
	v_and_b32_e32 v14, 3, v14
	v_lshl_add_u32 v6, v6, 23, v13
	v_cndmask_b32_e32 v12, v12, v14, vcc
	v_and_or_b32 v6, v8, s96, v6
	v_lshl_or_b32 v13, v12, 21, v6
                                        ; implicit-def: $vgpr12
.LBB6_8739:                             ;   in Loop: Header=BB6_8564 Depth=3
	s_andn2_saveexec_b64 s[72:73], s[72:73]
; %bb.8740:                             ;   in Loop: Header=BB6_8564 Depth=3
	v_cmp_lt_i32_e32 vcc, -1, v8
	v_mov_b32_e32 v6, 0xc7600000
	v_mov_b32_e32 v13, 0x47600000
	v_cndmask_b32_e32 v6, v6, v13, vcc
	v_cmp_eq_u32_e32 vcc, 0, v12
	v_mov_b32_e32 v12, 0x7f800001
	v_cndmask_b32_e32 v13, v12, v6, vcc
; %bb.8741:                             ;   in Loop: Header=BB6_8564 Depth=3
	s_or_b64 exec, exec, s[72:73]
.LBB6_8742:                             ;   in Loop: Header=BB6_8564 Depth=3
	s_or_b64 exec, exec, s[70:71]
.LBB6_8743:                             ;   in Loop: Header=BB6_8564 Depth=3
	s_or_b64 exec, exec, s[30:31]
	v_max_f32_e32 v6, v13, v13
	v_max_f32_e32 v7, v7, v7
	v_min_f32_e32 v7, v7, v6
.LBB6_8744:                             ;   in Loop: Header=BB6_8564 Depth=3
	v_and_b32_sdwa v12, v7, s97 dst_sel:DWORD dst_unused:UNUSED_PAD src0_sel:BYTE_3 src1_sel:DWORD
	v_and_b32_e32 v14, 0x7f800000, v7
	v_mov_b32_e32 v15, v51
	v_and_b32_e32 v50, 0x7fffff, v7
	v_or_b32_e32 v29, 0x7b, v12
	v_cmp_ne_u64_e32 vcc, s[52:53], v[14:15]
	s_and_saveexec_b64 s[30:31], vcc
	s_xor_b64 s[70:71], exec, s[30:31]
	s_cbranch_execz .LBB6_8754
; %bb.8745:                             ;   in Loop: Header=BB6_8564 Depth=3
	v_and_b32_e32 v14, 0x7fffffff, v7
	v_mov_b32_e32 v15, v51
	v_cmp_gt_u64_e32 vcc, s[54:55], v[14:15]
	s_and_saveexec_b64 s[72:73], vcc
	s_cbranch_execz .LBB6_8753
; %bb.8746:                             ;   in Loop: Header=BB6_8564 Depth=3
	v_cmp_ne_u32_e32 vcc, 0, v7
	v_mov_b32_e32 v29, 0
	s_and_saveexec_b64 s[74:75], vcc
	s_cbranch_execz .LBB6_8752
; %bb.8747:                             ;   in Loop: Header=BB6_8564 Depth=3
	v_bfe_u32 v6, v7, 23, 8
	v_cmp_eq_u32_e32 vcc, 0, v6
	v_add_u32_e32 v7, 0xffffff81, v6
	v_cmp_gt_u32_e64 s[30:31], s38, v6
	v_sub_u32_e32 v6, 0x71, v6
	v_mov_b32_e32 v14, 0xffffff82
	v_cndmask_b32_e64 v6, 0, v6, s[30:31]
	v_cndmask_b32_e32 v29, v7, v14, vcc
	v_mov_b32_e32 v7, 0x70
	v_cndmask_b32_e32 v30, v6, v7, vcc
	v_add_u32_e32 v6, 21, v30
	v_or_b32_e32 v13, 0x800000, v50
	v_lshlrev_b64 v[6:7], v6, -1
	v_cndmask_b32_e32 v50, v13, v50, vcc
	v_not_b32_e32 v7, v7
	v_not_b32_e32 v6, v6
	v_add_u32_e32 v13, 20, v30
	v_and_b32_e32 v7, 0, v7
	v_and_b32_e32 v6, v50, v6
	v_lshlrev_b64 v[14:15], v13, 1
	v_cmp_eq_u64_e32 vcc, v[6:7], v[14:15]
	v_lshrrev_b64 v[6:7], v30, v[50:51]
	v_lshrrev_b32_e32 v13, 23, v6
	v_add3_u32 v15, v30, v29, v13
	v_bfe_u32 v13, v6, 21, 1
	v_add_u32_e32 v13, -1, v13
	v_cndmask_b32_e32 v13, 0, v13, vcc
	v_add_u32_e32 v13, v13, v6
	v_and_b32_e32 v13, 0x1fffff, v13
	v_add_co_u32_e32 v6, vcc, v13, v6
	v_add_u32_e32 v14, 14, v15
	v_addc_co_u32_e32 v7, vcc, 0, v7, vcc
	v_cmp_ne_u32_e32 vcc, 0, v14
                                        ; implicit-def: $vgpr13
	s_and_saveexec_b64 s[30:31], vcc
	s_xor_b64 s[30:31], exec, s[30:31]
; %bb.8748:                             ;   in Loop: Header=BB6_8564 Depth=3
	v_add_u32_e32 v13, 15, v15
	v_cmp_lt_u64_e32 vcc, s[56:57], v[6:7]
	v_cndmask_b32_e32 v13, v14, v13, vcc
	v_cndmask_b32_e64 v14, 0, 1, vcc
	v_lshrrev_b64 v[6:7], v14, v[6:7]
; %bb.8749:                             ;   in Loop: Header=BB6_8564 Depth=3
	s_andn2_saveexec_b64 vcc, s[30:31]
; %bb.8750:                             ;   in Loop: Header=BB6_8564 Depth=3
	v_bfe_u32 v13, v6, 23, 1
; %bb.8751:                             ;   in Loop: Header=BB6_8564 Depth=3
	s_or_b64 exec, exec, vcc
	v_lshrrev_b64 v[6:7], 21, v[6:7]
	v_cmp_gt_i32_e32 vcc, 32, v13
	v_cndmask_b32_e32 v7, 0, v7, vcc
	v_cndmask_b32_e32 v6, 3, v6, vcc
	v_cmp_eq_u64_e64 s[30:31], 0, v[6:7]
	v_min_i32_e32 v7, 31, v13
	v_cmp_eq_u32_e32 vcc, 0, v13
	v_lshlrev_b32_e32 v7, 2, v7
	v_and_or_b32 v6, v6, 3, v7
	s_and_b64 vcc, vcc, s[30:31]
	v_cndmask_b32_e64 v6, v6, 0, vcc
	v_or_b32_e32 v29, v6, v12
.LBB6_8752:                             ;   in Loop: Header=BB6_8564 Depth=3
	s_or_b64 exec, exec, s[74:75]
.LBB6_8753:                             ;   in Loop: Header=BB6_8564 Depth=3
	s_or_b64 exec, exec, s[72:73]
                                        ; implicit-def: $vgpr7
.LBB6_8754:                             ;   in Loop: Header=BB6_8564 Depth=3
	s_andn2_saveexec_b64 s[30:31], s[70:71]
; %bb.8755:                             ;   in Loop: Header=BB6_8564 Depth=3
	v_or_b32_sdwa v6, v7, s39 dst_sel:DWORD dst_unused:UNUSED_PAD src0_sel:BYTE_3 src1_sel:DWORD
	v_cmp_eq_u64_e32 vcc, 0, v[50:51]
	v_cndmask_b32_e32 v29, v6, v29, vcc
; %bb.8756:                             ;   in Loop: Header=BB6_8564 Depth=3
	s_or_b64 exec, exec, s[30:31]
	v_mov_b32_e32 v50, v1
	v_mov_b32_e32 v6, v9
	v_mov_b32_e32 v7, v51
	v_cmp_ne_u16_sdwa s[30:31], v1, v51 src0_sel:BYTE_0 src1_sel:DWORD
	s_and_b64 vcc, exec, s[68:69]
	s_cbranch_vccz .LBB6_8774
; %bb.8757:                             ;   in Loop: Header=BB6_8564 Depth=3
	v_mov_b32_e32 v13, 0
	v_mov_b32_e32 v12, 0
	s_and_saveexec_b64 s[70:71], s[30:31]
	s_cbranch_execz .LBB6_8765
; %bb.8758:                             ;   in Loop: Header=BB6_8564 Depth=3
	v_cmp_ne_u16_sdwa vcc, v1, s97 src0_sel:BYTE_0 src1_sel:DWORD
	v_bfrev_b32_e32 v12, 1
	s_and_saveexec_b64 s[72:73], vcc
	s_cbranch_execz .LBB6_8764
; %bb.8759:                             ;   in Loop: Header=BB6_8564 Depth=3
	v_and_b32_e32 v12, 0x7c, v1
	v_and_b32_e32 v14, 3, v1
	v_cmp_ne_u32_e32 vcc, s95, v12
                                        ; implicit-def: $vgpr12
	s_and_saveexec_b64 s[74:75], vcc
	s_xor_b64 s[74:75], exec, s[74:75]
	s_cbranch_execz .LBB6_8761
; %bb.8760:                             ;   in Loop: Header=BB6_8564 Depth=3
	v_ffbh_u32_e32 v15, v14
	v_min_u32_e32 v15, 32, v15
	v_subrev_u32_e32 v30, 29, v15
	v_bfe_u32 v12, v1, 2, 5
	v_lshlrev_b64 v[30:31], v30, v[50:51]
	v_sub_u32_e32 v15, 30, v15
	v_and_b32_e32 v30, 3, v30
	v_cmp_eq_u32_e32 vcc, 0, v12
	v_cndmask_b32_e32 v12, v12, v15, vcc
	v_cndmask_b32_e32 v14, v14, v30, vcc
	v_bfrev_b32_e32 v30, 28
	v_lshlrev_b32_e32 v15, 24, v1
	v_lshl_add_u32 v12, v12, 23, v30
	v_and_or_b32 v12, v15, s96, v12
	v_lshl_or_b32 v12, v14, 21, v12
                                        ; implicit-def: $vgpr14
.LBB6_8761:                             ;   in Loop: Header=BB6_8564 Depth=3
	s_andn2_saveexec_b64 s[74:75], s[74:75]
; %bb.8762:                             ;   in Loop: Header=BB6_8564 Depth=3
	v_mov_b32_e32 v12, -1
	v_cmp_gt_i16_sdwa vcc, sext(v1), v12 src0_sel:BYTE_0 src1_sel:DWORD
	v_mov_b32_e32 v12, 0xc7600000
	v_mov_b32_e32 v15, 0x47600000
	v_cndmask_b32_e32 v12, v12, v15, vcc
	v_cmp_eq_u32_e32 vcc, 0, v14
	v_mov_b32_e32 v14, 0x7f800001
	v_cndmask_b32_e32 v12, v14, v12, vcc
; %bb.8763:                             ;   in Loop: Header=BB6_8564 Depth=3
	s_or_b64 exec, exec, s[74:75]
.LBB6_8764:                             ;   in Loop: Header=BB6_8564 Depth=3
	s_or_b64 exec, exec, s[72:73]
.LBB6_8765:                             ;   in Loop: Header=BB6_8564 Depth=3
	s_or_b64 exec, exec, s[70:71]
	v_cmp_ne_u16_sdwa vcc, v9, v51 src0_sel:BYTE_0 src1_sel:DWORD
	s_and_saveexec_b64 s[70:71], vcc
	s_cbranch_execz .LBB6_8773
; %bb.8766:                             ;   in Loop: Header=BB6_8564 Depth=3
	v_cmp_ne_u16_sdwa vcc, v9, s97 src0_sel:BYTE_0 src1_sel:DWORD
	v_bfrev_b32_e32 v13, 1
	s_and_saveexec_b64 s[72:73], vcc
	s_cbranch_execz .LBB6_8772
; %bb.8767:                             ;   in Loop: Header=BB6_8564 Depth=3
	v_and_b32_e32 v13, 0x7c, v9
	v_and_b32_e32 v14, 3, v9
	v_cmp_ne_u32_e32 vcc, s95, v13
                                        ; implicit-def: $vgpr13
	s_and_saveexec_b64 s[74:75], vcc
	s_xor_b64 s[74:75], exec, s[74:75]
	s_cbranch_execz .LBB6_8769
; %bb.8768:                             ;   in Loop: Header=BB6_8564 Depth=3
	v_ffbh_u32_e32 v15, v14
	v_min_u32_e32 v15, 32, v15
	v_subrev_u32_e32 v30, 29, v15
	v_bfe_u32 v13, v9, 2, 5
	v_lshlrev_b64 v[30:31], v30, v[6:7]
	v_sub_u32_e32 v15, 30, v15
	v_and_b32_e32 v30, 3, v30
	v_cmp_eq_u32_e32 vcc, 0, v13
	v_cndmask_b32_e32 v13, v13, v15, vcc
	v_cndmask_b32_e32 v14, v14, v30, vcc
	v_bfrev_b32_e32 v30, 28
	v_lshlrev_b32_e32 v15, 24, v9
	v_lshl_add_u32 v13, v13, 23, v30
	v_and_or_b32 v13, v15, s96, v13
	v_lshl_or_b32 v13, v14, 21, v13
                                        ; implicit-def: $vgpr14
.LBB6_8769:                             ;   in Loop: Header=BB6_8564 Depth=3
	s_andn2_saveexec_b64 s[74:75], s[74:75]
; %bb.8770:                             ;   in Loop: Header=BB6_8564 Depth=3
	v_mov_b32_e32 v13, -1
	v_cmp_gt_i16_sdwa vcc, sext(v9), v13 src0_sel:BYTE_0 src1_sel:DWORD
	v_mov_b32_e32 v13, 0xc7600000
	v_mov_b32_e32 v15, 0x47600000
	v_cndmask_b32_e32 v13, v13, v15, vcc
	v_cmp_eq_u32_e32 vcc, 0, v14
	v_mov_b32_e32 v14, 0x7f800001
	v_cndmask_b32_e32 v13, v14, v13, vcc
; %bb.8771:                             ;   in Loop: Header=BB6_8564 Depth=3
	s_or_b64 exec, exec, s[74:75]
.LBB6_8772:                             ;   in Loop: Header=BB6_8564 Depth=3
	s_or_b64 exec, exec, s[72:73]
.LBB6_8773:                             ;   in Loop: Header=BB6_8564 Depth=3
	s_or_b64 exec, exec, s[70:71]
	v_max_f32_e32 v13, v13, v13
	v_max_f32_e32 v12, v12, v12
	;; [unrolled: 1-line block ×3, first 2 shown]
	s_branch .LBB6_8792
.LBB6_8774:                             ;   in Loop: Header=BB6_8564 Depth=3
                                        ; implicit-def: $vgpr14
	s_cbranch_execz .LBB6_8792
; %bb.8775:                             ;   in Loop: Header=BB6_8564 Depth=3
	v_mov_b32_e32 v13, 0
	v_mov_b32_e32 v12, 0
	s_and_saveexec_b64 s[70:71], s[30:31]
	s_cbranch_execz .LBB6_8783
; %bb.8776:                             ;   in Loop: Header=BB6_8564 Depth=3
	v_cmp_ne_u16_sdwa vcc, v1, s97 src0_sel:BYTE_0 src1_sel:DWORD
	v_bfrev_b32_e32 v12, 1
	s_and_saveexec_b64 s[30:31], vcc
	s_cbranch_execz .LBB6_8782
; %bb.8777:                             ;   in Loop: Header=BB6_8564 Depth=3
	v_and_b32_e32 v12, 0x7c, v1
	v_and_b32_e32 v14, 3, v1
	v_cmp_ne_u32_e32 vcc, s95, v12
                                        ; implicit-def: $vgpr12
	s_and_saveexec_b64 s[72:73], vcc
	s_xor_b64 s[72:73], exec, s[72:73]
	s_cbranch_execz .LBB6_8779
; %bb.8778:                             ;   in Loop: Header=BB6_8564 Depth=3
	v_ffbh_u32_e32 v15, v14
	v_min_u32_e32 v15, 32, v15
	v_subrev_u32_e32 v30, 29, v15
	v_bfe_u32 v12, v1, 2, 5
	v_lshlrev_b64 v[30:31], v30, v[50:51]
	v_sub_u32_e32 v15, 30, v15
	v_and_b32_e32 v30, 3, v30
	v_cmp_eq_u32_e32 vcc, 0, v12
	v_cndmask_b32_e32 v12, v12, v15, vcc
	v_cndmask_b32_e32 v14, v14, v30, vcc
	v_bfrev_b32_e32 v30, 28
	v_lshlrev_b32_e32 v15, 24, v1
	v_lshl_add_u32 v12, v12, 23, v30
	v_and_or_b32 v12, v15, s96, v12
	v_lshl_or_b32 v12, v14, 21, v12
                                        ; implicit-def: $vgpr14
.LBB6_8779:                             ;   in Loop: Header=BB6_8564 Depth=3
	s_andn2_saveexec_b64 s[72:73], s[72:73]
; %bb.8780:                             ;   in Loop: Header=BB6_8564 Depth=3
	v_mov_b32_e32 v12, -1
	v_cmp_gt_i16_sdwa vcc, sext(v1), v12 src0_sel:BYTE_0 src1_sel:DWORD
	v_mov_b32_e32 v12, 0xc7600000
	v_mov_b32_e32 v15, 0x47600000
	v_cndmask_b32_e32 v12, v12, v15, vcc
	v_cmp_eq_u32_e32 vcc, 0, v14
	v_mov_b32_e32 v14, 0x7f800001
	v_cndmask_b32_e32 v12, v14, v12, vcc
; %bb.8781:                             ;   in Loop: Header=BB6_8564 Depth=3
	s_or_b64 exec, exec, s[72:73]
.LBB6_8782:                             ;   in Loop: Header=BB6_8564 Depth=3
	s_or_b64 exec, exec, s[30:31]
.LBB6_8783:                             ;   in Loop: Header=BB6_8564 Depth=3
	s_or_b64 exec, exec, s[70:71]
	v_cmp_ne_u16_sdwa vcc, v9, v51 src0_sel:BYTE_0 src1_sel:DWORD
	s_and_saveexec_b64 s[30:31], vcc
	s_cbranch_execz .LBB6_8791
; %bb.8784:                             ;   in Loop: Header=BB6_8564 Depth=3
	v_cmp_ne_u16_sdwa vcc, v9, s97 src0_sel:BYTE_0 src1_sel:DWORD
	v_bfrev_b32_e32 v13, 1
	s_and_saveexec_b64 s[70:71], vcc
	s_cbranch_execz .LBB6_8790
; %bb.8785:                             ;   in Loop: Header=BB6_8564 Depth=3
	v_and_b32_e32 v13, 0x7c, v9
	v_and_b32_e32 v14, 3, v9
	v_cmp_ne_u32_e32 vcc, s95, v13
                                        ; implicit-def: $vgpr13
	s_and_saveexec_b64 s[72:73], vcc
	s_xor_b64 s[72:73], exec, s[72:73]
	s_cbranch_execz .LBB6_8787
; %bb.8786:                             ;   in Loop: Header=BB6_8564 Depth=3
	v_ffbh_u32_e32 v15, v14
	v_min_u32_e32 v15, 32, v15
	v_subrev_u32_e32 v30, 29, v15
	v_bfe_u32 v13, v9, 2, 5
	v_lshlrev_b64 v[30:31], v30, v[6:7]
	v_sub_u32_e32 v7, 30, v15
	v_and_b32_e32 v15, 3, v30
	v_cmp_eq_u32_e32 vcc, 0, v13
	v_cndmask_b32_e32 v7, v13, v7, vcc
	v_cndmask_b32_e32 v13, v14, v15, vcc
	v_bfrev_b32_e32 v15, 28
	v_lshlrev_b32_e32 v14, 24, v9
	v_lshl_add_u32 v7, v7, 23, v15
	v_and_or_b32 v7, v14, s96, v7
	v_lshl_or_b32 v13, v13, 21, v7
                                        ; implicit-def: $vgpr14
.LBB6_8787:                             ;   in Loop: Header=BB6_8564 Depth=3
	s_andn2_saveexec_b64 s[72:73], s[72:73]
; %bb.8788:                             ;   in Loop: Header=BB6_8564 Depth=3
	v_mov_b32_e32 v7, -1
	v_cmp_gt_i16_sdwa vcc, sext(v9), v7 src0_sel:BYTE_0 src1_sel:DWORD
	v_mov_b32_e32 v7, 0xc7600000
	v_mov_b32_e32 v13, 0x47600000
	v_cndmask_b32_e32 v7, v7, v13, vcc
	v_cmp_eq_u32_e32 vcc, 0, v14
	v_mov_b32_e32 v13, 0x7f800001
	v_cndmask_b32_e32 v13, v13, v7, vcc
; %bb.8789:                             ;   in Loop: Header=BB6_8564 Depth=3
	s_or_b64 exec, exec, s[72:73]
.LBB6_8790:                             ;   in Loop: Header=BB6_8564 Depth=3
	s_or_b64 exec, exec, s[70:71]
.LBB6_8791:                             ;   in Loop: Header=BB6_8564 Depth=3
	s_or_b64 exec, exec, s[30:31]
	v_max_f32_e32 v7, v13, v13
	v_max_f32_e32 v12, v12, v12
	v_min_f32_e32 v14, v12, v7
.LBB6_8792:                             ;   in Loop: Header=BB6_8564 Depth=3
	v_and_b32_sdwa v7, v14, s97 dst_sel:DWORD dst_unused:UNUSED_PAD src0_sel:BYTE_3 src1_sel:DWORD
	v_and_b32_e32 v32, 0x7f800000, v14
	v_mov_b32_e32 v33, v51
	v_and_b32_e32 v12, 0x7fffff, v14
	v_mov_b32_e32 v13, v51
	v_or_b32_e32 v30, 0x7b, v7
	v_cmp_ne_u64_e32 vcc, s[52:53], v[32:33]
	s_and_saveexec_b64 s[30:31], vcc
	s_xor_b64 s[70:71], exec, s[30:31]
	s_cbranch_execz .LBB6_8802
; %bb.8793:                             ;   in Loop: Header=BB6_8564 Depth=3
	v_and_b32_e32 v32, 0x7fffffff, v14
	v_mov_b32_e32 v33, v51
	v_cmp_gt_u64_e32 vcc, s[54:55], v[32:33]
	s_and_saveexec_b64 s[72:73], vcc
	s_cbranch_execz .LBB6_8801
; %bb.8794:                             ;   in Loop: Header=BB6_8564 Depth=3
	v_cmp_ne_u32_e32 vcc, 0, v14
	v_mov_b32_e32 v30, 0
	s_and_saveexec_b64 s[74:75], vcc
	s_cbranch_execz .LBB6_8800
; %bb.8795:                             ;   in Loop: Header=BB6_8564 Depth=3
	v_bfe_u32 v14, v14, 23, 8
	v_cmp_eq_u32_e32 vcc, 0, v14
	v_add_u32_e32 v15, 0xffffff81, v14
	v_cmp_gt_u32_e64 s[30:31], s38, v14
	v_sub_u32_e32 v14, 0x71, v14
	v_mov_b32_e32 v31, 0xffffff82
	v_cndmask_b32_e64 v14, 0, v14, s[30:31]
	v_cndmask_b32_e32 v32, v15, v31, vcc
	v_mov_b32_e32 v15, 0x70
	v_cndmask_b32_e32 v33, v14, v15, vcc
	v_add_u32_e32 v14, 21, v33
	v_or_b32_e32 v30, 0x800000, v12
	v_lshlrev_b64 v[14:15], v14, -1
	v_cndmask_b32_e32 v12, v30, v12, vcc
	v_not_b32_e32 v15, v15
	v_not_b32_e32 v14, v14
	v_add_u32_e32 v30, 20, v33
	v_and_b32_e32 v15, 0, v15
	v_and_b32_e32 v14, v12, v14
	v_lshlrev_b64 v[30:31], v30, 1
	v_lshrrev_b64 v[12:13], v33, v[12:13]
	v_cmp_eq_u64_e32 vcc, v[14:15], v[30:31]
	v_lshrrev_b32_e32 v14, 23, v12
	v_add3_u32 v30, v33, v32, v14
	v_bfe_u32 v14, v12, 21, 1
	v_add_u32_e32 v14, -1, v14
	v_cndmask_b32_e32 v14, 0, v14, vcc
	v_add_u32_e32 v14, v14, v12
	v_and_b32_e32 v14, 0x1fffff, v14
	v_add_co_u32_e32 v12, vcc, v14, v12
	v_add_u32_e32 v15, 14, v30
	v_addc_co_u32_e32 v13, vcc, 0, v13, vcc
	v_cmp_ne_u32_e32 vcc, 0, v15
                                        ; implicit-def: $vgpr14
	s_and_saveexec_b64 s[30:31], vcc
	s_xor_b64 s[30:31], exec, s[30:31]
; %bb.8796:                             ;   in Loop: Header=BB6_8564 Depth=3
	v_add_u32_e32 v14, 15, v30
	v_cmp_lt_u64_e32 vcc, s[56:57], v[12:13]
	v_cndmask_b32_e32 v14, v15, v14, vcc
	v_cndmask_b32_e64 v15, 0, 1, vcc
	v_lshrrev_b64 v[12:13], v15, v[12:13]
; %bb.8797:                             ;   in Loop: Header=BB6_8564 Depth=3
	s_andn2_saveexec_b64 vcc, s[30:31]
; %bb.8798:                             ;   in Loop: Header=BB6_8564 Depth=3
	v_bfe_u32 v14, v12, 23, 1
; %bb.8799:                             ;   in Loop: Header=BB6_8564 Depth=3
	s_or_b64 exec, exec, vcc
	v_lshrrev_b64 v[12:13], 21, v[12:13]
	v_cmp_gt_i32_e32 vcc, 32, v14
	v_cndmask_b32_e32 v13, 0, v13, vcc
	v_cndmask_b32_e32 v12, 3, v12, vcc
	v_cmp_eq_u64_e64 s[30:31], 0, v[12:13]
	v_min_i32_e32 v13, 31, v14
	v_cmp_eq_u32_e32 vcc, 0, v14
	v_lshlrev_b32_e32 v13, 2, v13
	v_and_or_b32 v12, v12, 3, v13
	s_and_b64 vcc, vcc, s[30:31]
	v_cndmask_b32_e64 v12, v12, 0, vcc
	v_or_b32_e32 v30, v12, v7
.LBB6_8800:                             ;   in Loop: Header=BB6_8564 Depth=3
	s_or_b64 exec, exec, s[74:75]
.LBB6_8801:                             ;   in Loop: Header=BB6_8564 Depth=3
	s_or_b64 exec, exec, s[72:73]
                                        ; implicit-def: $vgpr14
                                        ; implicit-def: $vgpr12_vgpr13
.LBB6_8802:                             ;   in Loop: Header=BB6_8564 Depth=3
	s_andn2_saveexec_b64 s[30:31], s[70:71]
; %bb.8803:                             ;   in Loop: Header=BB6_8564 Depth=3
	v_or_b32_sdwa v7, v14, s39 dst_sel:DWORD dst_unused:UNUSED_PAD src0_sel:BYTE_3 src1_sel:DWORD
	v_cmp_eq_u64_e32 vcc, 0, v[12:13]
	v_cndmask_b32_e32 v30, v7, v30, vcc
; %bb.8804:                             ;   in Loop: Header=BB6_8564 Depth=3
	s_or_b64 exec, exec, s[30:31]
	v_lshrrev_b16_e32 v14, 8, v50
	v_lshrrev_b16_e32 v12, 8, v6
	v_cmp_ne_u16_e64 s[30:31], 0, v14
	s_and_b64 vcc, exec, s[68:69]
	s_cbranch_vccz .LBB6_8822
; %bb.8805:                             ;   in Loop: Header=BB6_8564 Depth=3
	v_mov_b32_e32 v13, 0
	v_mov_b32_e32 v7, 0
	s_and_saveexec_b64 s[70:71], s[30:31]
	s_cbranch_execz .LBB6_8813
; %bb.8806:                             ;   in Loop: Header=BB6_8564 Depth=3
	v_cmp_ne_u16_e32 vcc, s97, v14
	v_bfrev_b32_e32 v7, 1
	s_and_saveexec_b64 s[72:73], vcc
	s_cbranch_execz .LBB6_8812
; %bb.8807:                             ;   in Loop: Header=BB6_8564 Depth=3
	v_and_b32_e32 v7, 0x7c, v14
	v_and_b32_e32 v31, 3, v14
	v_cmp_ne_u32_e32 vcc, s95, v7
                                        ; implicit-def: $vgpr7
	s_and_saveexec_b64 s[74:75], vcc
	s_xor_b64 s[74:75], exec, s[74:75]
	s_cbranch_execz .LBB6_8809
; %bb.8808:                             ;   in Loop: Header=BB6_8564 Depth=3
	v_ffbh_u32_e32 v32, v31
	v_min_u32_e32 v34, 32, v32
	v_mov_b32_e32 v15, v51
	v_subrev_u32_e32 v32, 29, v34
	v_bfe_u32 v7, v14, 2, 5
	v_lshlrev_b64 v[32:33], v32, v[14:15]
	v_sub_u32_e32 v15, 30, v34
	v_and_b32_e32 v32, 3, v32
	v_cmp_eq_u32_e32 vcc, 0, v7
	v_cndmask_b32_e32 v7, v7, v15, vcc
	v_cndmask_b32_e32 v15, v31, v32, vcc
	v_bfrev_b32_e32 v32, 28
	v_lshlrev_b32_e32 v31, 16, v50
	v_lshl_add_u32 v7, v7, 23, v32
	v_and_or_b32 v7, v31, s96, v7
	v_lshl_or_b32 v7, v15, 21, v7
                                        ; implicit-def: $vgpr31
.LBB6_8809:                             ;   in Loop: Header=BB6_8564 Depth=3
	s_andn2_saveexec_b64 s[74:75], s[74:75]
; %bb.8810:                             ;   in Loop: Header=BB6_8564 Depth=3
	v_cmp_lt_i16_e32 vcc, -1, v50
	v_mov_b32_e32 v7, 0xc7600000
	v_mov_b32_e32 v15, 0x47600000
	v_cndmask_b32_e32 v7, v7, v15, vcc
	v_cmp_eq_u32_e32 vcc, 0, v31
	v_mov_b32_e32 v15, 0x7f800001
	v_cndmask_b32_e32 v7, v15, v7, vcc
; %bb.8811:                             ;   in Loop: Header=BB6_8564 Depth=3
	s_or_b64 exec, exec, s[74:75]
.LBB6_8812:                             ;   in Loop: Header=BB6_8564 Depth=3
	s_or_b64 exec, exec, s[72:73]
.LBB6_8813:                             ;   in Loop: Header=BB6_8564 Depth=3
	s_or_b64 exec, exec, s[70:71]
	v_cmp_ne_u16_e32 vcc, 0, v12
	s_and_saveexec_b64 s[70:71], vcc
	s_cbranch_execz .LBB6_8821
; %bb.8814:                             ;   in Loop: Header=BB6_8564 Depth=3
	v_cmp_ne_u16_e32 vcc, s97, v12
	v_bfrev_b32_e32 v13, 1
	s_and_saveexec_b64 s[72:73], vcc
	s_cbranch_execz .LBB6_8820
; %bb.8815:                             ;   in Loop: Header=BB6_8564 Depth=3
	v_and_b32_e32 v13, 0x7c, v12
	v_and_b32_e32 v15, 3, v12
	v_cmp_ne_u32_e32 vcc, s95, v13
                                        ; implicit-def: $vgpr13
	s_and_saveexec_b64 s[74:75], vcc
	s_xor_b64 s[74:75], exec, s[74:75]
	s_cbranch_execz .LBB6_8817
; %bb.8816:                             ;   in Loop: Header=BB6_8564 Depth=3
	v_ffbh_u32_e32 v32, v15
	v_min_u32_e32 v34, 32, v32
	v_mov_b32_e32 v13, v51
	v_subrev_u32_e32 v32, 29, v34
	v_bfe_u32 v31, v12, 2, 5
	v_lshlrev_b64 v[32:33], v32, v[12:13]
	v_sub_u32_e32 v13, 30, v34
	v_and_b32_e32 v32, 3, v32
	v_cmp_eq_u32_e32 vcc, 0, v31
	v_cndmask_b32_e32 v13, v31, v13, vcc
	v_cndmask_b32_e32 v15, v15, v32, vcc
	v_bfrev_b32_e32 v32, 28
	v_lshlrev_b32_e32 v31, 16, v6
	v_lshl_add_u32 v13, v13, 23, v32
	v_and_or_b32 v13, v31, s96, v13
	v_lshl_or_b32 v13, v15, 21, v13
                                        ; implicit-def: $vgpr15
.LBB6_8817:                             ;   in Loop: Header=BB6_8564 Depth=3
	s_andn2_saveexec_b64 s[74:75], s[74:75]
; %bb.8818:                             ;   in Loop: Header=BB6_8564 Depth=3
	v_cmp_lt_i16_e32 vcc, -1, v6
	v_mov_b32_e32 v13, 0xc7600000
	v_mov_b32_e32 v31, 0x47600000
	v_cndmask_b32_e32 v13, v13, v31, vcc
	v_cmp_eq_u32_e32 vcc, 0, v15
	v_mov_b32_e32 v15, 0x7f800001
	v_cndmask_b32_e32 v13, v15, v13, vcc
; %bb.8819:                             ;   in Loop: Header=BB6_8564 Depth=3
	s_or_b64 exec, exec, s[74:75]
.LBB6_8820:                             ;   in Loop: Header=BB6_8564 Depth=3
	s_or_b64 exec, exec, s[72:73]
.LBB6_8821:                             ;   in Loop: Header=BB6_8564 Depth=3
	s_or_b64 exec, exec, s[70:71]
	v_max_f32_e32 v13, v13, v13
	v_max_f32_e32 v7, v7, v7
	;; [unrolled: 1-line block ×3, first 2 shown]
	s_branch .LBB6_8840
.LBB6_8822:                             ;   in Loop: Header=BB6_8564 Depth=3
                                        ; implicit-def: $vgpr7
	s_cbranch_execz .LBB6_8840
; %bb.8823:                             ;   in Loop: Header=BB6_8564 Depth=3
	v_mov_b32_e32 v13, 0
	v_mov_b32_e32 v15, 0
	s_and_saveexec_b64 s[70:71], s[30:31]
	s_cbranch_execz .LBB6_8831
; %bb.8824:                             ;   in Loop: Header=BB6_8564 Depth=3
	v_cmp_ne_u16_e32 vcc, s97, v14
	v_bfrev_b32_e32 v15, 1
	s_and_saveexec_b64 s[30:31], vcc
	s_cbranch_execz .LBB6_8830
; %bb.8825:                             ;   in Loop: Header=BB6_8564 Depth=3
	v_and_b32_e32 v15, 0x7c, v14
	v_and_b32_e32 v7, 3, v14
	v_cmp_ne_u32_e32 vcc, s95, v15
                                        ; implicit-def: $vgpr15
	s_and_saveexec_b64 s[72:73], vcc
	s_xor_b64 s[72:73], exec, s[72:73]
	s_cbranch_execz .LBB6_8827
; %bb.8826:                             ;   in Loop: Header=BB6_8564 Depth=3
	v_ffbh_u32_e32 v32, v7
	v_min_u32_e32 v32, 32, v32
	v_mov_b32_e32 v15, v51
	v_subrev_u32_e32 v33, 29, v32
	v_bfe_u32 v31, v14, 2, 5
	v_lshlrev_b64 v[14:15], v33, v[14:15]
	v_sub_u32_e32 v15, 30, v32
	v_cmp_eq_u32_e32 vcc, 0, v31
	v_and_b32_e32 v14, 3, v14
	v_cndmask_b32_e32 v15, v31, v15, vcc
	v_bfrev_b32_e32 v31, 28
	v_cndmask_b32_e32 v7, v7, v14, vcc
	v_lshlrev_b32_e32 v14, 16, v50
	v_lshl_add_u32 v15, v15, 23, v31
	v_and_or_b32 v14, v14, s96, v15
	v_lshl_or_b32 v15, v7, 21, v14
                                        ; implicit-def: $vgpr7
.LBB6_8827:                             ;   in Loop: Header=BB6_8564 Depth=3
	s_andn2_saveexec_b64 s[72:73], s[72:73]
; %bb.8828:                             ;   in Loop: Header=BB6_8564 Depth=3
	v_cmp_lt_i16_e32 vcc, -1, v50
	v_mov_b32_e32 v14, 0xc7600000
	v_mov_b32_e32 v15, 0x47600000
	v_cndmask_b32_e32 v14, v14, v15, vcc
	v_cmp_eq_u32_e32 vcc, 0, v7
	v_mov_b32_e32 v7, 0x7f800001
	v_cndmask_b32_e32 v15, v7, v14, vcc
; %bb.8829:                             ;   in Loop: Header=BB6_8564 Depth=3
	s_or_b64 exec, exec, s[72:73]
.LBB6_8830:                             ;   in Loop: Header=BB6_8564 Depth=3
	s_or_b64 exec, exec, s[30:31]
.LBB6_8831:                             ;   in Loop: Header=BB6_8564 Depth=3
	s_or_b64 exec, exec, s[70:71]
	v_cmp_ne_u16_e32 vcc, 0, v12
	s_and_saveexec_b64 s[30:31], vcc
	s_cbranch_execz .LBB6_8839
; %bb.8832:                             ;   in Loop: Header=BB6_8564 Depth=3
	v_cmp_ne_u16_e32 vcc, s97, v12
	v_bfrev_b32_e32 v13, 1
	s_and_saveexec_b64 s[70:71], vcc
	s_cbranch_execz .LBB6_8838
; %bb.8833:                             ;   in Loop: Header=BB6_8564 Depth=3
	v_and_b32_e32 v7, 0x7c, v12
	v_and_b32_e32 v14, 3, v12
	v_cmp_ne_u32_e32 vcc, s95, v7
                                        ; implicit-def: $vgpr13
	s_and_saveexec_b64 s[72:73], vcc
	s_xor_b64 s[72:73], exec, s[72:73]
	s_cbranch_execz .LBB6_8835
; %bb.8834:                             ;   in Loop: Header=BB6_8564 Depth=3
	v_ffbh_u32_e32 v31, v14
	v_min_u32_e32 v31, 32, v31
	v_mov_b32_e32 v13, v51
	v_subrev_u32_e32 v32, 29, v31
	v_bfe_u32 v7, v12, 2, 5
	v_lshlrev_b64 v[12:13], v32, v[12:13]
	v_sub_u32_e32 v13, 30, v31
	v_cmp_eq_u32_e32 vcc, 0, v7
	v_cndmask_b32_e32 v7, v7, v13, vcc
	v_bfrev_b32_e32 v13, 28
	v_and_b32_e32 v12, 3, v12
	v_lshlrev_b32_e32 v6, 16, v6
	v_lshl_add_u32 v7, v7, 23, v13
	v_cndmask_b32_e32 v12, v14, v12, vcc
	v_and_or_b32 v6, v6, s96, v7
	v_lshl_or_b32 v13, v12, 21, v6
                                        ; implicit-def: $vgpr14
                                        ; implicit-def: $vgpr6_vgpr7
.LBB6_8835:                             ;   in Loop: Header=BB6_8564 Depth=3
	s_andn2_saveexec_b64 s[72:73], s[72:73]
; %bb.8836:                             ;   in Loop: Header=BB6_8564 Depth=3
	v_cmp_lt_i16_e32 vcc, -1, v6
	v_mov_b32_e32 v6, 0xc7600000
	v_mov_b32_e32 v7, 0x47600000
	v_cndmask_b32_e32 v6, v6, v7, vcc
	v_cmp_eq_u32_e32 vcc, 0, v14
	v_mov_b32_e32 v7, 0x7f800001
	v_cndmask_b32_e32 v13, v7, v6, vcc
; %bb.8837:                             ;   in Loop: Header=BB6_8564 Depth=3
	s_or_b64 exec, exec, s[72:73]
.LBB6_8838:                             ;   in Loop: Header=BB6_8564 Depth=3
	s_or_b64 exec, exec, s[70:71]
.LBB6_8839:                             ;   in Loop: Header=BB6_8564 Depth=3
	s_or_b64 exec, exec, s[30:31]
	v_max_f32_e32 v6, v13, v13
	v_max_f32_e32 v7, v15, v15
	v_min_f32_e32 v7, v7, v6
.LBB6_8840:                             ;   in Loop: Header=BB6_8564 Depth=3
	v_and_b32_sdwa v12, v7, s97 dst_sel:DWORD dst_unused:UNUSED_PAD src0_sel:BYTE_3 src1_sel:DWORD
	v_and_b32_e32 v14, 0x7f800000, v7
	v_mov_b32_e32 v15, v51
	v_and_b32_e32 v50, 0x7fffff, v7
	v_or_b32_e32 v13, 0x7b, v12
	v_cmp_ne_u64_e32 vcc, s[52:53], v[14:15]
	s_and_saveexec_b64 s[30:31], vcc
	s_xor_b64 s[70:71], exec, s[30:31]
	s_cbranch_execz .LBB6_8850
; %bb.8841:                             ;   in Loop: Header=BB6_8564 Depth=3
	v_and_b32_e32 v14, 0x7fffffff, v7
	v_mov_b32_e32 v15, v51
	v_cmp_gt_u64_e32 vcc, s[54:55], v[14:15]
	s_and_saveexec_b64 s[72:73], vcc
	s_cbranch_execz .LBB6_8849
; %bb.8842:                             ;   in Loop: Header=BB6_8564 Depth=3
	v_cmp_ne_u32_e32 vcc, 0, v7
	v_mov_b32_e32 v13, 0
	s_and_saveexec_b64 s[74:75], vcc
	s_cbranch_execz .LBB6_8848
; %bb.8843:                             ;   in Loop: Header=BB6_8564 Depth=3
	v_bfe_u32 v6, v7, 23, 8
	v_cmp_eq_u32_e32 vcc, 0, v6
	v_add_u32_e32 v7, 0xffffff81, v6
	v_cmp_gt_u32_e64 s[30:31], s38, v6
	v_sub_u32_e32 v6, 0x71, v6
	v_mov_b32_e32 v14, 0xffffff82
	v_cndmask_b32_e64 v6, 0, v6, s[30:31]
	v_cndmask_b32_e32 v31, v7, v14, vcc
	v_mov_b32_e32 v7, 0x70
	v_cndmask_b32_e32 v32, v6, v7, vcc
	v_add_u32_e32 v6, 21, v32
	v_or_b32_e32 v13, 0x800000, v50
	v_lshlrev_b64 v[6:7], v6, -1
	v_cndmask_b32_e32 v50, v13, v50, vcc
	v_not_b32_e32 v7, v7
	v_not_b32_e32 v6, v6
	v_add_u32_e32 v13, 20, v32
	v_and_b32_e32 v7, 0, v7
	v_and_b32_e32 v6, v50, v6
	v_lshlrev_b64 v[14:15], v13, 1
	v_cmp_eq_u64_e32 vcc, v[6:7], v[14:15]
	v_lshrrev_b64 v[6:7], v32, v[50:51]
	v_lshrrev_b32_e32 v13, 23, v6
	v_add3_u32 v15, v32, v31, v13
	v_bfe_u32 v13, v6, 21, 1
	v_add_u32_e32 v13, -1, v13
	v_cndmask_b32_e32 v13, 0, v13, vcc
	v_add_u32_e32 v13, v13, v6
	v_and_b32_e32 v13, 0x1fffff, v13
	v_add_co_u32_e32 v6, vcc, v13, v6
	v_add_u32_e32 v14, 14, v15
	v_addc_co_u32_e32 v7, vcc, 0, v7, vcc
	v_cmp_ne_u32_e32 vcc, 0, v14
                                        ; implicit-def: $vgpr13
	s_and_saveexec_b64 s[30:31], vcc
	s_xor_b64 s[30:31], exec, s[30:31]
; %bb.8844:                             ;   in Loop: Header=BB6_8564 Depth=3
	v_add_u32_e32 v13, 15, v15
	v_cmp_lt_u64_e32 vcc, s[56:57], v[6:7]
	v_cndmask_b32_e32 v13, v14, v13, vcc
	v_cndmask_b32_e64 v14, 0, 1, vcc
	v_lshrrev_b64 v[6:7], v14, v[6:7]
; %bb.8845:                             ;   in Loop: Header=BB6_8564 Depth=3
	s_andn2_saveexec_b64 vcc, s[30:31]
; %bb.8846:                             ;   in Loop: Header=BB6_8564 Depth=3
	v_bfe_u32 v13, v6, 23, 1
; %bb.8847:                             ;   in Loop: Header=BB6_8564 Depth=3
	s_or_b64 exec, exec, vcc
	v_lshrrev_b64 v[6:7], 21, v[6:7]
	v_cmp_gt_i32_e32 vcc, 32, v13
	v_cndmask_b32_e32 v7, 0, v7, vcc
	v_cndmask_b32_e32 v6, 3, v6, vcc
	v_cmp_eq_u64_e64 s[30:31], 0, v[6:7]
	v_min_i32_e32 v7, 31, v13
	v_cmp_eq_u32_e32 vcc, 0, v13
	v_lshlrev_b32_e32 v7, 2, v7
	v_and_or_b32 v6, v6, 3, v7
	s_and_b64 vcc, vcc, s[30:31]
	v_cndmask_b32_e64 v6, v6, 0, vcc
	v_or_b32_e32 v13, v6, v12
.LBB6_8848:                             ;   in Loop: Header=BB6_8564 Depth=3
	s_or_b64 exec, exec, s[74:75]
.LBB6_8849:                             ;   in Loop: Header=BB6_8564 Depth=3
	s_or_b64 exec, exec, s[72:73]
                                        ; implicit-def: $vgpr7
.LBB6_8850:                             ;   in Loop: Header=BB6_8564 Depth=3
	s_andn2_saveexec_b64 s[30:31], s[70:71]
; %bb.8851:                             ;   in Loop: Header=BB6_8564 Depth=3
	v_or_b32_sdwa v6, v7, s39 dst_sel:DWORD dst_unused:UNUSED_PAD src0_sel:BYTE_3 src1_sel:DWORD
	v_cmp_eq_u64_e32 vcc, 0, v[50:51]
	v_cndmask_b32_e32 v13, v6, v13, vcc
; %bb.8852:                             ;   in Loop: Header=BB6_8564 Depth=3
	s_or_b64 exec, exec, s[30:31]
	v_lshrrev_b32_e32 v12, 16, v1
	v_lshrrev_b32_e32 v6, 16, v9
	v_cmp_ne_u16_sdwa s[30:31], v12, v51 src0_sel:BYTE_0 src1_sel:DWORD
	s_and_b64 vcc, exec, s[68:69]
	s_cbranch_vccz .LBB6_8870
; %bb.8853:                             ;   in Loop: Header=BB6_8564 Depth=3
	v_mov_b32_e32 v14, 0
	v_mov_b32_e32 v7, 0
	s_and_saveexec_b64 s[70:71], s[30:31]
	s_cbranch_execz .LBB6_8861
; %bb.8854:                             ;   in Loop: Header=BB6_8564 Depth=3
	v_cmp_ne_u16_sdwa vcc, v12, s97 src0_sel:BYTE_0 src1_sel:DWORD
	v_bfrev_b32_e32 v7, 1
	s_and_saveexec_b64 s[72:73], vcc
	s_cbranch_execz .LBB6_8860
; %bb.8855:                             ;   in Loop: Header=BB6_8564 Depth=3
	v_and_b32_e32 v7, 0x7c0000, v1
	v_bfe_u32 v15, v1, 16, 2
	v_cmp_ne_u32_e32 vcc, s36, v7
                                        ; implicit-def: $vgpr7
	s_and_saveexec_b64 s[74:75], vcc
	s_xor_b64 s[74:75], exec, s[74:75]
	s_cbranch_execz .LBB6_8857
; %bb.8856:                             ;   in Loop: Header=BB6_8564 Depth=3
	v_ffbh_u32_e32 v31, v15
	v_min_u32_e32 v31, 32, v31
	v_subrev_u32_e32 v32, 29, v31
	v_bfe_u32 v7, v1, 18, 5
	v_lshlrev_b64 v[32:33], v32, v[12:13]
	v_sub_u32_e32 v31, 30, v31
	v_and_b32_e32 v32, 3, v32
	v_cmp_eq_u32_e32 vcc, 0, v7
	v_cndmask_b32_e32 v7, v7, v31, vcc
	v_cndmask_b32_e32 v15, v15, v32, vcc
	v_bfrev_b32_e32 v32, 28
	v_lshlrev_b32_e32 v31, 24, v12
	v_lshl_add_u32 v7, v7, 23, v32
	v_and_or_b32 v7, v31, s96, v7
	v_lshl_or_b32 v7, v15, 21, v7
                                        ; implicit-def: $vgpr15
.LBB6_8857:                             ;   in Loop: Header=BB6_8564 Depth=3
	s_andn2_saveexec_b64 s[74:75], s[74:75]
; %bb.8858:                             ;   in Loop: Header=BB6_8564 Depth=3
	v_mov_b32_e32 v7, -1
	v_cmp_gt_i16_sdwa vcc, sext(v12), v7 src0_sel:BYTE_0 src1_sel:DWORD
	v_mov_b32_e32 v7, 0xc7600000
	v_mov_b32_e32 v31, 0x47600000
	v_cndmask_b32_e32 v7, v7, v31, vcc
	v_cmp_eq_u32_e32 vcc, 0, v15
	v_mov_b32_e32 v15, 0x7f800001
	v_cndmask_b32_e32 v7, v15, v7, vcc
; %bb.8859:                             ;   in Loop: Header=BB6_8564 Depth=3
	s_or_b64 exec, exec, s[74:75]
.LBB6_8860:                             ;   in Loop: Header=BB6_8564 Depth=3
	s_or_b64 exec, exec, s[72:73]
.LBB6_8861:                             ;   in Loop: Header=BB6_8564 Depth=3
	s_or_b64 exec, exec, s[70:71]
	v_cmp_ne_u16_sdwa vcc, v6, v51 src0_sel:BYTE_0 src1_sel:DWORD
	s_and_saveexec_b64 s[70:71], vcc
	s_cbranch_execz .LBB6_8869
; %bb.8862:                             ;   in Loop: Header=BB6_8564 Depth=3
	v_cmp_ne_u16_sdwa vcc, v6, s97 src0_sel:BYTE_0 src1_sel:DWORD
	v_bfrev_b32_e32 v14, 1
	s_and_saveexec_b64 s[72:73], vcc
	s_cbranch_execz .LBB6_8868
; %bb.8863:                             ;   in Loop: Header=BB6_8564 Depth=3
	v_and_b32_e32 v14, 0x7c0000, v9
	v_bfe_u32 v15, v9, 16, 2
	v_cmp_ne_u32_e32 vcc, s36, v14
                                        ; implicit-def: $vgpr14
	s_and_saveexec_b64 s[74:75], vcc
	s_xor_b64 s[74:75], exec, s[74:75]
	s_cbranch_execz .LBB6_8865
; %bb.8864:                             ;   in Loop: Header=BB6_8564 Depth=3
	v_ffbh_u32_e32 v31, v15
	v_min_u32_e32 v31, 32, v31
	v_subrev_u32_e32 v32, 29, v31
	v_bfe_u32 v14, v9, 18, 5
	v_lshlrev_b64 v[32:33], v32, v[6:7]
	v_sub_u32_e32 v31, 30, v31
	v_and_b32_e32 v32, 3, v32
	v_cmp_eq_u32_e32 vcc, 0, v14
	v_cndmask_b32_e32 v14, v14, v31, vcc
	v_cndmask_b32_e32 v15, v15, v32, vcc
	v_bfrev_b32_e32 v32, 28
	v_lshlrev_b32_e32 v31, 24, v6
	v_lshl_add_u32 v14, v14, 23, v32
	v_and_or_b32 v14, v31, s96, v14
	v_lshl_or_b32 v14, v15, 21, v14
                                        ; implicit-def: $vgpr15
.LBB6_8865:                             ;   in Loop: Header=BB6_8564 Depth=3
	s_andn2_saveexec_b64 s[74:75], s[74:75]
; %bb.8866:                             ;   in Loop: Header=BB6_8564 Depth=3
	v_mov_b32_e32 v14, -1
	v_cmp_gt_i16_sdwa vcc, sext(v6), v14 src0_sel:BYTE_0 src1_sel:DWORD
	v_mov_b32_e32 v14, 0xc7600000
	v_mov_b32_e32 v31, 0x47600000
	v_cndmask_b32_e32 v14, v14, v31, vcc
	v_cmp_eq_u32_e32 vcc, 0, v15
	v_mov_b32_e32 v15, 0x7f800001
	v_cndmask_b32_e32 v14, v15, v14, vcc
; %bb.8867:                             ;   in Loop: Header=BB6_8564 Depth=3
	s_or_b64 exec, exec, s[74:75]
.LBB6_8868:                             ;   in Loop: Header=BB6_8564 Depth=3
	s_or_b64 exec, exec, s[72:73]
.LBB6_8869:                             ;   in Loop: Header=BB6_8564 Depth=3
	s_or_b64 exec, exec, s[70:71]
	v_max_f32_e32 v14, v14, v14
	v_max_f32_e32 v7, v7, v7
	;; [unrolled: 1-line block ×3, first 2 shown]
	s_branch .LBB6_8888
.LBB6_8870:                             ;   in Loop: Header=BB6_8564 Depth=3
                                        ; implicit-def: $vgpr7
	s_cbranch_execz .LBB6_8888
; %bb.8871:                             ;   in Loop: Header=BB6_8564 Depth=3
	v_mov_b32_e32 v14, 0
	v_mov_b32_e32 v7, 0
	s_and_saveexec_b64 s[70:71], s[30:31]
	s_cbranch_execz .LBB6_8879
; %bb.8872:                             ;   in Loop: Header=BB6_8564 Depth=3
	v_cmp_ne_u16_sdwa vcc, v12, s97 src0_sel:BYTE_0 src1_sel:DWORD
	v_bfrev_b32_e32 v7, 1
	s_and_saveexec_b64 s[30:31], vcc
	s_cbranch_execz .LBB6_8878
; %bb.8873:                             ;   in Loop: Header=BB6_8564 Depth=3
	v_and_b32_e32 v7, 0x7c0000, v1
	v_bfe_u32 v15, v1, 16, 2
	v_cmp_ne_u32_e32 vcc, s36, v7
                                        ; implicit-def: $vgpr7
	s_and_saveexec_b64 s[72:73], vcc
	s_xor_b64 s[72:73], exec, s[72:73]
	s_cbranch_execz .LBB6_8875
; %bb.8874:                             ;   in Loop: Header=BB6_8564 Depth=3
	v_ffbh_u32_e32 v31, v15
	v_bfe_u32 v7, v1, 18, 5
	v_min_u32_e32 v31, 32, v31
	v_subrev_u32_e32 v32, 29, v31
	v_sub_u32_e32 v31, 30, v31
	v_cmp_eq_u32_e32 vcc, 0, v7
	v_lshlrev_b64 v[32:33], v32, v[12:13]
	v_cndmask_b32_e32 v7, v7, v31, vcc
	v_bfrev_b32_e32 v31, 28
	v_and_b32_e32 v32, 3, v32
	v_lshlrev_b32_e32 v12, 24, v12
	v_lshl_add_u32 v7, v7, 23, v31
	v_cndmask_b32_e32 v15, v15, v32, vcc
	v_and_or_b32 v7, v12, s96, v7
	v_lshl_or_b32 v7, v15, 21, v7
                                        ; implicit-def: $vgpr15
                                        ; implicit-def: $vgpr12
.LBB6_8875:                             ;   in Loop: Header=BB6_8564 Depth=3
	s_andn2_saveexec_b64 s[72:73], s[72:73]
; %bb.8876:                             ;   in Loop: Header=BB6_8564 Depth=3
	v_mov_b32_e32 v7, -1
	v_cmp_gt_i16_sdwa vcc, sext(v12), v7 src0_sel:BYTE_0 src1_sel:DWORD
	v_mov_b32_e32 v7, 0xc7600000
	v_mov_b32_e32 v12, 0x47600000
	v_cndmask_b32_e32 v7, v7, v12, vcc
	v_cmp_eq_u32_e32 vcc, 0, v15
	v_mov_b32_e32 v12, 0x7f800001
	v_cndmask_b32_e32 v7, v12, v7, vcc
; %bb.8877:                             ;   in Loop: Header=BB6_8564 Depth=3
	s_or_b64 exec, exec, s[72:73]
.LBB6_8878:                             ;   in Loop: Header=BB6_8564 Depth=3
	s_or_b64 exec, exec, s[30:31]
.LBB6_8879:                             ;   in Loop: Header=BB6_8564 Depth=3
	s_or_b64 exec, exec, s[70:71]
	v_cmp_ne_u16_sdwa vcc, v6, v51 src0_sel:BYTE_0 src1_sel:DWORD
	s_and_saveexec_b64 s[30:31], vcc
	s_cbranch_execz .LBB6_8887
; %bb.8880:                             ;   in Loop: Header=BB6_8564 Depth=3
	v_cmp_ne_u16_sdwa vcc, v6, s97 src0_sel:BYTE_0 src1_sel:DWORD
	v_bfrev_b32_e32 v14, 1
	s_and_saveexec_b64 s[70:71], vcc
	s_cbranch_execz .LBB6_8886
; %bb.8881:                             ;   in Loop: Header=BB6_8564 Depth=3
	v_and_b32_e32 v14, 0x7c0000, v9
	v_bfe_u32 v12, v9, 16, 2
	v_cmp_ne_u32_e32 vcc, s36, v14
                                        ; implicit-def: $vgpr14
	s_and_saveexec_b64 s[72:73], vcc
	s_xor_b64 s[72:73], exec, s[72:73]
	s_cbranch_execz .LBB6_8883
; %bb.8882:                             ;   in Loop: Header=BB6_8564 Depth=3
	v_ffbh_u32_e32 v14, v12
	v_min_u32_e32 v32, 32, v14
	v_subrev_u32_e32 v14, 29, v32
	v_bfe_u32 v31, v9, 18, 5
	v_lshlrev_b64 v[14:15], v14, v[6:7]
	v_sub_u32_e32 v15, 30, v32
	v_and_b32_e32 v14, 3, v14
	v_cmp_eq_u32_e32 vcc, 0, v31
	v_cndmask_b32_e32 v15, v31, v15, vcc
	v_cndmask_b32_e32 v12, v12, v14, vcc
	v_bfrev_b32_e32 v14, 28
	v_lshlrev_b32_e32 v6, 24, v6
	v_lshl_add_u32 v14, v15, 23, v14
	v_and_or_b32 v6, v6, s96, v14
	v_lshl_or_b32 v14, v12, 21, v6
                                        ; implicit-def: $vgpr12
                                        ; implicit-def: $vgpr6
.LBB6_8883:                             ;   in Loop: Header=BB6_8564 Depth=3
	s_andn2_saveexec_b64 s[72:73], s[72:73]
; %bb.8884:                             ;   in Loop: Header=BB6_8564 Depth=3
	v_mov_b32_e32 v14, -1
	v_cmp_gt_i16_sdwa vcc, sext(v6), v14 src0_sel:BYTE_0 src1_sel:DWORD
	v_mov_b32_e32 v6, 0xc7600000
	v_mov_b32_e32 v14, 0x47600000
	v_cndmask_b32_e32 v6, v6, v14, vcc
	v_cmp_eq_u32_e32 vcc, 0, v12
	v_mov_b32_e32 v12, 0x7f800001
	v_cndmask_b32_e32 v14, v12, v6, vcc
; %bb.8885:                             ;   in Loop: Header=BB6_8564 Depth=3
	s_or_b64 exec, exec, s[72:73]
.LBB6_8886:                             ;   in Loop: Header=BB6_8564 Depth=3
	s_or_b64 exec, exec, s[70:71]
.LBB6_8887:                             ;   in Loop: Header=BB6_8564 Depth=3
	s_or_b64 exec, exec, s[30:31]
	v_max_f32_e32 v6, v14, v14
	v_max_f32_e32 v7, v7, v7
	v_min_f32_e32 v7, v7, v6
.LBB6_8888:                             ;   in Loop: Header=BB6_8564 Depth=3
	v_and_b32_sdwa v12, v7, s97 dst_sel:DWORD dst_unused:UNUSED_PAD src0_sel:BYTE_3 src1_sel:DWORD
	v_and_b32_e32 v32, 0x7f800000, v7
	v_mov_b32_e32 v33, v51
	v_and_b32_e32 v50, 0x7fffff, v7
	v_or_b32_e32 v14, 0x7b, v12
	v_cmp_ne_u64_e32 vcc, s[52:53], v[32:33]
	s_and_saveexec_b64 s[30:31], vcc
	s_xor_b64 s[70:71], exec, s[30:31]
	s_cbranch_execz .LBB6_8898
; %bb.8889:                             ;   in Loop: Header=BB6_8564 Depth=3
	v_and_b32_e32 v32, 0x7fffffff, v7
	v_mov_b32_e32 v33, v51
	v_cmp_gt_u64_e32 vcc, s[54:55], v[32:33]
	s_and_saveexec_b64 s[72:73], vcc
	s_cbranch_execz .LBB6_8897
; %bb.8890:                             ;   in Loop: Header=BB6_8564 Depth=3
	v_cmp_ne_u32_e32 vcc, 0, v7
	v_mov_b32_e32 v14, 0
	s_and_saveexec_b64 s[74:75], vcc
	s_cbranch_execz .LBB6_8896
; %bb.8891:                             ;   in Loop: Header=BB6_8564 Depth=3
	v_bfe_u32 v6, v7, 23, 8
	v_cmp_eq_u32_e32 vcc, 0, v6
	v_add_u32_e32 v7, 0xffffff81, v6
	v_cmp_gt_u32_e64 s[30:31], s38, v6
	v_sub_u32_e32 v6, 0x71, v6
	v_mov_b32_e32 v15, 0xffffff82
	v_cndmask_b32_e64 v6, 0, v6, s[30:31]
	v_cndmask_b32_e32 v31, v7, v15, vcc
	v_mov_b32_e32 v7, 0x70
	v_cndmask_b32_e32 v32, v6, v7, vcc
	v_add_u32_e32 v6, 21, v32
	v_or_b32_e32 v14, 0x800000, v50
	v_lshlrev_b64 v[6:7], v6, -1
	v_cndmask_b32_e32 v50, v14, v50, vcc
	v_not_b32_e32 v7, v7
	v_not_b32_e32 v6, v6
	v_add_u32_e32 v14, 20, v32
	v_and_b32_e32 v7, 0, v7
	v_and_b32_e32 v6, v50, v6
	v_lshlrev_b64 v[14:15], v14, 1
	v_cmp_eq_u64_e32 vcc, v[6:7], v[14:15]
	v_lshrrev_b64 v[6:7], v32, v[50:51]
	v_lshrrev_b32_e32 v14, 23, v6
	v_add3_u32 v31, v32, v31, v14
	v_bfe_u32 v14, v6, 21, 1
	v_add_u32_e32 v14, -1, v14
	v_cndmask_b32_e32 v14, 0, v14, vcc
	v_add_u32_e32 v14, v14, v6
	v_and_b32_e32 v14, 0x1fffff, v14
	v_add_co_u32_e32 v6, vcc, v14, v6
	v_add_u32_e32 v15, 14, v31
	v_addc_co_u32_e32 v7, vcc, 0, v7, vcc
	v_cmp_ne_u32_e32 vcc, 0, v15
                                        ; implicit-def: $vgpr14
	s_and_saveexec_b64 s[30:31], vcc
	s_xor_b64 s[30:31], exec, s[30:31]
; %bb.8892:                             ;   in Loop: Header=BB6_8564 Depth=3
	v_add_u32_e32 v14, 15, v31
	v_cmp_lt_u64_e32 vcc, s[56:57], v[6:7]
	v_cndmask_b32_e32 v14, v15, v14, vcc
	v_cndmask_b32_e64 v15, 0, 1, vcc
	v_lshrrev_b64 v[6:7], v15, v[6:7]
; %bb.8893:                             ;   in Loop: Header=BB6_8564 Depth=3
	s_andn2_saveexec_b64 vcc, s[30:31]
; %bb.8894:                             ;   in Loop: Header=BB6_8564 Depth=3
	v_bfe_u32 v14, v6, 23, 1
; %bb.8895:                             ;   in Loop: Header=BB6_8564 Depth=3
	s_or_b64 exec, exec, vcc
	v_lshrrev_b64 v[6:7], 21, v[6:7]
	v_cmp_gt_i32_e32 vcc, 32, v14
	v_cndmask_b32_e32 v7, 0, v7, vcc
	v_cndmask_b32_e32 v6, 3, v6, vcc
	v_cmp_eq_u64_e64 s[30:31], 0, v[6:7]
	v_min_i32_e32 v7, 31, v14
	v_cmp_eq_u32_e32 vcc, 0, v14
	v_lshlrev_b32_e32 v7, 2, v7
	v_and_or_b32 v6, v6, 3, v7
	s_and_b64 vcc, vcc, s[30:31]
	v_cndmask_b32_e64 v6, v6, 0, vcc
	v_or_b32_e32 v14, v6, v12
.LBB6_8896:                             ;   in Loop: Header=BB6_8564 Depth=3
	s_or_b64 exec, exec, s[74:75]
.LBB6_8897:                             ;   in Loop: Header=BB6_8564 Depth=3
	s_or_b64 exec, exec, s[72:73]
                                        ; implicit-def: $vgpr7
.LBB6_8898:                             ;   in Loop: Header=BB6_8564 Depth=3
	s_andn2_saveexec_b64 s[30:31], s[70:71]
; %bb.8899:                             ;   in Loop: Header=BB6_8564 Depth=3
	v_or_b32_sdwa v6, v7, s39 dst_sel:DWORD dst_unused:UNUSED_PAD src0_sel:BYTE_3 src1_sel:DWORD
	v_cmp_eq_u64_e32 vcc, 0, v[50:51]
	v_cndmask_b32_e32 v14, v6, v14, vcc
; %bb.8900:                             ;   in Loop: Header=BB6_8564 Depth=3
	s_or_b64 exec, exec, s[30:31]
	v_lshrrev_b32_e32 v12, 24, v1
	v_lshrrev_b32_e32 v6, 24, v9
	v_cmp_lt_u64_e64 s[30:31], s[42:43], v[0:1]
	s_and_b64 vcc, exec, s[68:69]
	s_cbranch_vccz .LBB6_8918
; %bb.8901:                             ;   in Loop: Header=BB6_8564 Depth=3
	v_mov_b32_e32 v15, 0
	v_mov_b32_e32 v7, 0
	s_and_saveexec_b64 s[70:71], s[30:31]
	s_cbranch_execz .LBB6_8909
; %bb.8902:                             ;   in Loop: Header=BB6_8564 Depth=3
	v_cmp_ne_u32_e32 vcc, s97, v12
	v_bfrev_b32_e32 v7, 1
	s_and_saveexec_b64 s[72:73], vcc
	s_cbranch_execz .LBB6_8908
; %bb.8903:                             ;   in Loop: Header=BB6_8564 Depth=3
	v_and_b32_e32 v7, 0x7c000000, v1
	v_bfe_u32 v31, v1, 24, 2
	v_cmp_ne_u32_e32 vcc, s37, v7
                                        ; implicit-def: $vgpr7
	s_and_saveexec_b64 s[74:75], vcc
	s_xor_b64 s[74:75], exec, s[74:75]
	s_cbranch_execz .LBB6_8905
; %bb.8904:                             ;   in Loop: Header=BB6_8564 Depth=3
	v_ffbh_u32_e32 v32, v31
	v_min_u32_e32 v34, 32, v32
	v_subrev_u32_e32 v32, 29, v34
	v_bfe_u32 v7, v1, 26, 5
	v_lshlrev_b64 v[32:33], v32, v[12:13]
	v_sub_u32_e32 v33, 30, v34
	v_and_b32_e32 v32, 3, v32
	v_cmp_eq_u32_e32 vcc, 0, v7
	v_cndmask_b32_e32 v7, v7, v33, vcc
	v_cndmask_b32_e32 v31, v31, v32, vcc
	v_bfrev_b32_e32 v32, 28
	v_lshl_add_u32 v7, v7, 23, v32
	v_and_or_b32 v7, v1, s96, v7
	v_lshl_or_b32 v7, v31, 21, v7
                                        ; implicit-def: $vgpr31
.LBB6_8905:                             ;   in Loop: Header=BB6_8564 Depth=3
	s_andn2_saveexec_b64 s[74:75], s[74:75]
; %bb.8906:                             ;   in Loop: Header=BB6_8564 Depth=3
	v_cmp_lt_i64_e32 vcc, -1, v[0:1]
	v_mov_b32_e32 v7, 0xc7600000
	v_mov_b32_e32 v32, 0x47600000
	v_cndmask_b32_e32 v7, v7, v32, vcc
	v_cmp_eq_u32_e32 vcc, 0, v31
	v_mov_b32_e32 v31, 0x7f800001
	v_cndmask_b32_e32 v7, v31, v7, vcc
; %bb.8907:                             ;   in Loop: Header=BB6_8564 Depth=3
	s_or_b64 exec, exec, s[74:75]
.LBB6_8908:                             ;   in Loop: Header=BB6_8564 Depth=3
	s_or_b64 exec, exec, s[72:73]
.LBB6_8909:                             ;   in Loop: Header=BB6_8564 Depth=3
	s_or_b64 exec, exec, s[70:71]
	v_cmp_lt_u64_e32 vcc, s[42:43], v[8:9]
	s_and_saveexec_b64 s[70:71], vcc
	s_cbranch_execz .LBB6_8917
; %bb.8910:                             ;   in Loop: Header=BB6_8564 Depth=3
	v_cmp_ne_u32_e32 vcc, s97, v6
	v_bfrev_b32_e32 v15, 1
	s_and_saveexec_b64 s[72:73], vcc
	s_cbranch_execz .LBB6_8916
; %bb.8911:                             ;   in Loop: Header=BB6_8564 Depth=3
	v_and_b32_e32 v15, 0x7c000000, v9
	v_bfe_u32 v31, v9, 24, 2
	v_cmp_ne_u32_e32 vcc, s37, v15
                                        ; implicit-def: $vgpr15
	s_and_saveexec_b64 s[74:75], vcc
	s_xor_b64 s[74:75], exec, s[74:75]
	s_cbranch_execz .LBB6_8913
; %bb.8912:                             ;   in Loop: Header=BB6_8564 Depth=3
	v_ffbh_u32_e32 v32, v31
	v_min_u32_e32 v34, 32, v32
	v_subrev_u32_e32 v32, 29, v34
	v_bfe_u32 v15, v9, 26, 5
	v_lshlrev_b64 v[32:33], v32, v[6:7]
	v_sub_u32_e32 v33, 30, v34
	v_and_b32_e32 v32, 3, v32
	v_cmp_eq_u32_e32 vcc, 0, v15
	v_cndmask_b32_e32 v15, v15, v33, vcc
	v_cndmask_b32_e32 v31, v31, v32, vcc
	v_bfrev_b32_e32 v32, 28
	v_lshl_add_u32 v15, v15, 23, v32
	v_and_or_b32 v15, v9, s96, v15
	v_lshl_or_b32 v15, v31, 21, v15
                                        ; implicit-def: $vgpr31
.LBB6_8913:                             ;   in Loop: Header=BB6_8564 Depth=3
	s_andn2_saveexec_b64 s[74:75], s[74:75]
; %bb.8914:                             ;   in Loop: Header=BB6_8564 Depth=3
	v_cmp_lt_i64_e32 vcc, -1, v[8:9]
	v_mov_b32_e32 v15, 0xc7600000
	v_mov_b32_e32 v32, 0x47600000
	v_cndmask_b32_e32 v15, v15, v32, vcc
	v_cmp_eq_u32_e32 vcc, 0, v31
	v_mov_b32_e32 v31, 0x7f800001
	v_cndmask_b32_e32 v15, v31, v15, vcc
; %bb.8915:                             ;   in Loop: Header=BB6_8564 Depth=3
	s_or_b64 exec, exec, s[74:75]
.LBB6_8916:                             ;   in Loop: Header=BB6_8564 Depth=3
	s_or_b64 exec, exec, s[72:73]
.LBB6_8917:                             ;   in Loop: Header=BB6_8564 Depth=3
	s_or_b64 exec, exec, s[70:71]
	v_max_f32_e32 v15, v15, v15
	v_max_f32_e32 v7, v7, v7
	v_max_f32_e32 v7, v7, v15
	s_branch .LBB6_8936
.LBB6_8918:                             ;   in Loop: Header=BB6_8564 Depth=3
                                        ; implicit-def: $vgpr7
	s_cbranch_execz .LBB6_8936
; %bb.8919:                             ;   in Loop: Header=BB6_8564 Depth=3
	v_mov_b32_e32 v15, 0
	v_mov_b32_e32 v7, 0
	s_and_saveexec_b64 s[70:71], s[30:31]
	s_cbranch_execz .LBB6_8927
; %bb.8920:                             ;   in Loop: Header=BB6_8564 Depth=3
	v_cmp_ne_u32_e32 vcc, s97, v12
	v_bfrev_b32_e32 v7, 1
	s_and_saveexec_b64 s[30:31], vcc
	s_cbranch_execz .LBB6_8926
; %bb.8921:                             ;   in Loop: Header=BB6_8564 Depth=3
	v_and_b32_e32 v7, 0x7c000000, v1
	v_bfe_u32 v31, v1, 24, 2
	v_cmp_ne_u32_e32 vcc, s37, v7
                                        ; implicit-def: $vgpr7
	s_and_saveexec_b64 s[72:73], vcc
	s_xor_b64 s[72:73], exec, s[72:73]
	s_cbranch_execz .LBB6_8923
; %bb.8922:                             ;   in Loop: Header=BB6_8564 Depth=3
	v_ffbh_u32_e32 v7, v31
	v_min_u32_e32 v7, 32, v7
	v_subrev_u32_e32 v32, 29, v7
	v_bfe_u32 v0, v1, 26, 5
	v_lshlrev_b64 v[32:33], v32, v[12:13]
	v_sub_u32_e32 v7, 30, v7
	v_and_b32_e32 v12, 3, v32
	v_cmp_eq_u32_e32 vcc, 0, v0
	v_cndmask_b32_e32 v0, v0, v7, vcc
	v_cndmask_b32_e32 v7, v31, v12, vcc
	v_bfrev_b32_e32 v12, 28
	v_lshl_add_u32 v0, v0, 23, v12
	v_and_or_b32 v0, v1, s96, v0
	v_lshl_or_b32 v7, v7, 21, v0
                                        ; implicit-def: $vgpr31
.LBB6_8923:                             ;   in Loop: Header=BB6_8564 Depth=3
	s_andn2_saveexec_b64 s[72:73], s[72:73]
; %bb.8924:                             ;   in Loop: Header=BB6_8564 Depth=3
	v_cmp_lt_i64_e32 vcc, -1, v[0:1]
	v_mov_b32_e32 v0, 0xc7600000
	v_mov_b32_e32 v1, 0x47600000
	v_cndmask_b32_e32 v0, v0, v1, vcc
	v_cmp_eq_u32_e32 vcc, 0, v31
	v_mov_b32_e32 v1, 0x7f800001
	v_cndmask_b32_e32 v7, v1, v0, vcc
; %bb.8925:                             ;   in Loop: Header=BB6_8564 Depth=3
	s_or_b64 exec, exec, s[72:73]
.LBB6_8926:                             ;   in Loop: Header=BB6_8564 Depth=3
	s_or_b64 exec, exec, s[30:31]
.LBB6_8927:                             ;   in Loop: Header=BB6_8564 Depth=3
	s_or_b64 exec, exec, s[70:71]
	v_cmp_lt_u64_e32 vcc, s[42:43], v[8:9]
	s_and_saveexec_b64 s[30:31], vcc
	s_cbranch_execz .LBB6_8935
; %bb.8928:                             ;   in Loop: Header=BB6_8564 Depth=3
	v_cmp_ne_u32_e32 vcc, s97, v6
	v_bfrev_b32_e32 v15, 1
	s_and_saveexec_b64 s[70:71], vcc
	s_cbranch_execz .LBB6_8934
; %bb.8929:                             ;   in Loop: Header=BB6_8564 Depth=3
	v_and_b32_e32 v1, 0x7c000000, v9
	v_bfe_u32 v0, v9, 24, 2
	v_cmp_ne_u32_e32 vcc, s37, v1
                                        ; implicit-def: $vgpr15
	s_and_saveexec_b64 s[72:73], vcc
	s_xor_b64 s[72:73], exec, s[72:73]
	s_cbranch_execz .LBB6_8931
; %bb.8930:                             ;   in Loop: Header=BB6_8564 Depth=3
	v_ffbh_u32_e32 v8, v0
	v_min_u32_e32 v8, 32, v8
	v_bfe_u32 v1, v9, 26, 5
	v_subrev_u32_e32 v12, 29, v8
	v_lshlrev_b64 v[32:33], v12, v[6:7]
	v_sub_u32_e32 v6, 30, v8
	v_cmp_eq_u32_e32 vcc, 0, v1
	v_cndmask_b32_e32 v1, v1, v6, vcc
	v_bfrev_b32_e32 v6, 28
	v_and_b32_e32 v8, 3, v32
	v_lshl_add_u32 v1, v1, 23, v6
	v_cndmask_b32_e32 v0, v0, v8, vcc
	v_and_or_b32 v1, v9, s96, v1
	v_lshl_or_b32 v15, v0, 21, v1
                                        ; implicit-def: $vgpr0
.LBB6_8931:                             ;   in Loop: Header=BB6_8564 Depth=3
	s_andn2_saveexec_b64 s[72:73], s[72:73]
; %bb.8932:                             ;   in Loop: Header=BB6_8564 Depth=3
	v_cmp_lt_i64_e32 vcc, -1, v[8:9]
	v_mov_b32_e32 v1, 0xc7600000
	v_mov_b32_e32 v6, 0x47600000
	v_cndmask_b32_e32 v1, v1, v6, vcc
	v_cmp_eq_u32_e32 vcc, 0, v0
	v_mov_b32_e32 v0, 0x7f800001
	v_cndmask_b32_e32 v15, v0, v1, vcc
; %bb.8933:                             ;   in Loop: Header=BB6_8564 Depth=3
	s_or_b64 exec, exec, s[72:73]
.LBB6_8934:                             ;   in Loop: Header=BB6_8564 Depth=3
	s_or_b64 exec, exec, s[70:71]
.LBB6_8935:                             ;   in Loop: Header=BB6_8564 Depth=3
	s_or_b64 exec, exec, s[30:31]
	v_max_f32_e32 v0, v15, v15
	v_max_f32_e32 v1, v7, v7
	v_min_f32_e32 v7, v1, v0
.LBB6_8936:                             ;   in Loop: Header=BB6_8564 Depth=3
	v_and_b32_sdwa v6, v7, s97 dst_sel:DWORD dst_unused:UNUSED_PAD src0_sel:BYTE_3 src1_sel:DWORD
	v_and_b32_e32 v0, 0x7f800000, v7
	v_mov_b32_e32 v1, v51
	v_and_b32_e32 v50, 0x7fffff, v7
	v_or_b32_e32 v12, 0x7b, v6
	v_cmp_ne_u64_e32 vcc, s[52:53], v[0:1]
	s_and_saveexec_b64 s[30:31], vcc
	s_xor_b64 s[70:71], exec, s[30:31]
	s_cbranch_execz .LBB6_8964
; %bb.8937:                             ;   in Loop: Header=BB6_8564 Depth=3
	v_and_b32_e32 v0, 0x7fffffff, v7
	v_mov_b32_e32 v1, v51
	v_cmp_gt_u64_e32 vcc, s[54:55], v[0:1]
	s_and_saveexec_b64 s[72:73], vcc
	s_cbranch_execz .LBB6_8945
; %bb.8938:                             ;   in Loop: Header=BB6_8564 Depth=3
	v_cmp_ne_u32_e32 vcc, 0, v7
	v_mov_b32_e32 v12, 0
	s_and_saveexec_b64 s[74:75], vcc
	s_cbranch_execz .LBB6_8944
; %bb.8939:                             ;   in Loop: Header=BB6_8564 Depth=3
	v_bfe_u32 v0, v7, 23, 8
	v_cmp_eq_u32_e32 vcc, 0, v0
	v_add_u32_e32 v1, 0xffffff81, v0
	v_cmp_gt_u32_e64 s[30:31], s38, v0
	v_sub_u32_e32 v0, 0x71, v0
	v_mov_b32_e32 v8, 0xffffff82
	v_cndmask_b32_e64 v0, 0, v0, s[30:31]
	v_cndmask_b32_e32 v12, v1, v8, vcc
	v_mov_b32_e32 v1, 0x70
	v_cndmask_b32_e32 v15, v0, v1, vcc
	v_add_u32_e32 v0, 21, v15
	v_or_b32_e32 v7, 0x800000, v50
	v_lshlrev_b64 v[0:1], v0, -1
	v_cndmask_b32_e32 v50, v7, v50, vcc
	v_not_b32_e32 v1, v1
	v_not_b32_e32 v0, v0
	v_add_u32_e32 v7, 20, v15
	v_and_b32_e32 v1, 0, v1
	v_and_b32_e32 v0, v50, v0
	v_lshlrev_b64 v[8:9], v7, 1
	v_cmp_eq_u64_e32 vcc, v[0:1], v[8:9]
	v_lshrrev_b64 v[0:1], v15, v[50:51]
	v_lshrrev_b32_e32 v7, 23, v0
	v_add3_u32 v9, v15, v12, v7
	v_bfe_u32 v7, v0, 21, 1
	v_add_u32_e32 v7, -1, v7
	v_cndmask_b32_e32 v7, 0, v7, vcc
	v_add_u32_e32 v7, v7, v0
	v_and_b32_e32 v7, 0x1fffff, v7
	v_add_co_u32_e32 v0, vcc, v7, v0
	v_add_u32_e32 v8, 14, v9
	v_addc_co_u32_e32 v1, vcc, 0, v1, vcc
	v_cmp_ne_u32_e32 vcc, 0, v8
                                        ; implicit-def: $vgpr7
	s_and_saveexec_b64 s[30:31], vcc
	s_xor_b64 s[30:31], exec, s[30:31]
; %bb.8940:                             ;   in Loop: Header=BB6_8564 Depth=3
	v_add_u32_e32 v7, 15, v9
	v_cmp_lt_u64_e32 vcc, s[56:57], v[0:1]
	v_cndmask_b32_e32 v7, v8, v7, vcc
	v_cndmask_b32_e64 v8, 0, 1, vcc
	v_lshrrev_b64 v[0:1], v8, v[0:1]
; %bb.8941:                             ;   in Loop: Header=BB6_8564 Depth=3
	s_andn2_saveexec_b64 vcc, s[30:31]
; %bb.8942:                             ;   in Loop: Header=BB6_8564 Depth=3
	v_bfe_u32 v7, v0, 23, 1
; %bb.8943:                             ;   in Loop: Header=BB6_8564 Depth=3
	s_or_b64 exec, exec, vcc
	v_lshrrev_b64 v[0:1], 21, v[0:1]
	v_cmp_gt_i32_e32 vcc, 32, v7
	v_cndmask_b32_e32 v1, 0, v1, vcc
	v_cndmask_b32_e32 v0, 3, v0, vcc
	v_cmp_eq_u64_e64 s[30:31], 0, v[0:1]
	v_min_i32_e32 v1, 31, v7
	v_lshlrev_b32_e32 v1, 2, v1
	v_cmp_eq_u32_e32 vcc, 0, v7
	v_and_b32_e32 v1, 0xfc, v1
	v_and_or_b32 v0, v0, 3, v1
	s_and_b64 vcc, vcc, s[30:31]
	v_cndmask_b32_e64 v0, v0, 0, vcc
	v_or_b32_e32 v12, v0, v6
.LBB6_8944:                             ;   in Loop: Header=BB6_8564 Depth=3
	s_or_b64 exec, exec, s[74:75]
.LBB6_8945:                             ;   in Loop: Header=BB6_8564 Depth=3
	s_or_b64 exec, exec, s[72:73]
                                        ; implicit-def: $vgpr7
	s_andn2_saveexec_b64 s[30:31], s[70:71]
	s_cbranch_execnz .LBB6_8965
.LBB6_8946:                             ;   in Loop: Header=BB6_8564 Depth=3
	s_or_b64 exec, exec, s[30:31]
	v_cmp_ne_u16_sdwa s[30:31], v2, v51 src0_sel:BYTE_0 src1_sel:DWORD
	s_and_b64 vcc, exec, s[68:69]
	s_cbranch_vccz .LBB6_8966
.LBB6_8947:                             ;   in Loop: Header=BB6_8564 Depth=3
	v_mov_b32_e32 v1, 0
	v_mov_b32_e32 v0, 0
	s_and_saveexec_b64 s[70:71], s[30:31]
	s_cbranch_execz .LBB6_8955
; %bb.8948:                             ;   in Loop: Header=BB6_8564 Depth=3
	v_cmp_ne_u16_sdwa vcc, sext(v2), s94 src0_sel:BYTE_0 src1_sel:DWORD
	v_bfrev_b32_e32 v0, 1
	s_and_saveexec_b64 s[72:73], vcc
	s_cbranch_execz .LBB6_8954
; %bb.8949:                             ;   in Loop: Header=BB6_8564 Depth=3
	v_and_b32_e32 v0, 0x7c, v2
	v_and_b32_e32 v6, 3, v2
	v_cmp_ne_u32_e32 vcc, s95, v0
                                        ; implicit-def: $vgpr0
	s_and_saveexec_b64 s[74:75], vcc
	s_xor_b64 s[74:75], exec, s[74:75]
	s_cbranch_execz .LBB6_8951
; %bb.8950:                             ;   in Loop: Header=BB6_8564 Depth=3
	v_ffbh_u32_e32 v7, v6
	v_min_u32_e32 v7, 32, v7
	v_subrev_u32_e32 v8, 29, v7
	v_bfe_u32 v0, v2, 2, 5
	v_lshlrev_b64 v[8:9], v8, v[2:3]
	v_sub_u32_e32 v7, 30, v7
	v_and_b32_e32 v8, 3, v8
	v_cmp_eq_u32_e32 vcc, 0, v0
	v_cndmask_b32_e32 v0, v0, v7, vcc
	v_cndmask_b32_e32 v6, v6, v8, vcc
	v_bfrev_b32_e32 v8, 28
	v_lshlrev_b32_e32 v7, 24, v2
	v_lshl_add_u32 v0, v0, 23, v8
	v_and_or_b32 v0, v7, s96, v0
	v_lshl_or_b32 v0, v6, 21, v0
                                        ; implicit-def: $vgpr6
.LBB6_8951:                             ;   in Loop: Header=BB6_8564 Depth=3
	s_andn2_saveexec_b64 s[74:75], s[74:75]
; %bb.8952:                             ;   in Loop: Header=BB6_8564 Depth=3
	v_mov_b32_e32 v0, -1
	v_cmp_gt_i16_sdwa vcc, sext(v2), v0 src0_sel:BYTE_0 src1_sel:DWORD
	v_mov_b32_e32 v0, 0xc7600000
	v_mov_b32_e32 v7, 0x47600000
	v_cndmask_b32_e32 v0, v0, v7, vcc
	v_cmp_eq_u32_e32 vcc, 0, v6
	v_mov_b32_e32 v6, 0x7f800001
	v_cndmask_b32_e32 v0, v6, v0, vcc
; %bb.8953:                             ;   in Loop: Header=BB6_8564 Depth=3
	s_or_b64 exec, exec, s[74:75]
.LBB6_8954:                             ;   in Loop: Header=BB6_8564 Depth=3
	s_or_b64 exec, exec, s[72:73]
.LBB6_8955:                             ;   in Loop: Header=BB6_8564 Depth=3
	s_or_b64 exec, exec, s[70:71]
	v_cmp_ne_u16_sdwa vcc, sext(v10), v51 src0_sel:BYTE_0 src1_sel:DWORD
	s_and_saveexec_b64 s[70:71], vcc
	s_cbranch_execz .LBB6_8963
; %bb.8956:                             ;   in Loop: Header=BB6_8564 Depth=3
	v_cmp_ne_u16_sdwa vcc, sext(v10), s94 src0_sel:BYTE_0 src1_sel:DWORD
	v_bfrev_b32_e32 v1, 1
	s_and_saveexec_b64 s[72:73], vcc
	s_cbranch_execz .LBB6_8962
; %bb.8957:                             ;   in Loop: Header=BB6_8564 Depth=3
	v_and_b32_e32 v1, 0x7c, v10
	v_and_b32_e32 v6, 3, v10
	v_cmp_ne_u32_e32 vcc, s95, v1
                                        ; implicit-def: $vgpr1
	s_and_saveexec_b64 s[74:75], vcc
	s_xor_b64 s[74:75], exec, s[74:75]
	s_cbranch_execz .LBB6_8959
; %bb.8958:                             ;   in Loop: Header=BB6_8564 Depth=3
	v_ffbh_u32_e32 v7, v6
	v_min_u32_e32 v7, 32, v7
	v_subrev_u32_e32 v8, 29, v7
	v_bfe_u32 v1, v10, 2, 5
	v_lshlrev_b64 v[8:9], v8, v[10:11]
	v_sub_u32_e32 v7, 30, v7
	v_and_b32_e32 v8, 3, v8
	v_cmp_eq_u32_e32 vcc, 0, v1
	v_cndmask_b32_e32 v1, v1, v7, vcc
	v_cndmask_b32_e32 v6, v6, v8, vcc
	v_bfrev_b32_e32 v8, 28
	v_lshlrev_b32_e32 v7, 24, v10
	v_lshl_add_u32 v1, v1, 23, v8
	v_and_or_b32 v1, v7, s96, v1
	v_lshl_or_b32 v1, v6, 21, v1
                                        ; implicit-def: $vgpr6
.LBB6_8959:                             ;   in Loop: Header=BB6_8564 Depth=3
	s_andn2_saveexec_b64 s[74:75], s[74:75]
; %bb.8960:                             ;   in Loop: Header=BB6_8564 Depth=3
	v_mov_b32_e32 v1, -1
	v_cmp_gt_i16_sdwa vcc, sext(v10), v1 src0_sel:BYTE_0 src1_sel:DWORD
	v_mov_b32_e32 v1, 0xc7600000
	v_mov_b32_e32 v7, 0x47600000
	v_cndmask_b32_e32 v1, v1, v7, vcc
	v_cmp_eq_u32_e32 vcc, 0, v6
	v_mov_b32_e32 v6, 0x7f800001
	v_cndmask_b32_e32 v1, v6, v1, vcc
; %bb.8961:                             ;   in Loop: Header=BB6_8564 Depth=3
	s_or_b64 exec, exec, s[74:75]
.LBB6_8962:                             ;   in Loop: Header=BB6_8564 Depth=3
	s_or_b64 exec, exec, s[72:73]
.LBB6_8963:                             ;   in Loop: Header=BB6_8564 Depth=3
	s_or_b64 exec, exec, s[70:71]
	v_max_f32_e32 v1, v1, v1
	v_max_f32_e32 v0, v0, v0
	;; [unrolled: 1-line block ×3, first 2 shown]
	s_branch .LBB6_8984
.LBB6_8964:                             ;   in Loop: Header=BB6_8564 Depth=3
	s_andn2_saveexec_b64 s[30:31], s[70:71]
	s_cbranch_execz .LBB6_8946
.LBB6_8965:                             ;   in Loop: Header=BB6_8564 Depth=3
	v_or_b32_sdwa v0, v7, s39 dst_sel:DWORD dst_unused:UNUSED_PAD src0_sel:BYTE_3 src1_sel:DWORD
	v_cmp_eq_u64_e32 vcc, 0, v[50:51]
	v_cndmask_b32_e32 v12, v0, v12, vcc
	s_or_b64 exec, exec, s[30:31]
	v_cmp_ne_u16_sdwa s[30:31], v2, v51 src0_sel:BYTE_0 src1_sel:DWORD
	s_and_b64 vcc, exec, s[68:69]
	s_cbranch_vccnz .LBB6_8947
.LBB6_8966:                             ;   in Loop: Header=BB6_8564 Depth=3
                                        ; implicit-def: $vgpr0
	s_cbranch_execz .LBB6_8984
; %bb.8967:                             ;   in Loop: Header=BB6_8564 Depth=3
	v_mov_b32_e32 v1, 0
	v_mov_b32_e32 v0, 0
	s_and_saveexec_b64 s[70:71], s[30:31]
	s_cbranch_execz .LBB6_8975
; %bb.8968:                             ;   in Loop: Header=BB6_8564 Depth=3
	v_cmp_ne_u16_sdwa vcc, sext(v2), s94 src0_sel:BYTE_0 src1_sel:DWORD
	v_bfrev_b32_e32 v0, 1
	s_and_saveexec_b64 s[30:31], vcc
	s_cbranch_execz .LBB6_8974
; %bb.8969:                             ;   in Loop: Header=BB6_8564 Depth=3
	v_and_b32_e32 v0, 0x7c, v2
	v_and_b32_e32 v6, 3, v2
	v_cmp_ne_u32_e32 vcc, s95, v0
                                        ; implicit-def: $vgpr0
	s_and_saveexec_b64 s[72:73], vcc
	s_xor_b64 s[72:73], exec, s[72:73]
	s_cbranch_execz .LBB6_8971
; %bb.8970:                             ;   in Loop: Header=BB6_8564 Depth=3
	v_ffbh_u32_e32 v7, v6
	v_min_u32_e32 v7, 32, v7
	v_subrev_u32_e32 v8, 29, v7
	v_bfe_u32 v0, v2, 2, 5
	v_lshlrev_b64 v[8:9], v8, v[2:3]
	v_sub_u32_e32 v7, 30, v7
	v_and_b32_e32 v8, 3, v8
	v_cmp_eq_u32_e32 vcc, 0, v0
	v_cndmask_b32_e32 v0, v0, v7, vcc
	v_cndmask_b32_e32 v6, v6, v8, vcc
	v_bfrev_b32_e32 v8, 28
	v_lshlrev_b32_e32 v7, 24, v2
	v_lshl_add_u32 v0, v0, 23, v8
	v_and_or_b32 v0, v7, s96, v0
	v_lshl_or_b32 v0, v6, 21, v0
                                        ; implicit-def: $vgpr6
.LBB6_8971:                             ;   in Loop: Header=BB6_8564 Depth=3
	s_andn2_saveexec_b64 s[72:73], s[72:73]
; %bb.8972:                             ;   in Loop: Header=BB6_8564 Depth=3
	v_mov_b32_e32 v0, -1
	v_cmp_gt_i16_sdwa vcc, sext(v2), v0 src0_sel:BYTE_0 src1_sel:DWORD
	v_mov_b32_e32 v0, 0xc7600000
	v_mov_b32_e32 v7, 0x47600000
	v_cndmask_b32_e32 v0, v0, v7, vcc
	v_cmp_eq_u32_e32 vcc, 0, v6
	v_mov_b32_e32 v6, 0x7f800001
	v_cndmask_b32_e32 v0, v6, v0, vcc
; %bb.8973:                             ;   in Loop: Header=BB6_8564 Depth=3
	s_or_b64 exec, exec, s[72:73]
.LBB6_8974:                             ;   in Loop: Header=BB6_8564 Depth=3
	s_or_b64 exec, exec, s[30:31]
.LBB6_8975:                             ;   in Loop: Header=BB6_8564 Depth=3
	s_or_b64 exec, exec, s[70:71]
	v_cmp_ne_u16_sdwa vcc, sext(v10), v51 src0_sel:BYTE_0 src1_sel:DWORD
	s_and_saveexec_b64 s[30:31], vcc
	s_cbranch_execz .LBB6_8983
; %bb.8976:                             ;   in Loop: Header=BB6_8564 Depth=3
	v_cmp_ne_u16_sdwa vcc, sext(v10), s94 src0_sel:BYTE_0 src1_sel:DWORD
	v_bfrev_b32_e32 v1, 1
	s_and_saveexec_b64 s[70:71], vcc
	s_cbranch_execz .LBB6_8982
; %bb.8977:                             ;   in Loop: Header=BB6_8564 Depth=3
	v_and_b32_e32 v1, 0x7c, v10
	v_and_b32_e32 v6, 3, v10
	v_cmp_ne_u32_e32 vcc, s95, v1
                                        ; implicit-def: $vgpr1
	s_and_saveexec_b64 s[72:73], vcc
	s_xor_b64 s[72:73], exec, s[72:73]
	s_cbranch_execz .LBB6_8979
; %bb.8978:                             ;   in Loop: Header=BB6_8564 Depth=3
	v_ffbh_u32_e32 v7, v6
	v_min_u32_e32 v7, 32, v7
	v_subrev_u32_e32 v8, 29, v7
	v_bfe_u32 v1, v10, 2, 5
	v_lshlrev_b64 v[8:9], v8, v[10:11]
	v_sub_u32_e32 v7, 30, v7
	v_and_b32_e32 v8, 3, v8
	v_cmp_eq_u32_e32 vcc, 0, v1
	v_cndmask_b32_e32 v1, v1, v7, vcc
	v_cndmask_b32_e32 v6, v6, v8, vcc
	v_bfrev_b32_e32 v8, 28
	v_lshlrev_b32_e32 v7, 24, v10
	v_lshl_add_u32 v1, v1, 23, v8
	v_and_or_b32 v1, v7, s96, v1
	v_lshl_or_b32 v1, v6, 21, v1
                                        ; implicit-def: $vgpr6
.LBB6_8979:                             ;   in Loop: Header=BB6_8564 Depth=3
	s_andn2_saveexec_b64 s[72:73], s[72:73]
; %bb.8980:                             ;   in Loop: Header=BB6_8564 Depth=3
	v_mov_b32_e32 v1, -1
	v_cmp_gt_i16_sdwa vcc, sext(v10), v1 src0_sel:BYTE_0 src1_sel:DWORD
	v_mov_b32_e32 v1, 0xc7600000
	v_mov_b32_e32 v7, 0x47600000
	v_cndmask_b32_e32 v1, v1, v7, vcc
	v_cmp_eq_u32_e32 vcc, 0, v6
	v_mov_b32_e32 v6, 0x7f800001
	v_cndmask_b32_e32 v1, v6, v1, vcc
; %bb.8981:                             ;   in Loop: Header=BB6_8564 Depth=3
	s_or_b64 exec, exec, s[72:73]
.LBB6_8982:                             ;   in Loop: Header=BB6_8564 Depth=3
	s_or_b64 exec, exec, s[70:71]
.LBB6_8983:                             ;   in Loop: Header=BB6_8564 Depth=3
	s_or_b64 exec, exec, s[30:31]
	v_max_f32_e32 v1, v1, v1
	v_max_f32_e32 v0, v0, v0
	v_min_f32_e32 v0, v0, v1
.LBB6_8984:                             ;   in Loop: Header=BB6_8564 Depth=3
	v_and_b32_sdwa v6, v0, s97 dst_sel:DWORD dst_unused:UNUSED_PAD src0_sel:BYTE_3 src1_sel:DWORD
	v_and_b32_e32 v8, 0x7f800000, v0
	v_mov_b32_e32 v9, v51
	v_and_b32_e32 v50, 0x7fffff, v0
	v_or_b32_e32 v15, 0x7b, v6
	v_cmp_ne_u64_e32 vcc, s[52:53], v[8:9]
	s_and_saveexec_b64 s[30:31], vcc
	s_xor_b64 s[70:71], exec, s[30:31]
	s_cbranch_execz .LBB6_8994
; %bb.8985:                             ;   in Loop: Header=BB6_8564 Depth=3
	v_and_b32_e32 v8, 0x7fffffff, v0
	v_mov_b32_e32 v9, v51
	v_cmp_gt_u64_e32 vcc, s[54:55], v[8:9]
	s_and_saveexec_b64 s[72:73], vcc
	s_cbranch_execz .LBB6_8993
; %bb.8986:                             ;   in Loop: Header=BB6_8564 Depth=3
	v_cmp_ne_u32_e32 vcc, 0, v0
	v_mov_b32_e32 v15, 0
	s_and_saveexec_b64 s[74:75], vcc
	s_cbranch_execz .LBB6_8992
; %bb.8987:                             ;   in Loop: Header=BB6_8564 Depth=3
	v_bfe_u32 v0, v0, 23, 8
	v_cmp_eq_u32_e32 vcc, 0, v0
	v_add_u32_e32 v1, 0xffffff81, v0
	v_cmp_gt_u32_e64 s[30:31], s38, v0
	v_sub_u32_e32 v0, 0x71, v0
	v_mov_b32_e32 v8, 0xffffff82
	v_cndmask_b32_e64 v0, 0, v0, s[30:31]
	v_cndmask_b32_e32 v15, v1, v8, vcc
	v_mov_b32_e32 v1, 0x70
	v_cndmask_b32_e32 v31, v0, v1, vcc
	v_add_u32_e32 v0, 21, v31
	v_or_b32_e32 v7, 0x800000, v50
	v_lshlrev_b64 v[0:1], v0, -1
	v_cndmask_b32_e32 v50, v7, v50, vcc
	v_not_b32_e32 v1, v1
	v_not_b32_e32 v0, v0
	v_add_u32_e32 v7, 20, v31
	v_and_b32_e32 v1, 0, v1
	v_and_b32_e32 v0, v50, v0
	v_lshlrev_b64 v[8:9], v7, 1
	v_cmp_eq_u64_e32 vcc, v[0:1], v[8:9]
	v_lshrrev_b64 v[0:1], v31, v[50:51]
	v_lshrrev_b32_e32 v7, 23, v0
	v_add3_u32 v9, v31, v15, v7
	v_bfe_u32 v7, v0, 21, 1
	v_add_u32_e32 v7, -1, v7
	v_cndmask_b32_e32 v7, 0, v7, vcc
	v_add_u32_e32 v7, v7, v0
	v_and_b32_e32 v7, 0x1fffff, v7
	v_add_co_u32_e32 v0, vcc, v7, v0
	v_add_u32_e32 v8, 14, v9
	v_addc_co_u32_e32 v1, vcc, 0, v1, vcc
	v_cmp_ne_u32_e32 vcc, 0, v8
                                        ; implicit-def: $vgpr7
	s_and_saveexec_b64 s[30:31], vcc
	s_xor_b64 s[30:31], exec, s[30:31]
; %bb.8988:                             ;   in Loop: Header=BB6_8564 Depth=3
	v_add_u32_e32 v7, 15, v9
	v_cmp_lt_u64_e32 vcc, s[56:57], v[0:1]
	v_cndmask_b32_e32 v7, v8, v7, vcc
	v_cndmask_b32_e64 v8, 0, 1, vcc
	v_lshrrev_b64 v[0:1], v8, v[0:1]
; %bb.8989:                             ;   in Loop: Header=BB6_8564 Depth=3
	s_andn2_saveexec_b64 vcc, s[30:31]
; %bb.8990:                             ;   in Loop: Header=BB6_8564 Depth=3
	v_bfe_u32 v7, v0, 23, 1
; %bb.8991:                             ;   in Loop: Header=BB6_8564 Depth=3
	s_or_b64 exec, exec, vcc
	v_lshrrev_b64 v[0:1], 21, v[0:1]
	v_cmp_gt_i32_e32 vcc, 32, v7
	v_cndmask_b32_e32 v1, 0, v1, vcc
	v_cndmask_b32_e32 v0, 3, v0, vcc
	v_cmp_eq_u64_e64 s[30:31], 0, v[0:1]
	v_min_i32_e32 v1, 31, v7
	v_cmp_eq_u32_e32 vcc, 0, v7
	v_lshlrev_b32_e32 v1, 2, v1
	v_and_or_b32 v0, v0, 3, v1
	s_and_b64 vcc, vcc, s[30:31]
	v_cndmask_b32_e64 v0, v0, 0, vcc
	v_or_b32_e32 v15, v0, v6
.LBB6_8992:                             ;   in Loop: Header=BB6_8564 Depth=3
	s_or_b64 exec, exec, s[74:75]
.LBB6_8993:                             ;   in Loop: Header=BB6_8564 Depth=3
	s_or_b64 exec, exec, s[72:73]
                                        ; implicit-def: $vgpr0
.LBB6_8994:                             ;   in Loop: Header=BB6_8564 Depth=3
	s_andn2_saveexec_b64 s[30:31], s[70:71]
; %bb.8995:                             ;   in Loop: Header=BB6_8564 Depth=3
	v_or_b32_sdwa v0, v0, s39 dst_sel:DWORD dst_unused:UNUSED_PAD src0_sel:BYTE_3 src1_sel:DWORD
	v_cmp_eq_u64_e32 vcc, 0, v[50:51]
	v_cndmask_b32_e32 v15, v0, v15, vcc
; %bb.8996:                             ;   in Loop: Header=BB6_8564 Depth=3
	s_or_b64 exec, exec, s[30:31]
	v_lshrrev_b16_e32 v50, 8, v2
	v_lshrrev_b16_e32 v0, 8, v10
	v_cmp_ne_u16_e64 s[30:31], 0, v50
	s_and_b64 vcc, exec, s[68:69]
	s_cbranch_vccz .LBB6_9014
; %bb.8997:                             ;   in Loop: Header=BB6_8564 Depth=3
	v_mov_b32_e32 v1, 0
	v_mov_b32_e32 v6, 0
	s_and_saveexec_b64 s[70:71], s[30:31]
	s_cbranch_execz .LBB6_9005
; %bb.8998:                             ;   in Loop: Header=BB6_8564 Depth=3
	v_cmp_ne_u16_e32 vcc, s97, v50
	v_bfrev_b32_e32 v6, 1
	s_and_saveexec_b64 s[72:73], vcc
	s_cbranch_execz .LBB6_9004
; %bb.8999:                             ;   in Loop: Header=BB6_8564 Depth=3
	v_and_b32_e32 v6, 0x7c, v50
	v_and_b32_e32 v7, 3, v50
	v_cmp_ne_u32_e32 vcc, s95, v6
                                        ; implicit-def: $vgpr6
	s_and_saveexec_b64 s[74:75], vcc
	s_xor_b64 s[74:75], exec, s[74:75]
	s_cbranch_execz .LBB6_9001
; %bb.9000:                             ;   in Loop: Header=BB6_8564 Depth=3
	v_ffbh_u32_e32 v8, v7
	v_min_u32_e32 v31, 32, v8
	v_subrev_u32_e32 v8, 29, v31
	v_bfe_u32 v6, v50, 2, 5
	v_lshlrev_b64 v[8:9], v8, v[50:51]
	v_sub_u32_e32 v9, 30, v31
	v_cmp_eq_u32_e32 vcc, 0, v6
	v_and_b32_e32 v8, 3, v8
	v_cndmask_b32_e32 v6, v6, v9, vcc
	v_bfrev_b32_e32 v9, 28
	v_cndmask_b32_e32 v7, v7, v8, vcc
	v_lshlrev_b32_e32 v8, 16, v2
	v_lshl_add_u32 v6, v6, 23, v9
	v_and_or_b32 v6, v8, s96, v6
	v_lshl_or_b32 v6, v7, 21, v6
                                        ; implicit-def: $vgpr7
.LBB6_9001:                             ;   in Loop: Header=BB6_8564 Depth=3
	s_andn2_saveexec_b64 s[74:75], s[74:75]
; %bb.9002:                             ;   in Loop: Header=BB6_8564 Depth=3
	v_cmp_lt_i16_e32 vcc, -1, v2
	v_mov_b32_e32 v6, 0xc7600000
	v_mov_b32_e32 v8, 0x47600000
	v_cndmask_b32_e32 v6, v6, v8, vcc
	v_cmp_eq_u32_e32 vcc, 0, v7
	v_mov_b32_e32 v7, 0x7f800001
	v_cndmask_b32_e32 v6, v7, v6, vcc
; %bb.9003:                             ;   in Loop: Header=BB6_8564 Depth=3
	s_or_b64 exec, exec, s[74:75]
.LBB6_9004:                             ;   in Loop: Header=BB6_8564 Depth=3
	s_or_b64 exec, exec, s[72:73]
.LBB6_9005:                             ;   in Loop: Header=BB6_8564 Depth=3
	s_or_b64 exec, exec, s[70:71]
	v_cmp_ne_u16_e32 vcc, 0, v0
	s_and_saveexec_b64 s[70:71], vcc
	s_cbranch_execz .LBB6_9013
; %bb.9006:                             ;   in Loop: Header=BB6_8564 Depth=3
	v_cmp_ne_u16_e32 vcc, s97, v0
	v_bfrev_b32_e32 v1, 1
	s_and_saveexec_b64 s[72:73], vcc
	s_cbranch_execz .LBB6_9012
; %bb.9007:                             ;   in Loop: Header=BB6_8564 Depth=3
	v_and_b32_e32 v1, 0x7c, v0
	v_and_b32_e32 v7, 3, v0
	v_cmp_ne_u32_e32 vcc, s95, v1
                                        ; implicit-def: $vgpr1
	s_and_saveexec_b64 s[74:75], vcc
	s_xor_b64 s[74:75], exec, s[74:75]
	s_cbranch_execz .LBB6_9009
; %bb.9008:                             ;   in Loop: Header=BB6_8564 Depth=3
	v_ffbh_u32_e32 v8, v7
	v_min_u32_e32 v32, 32, v8
	v_mov_b32_e32 v1, v51
	v_bfe_u32 v31, v0, 2, 5
	v_subrev_u32_e32 v8, 29, v32
	v_lshlrev_b64 v[8:9], v8, v[0:1]
	v_sub_u32_e32 v1, 30, v32
	v_cmp_eq_u32_e32 vcc, 0, v31
	v_and_b32_e32 v8, 3, v8
	v_cndmask_b32_e32 v1, v31, v1, vcc
	v_bfrev_b32_e32 v9, 28
	v_cndmask_b32_e32 v7, v7, v8, vcc
	v_lshlrev_b32_e32 v8, 16, v10
	v_lshl_add_u32 v1, v1, 23, v9
	v_and_or_b32 v1, v8, s96, v1
	v_lshl_or_b32 v1, v7, 21, v1
                                        ; implicit-def: $vgpr7
.LBB6_9009:                             ;   in Loop: Header=BB6_8564 Depth=3
	s_andn2_saveexec_b64 s[74:75], s[74:75]
; %bb.9010:                             ;   in Loop: Header=BB6_8564 Depth=3
	v_cmp_lt_i16_e32 vcc, -1, v10
	v_mov_b32_e32 v1, 0xc7600000
	v_mov_b32_e32 v8, 0x47600000
	v_cndmask_b32_e32 v1, v1, v8, vcc
	v_cmp_eq_u32_e32 vcc, 0, v7
	v_mov_b32_e32 v7, 0x7f800001
	v_cndmask_b32_e32 v1, v7, v1, vcc
; %bb.9011:                             ;   in Loop: Header=BB6_8564 Depth=3
	s_or_b64 exec, exec, s[74:75]
.LBB6_9012:                             ;   in Loop: Header=BB6_8564 Depth=3
	s_or_b64 exec, exec, s[72:73]
.LBB6_9013:                             ;   in Loop: Header=BB6_8564 Depth=3
	s_or_b64 exec, exec, s[70:71]
	v_max_f32_e32 v1, v1, v1
	v_max_f32_e32 v6, v6, v6
	;; [unrolled: 1-line block ×3, first 2 shown]
	s_branch .LBB6_9032
.LBB6_9014:                             ;   in Loop: Header=BB6_8564 Depth=3
                                        ; implicit-def: $vgpr1
	s_cbranch_execz .LBB6_9032
; %bb.9015:                             ;   in Loop: Header=BB6_8564 Depth=3
	v_mov_b32_e32 v1, 0
	v_mov_b32_e32 v6, 0
	s_and_saveexec_b64 s[70:71], s[30:31]
	s_cbranch_execz .LBB6_9023
; %bb.9016:                             ;   in Loop: Header=BB6_8564 Depth=3
	v_cmp_ne_u16_e32 vcc, s97, v50
	v_bfrev_b32_e32 v6, 1
	s_and_saveexec_b64 s[30:31], vcc
	s_cbranch_execz .LBB6_9022
; %bb.9017:                             ;   in Loop: Header=BB6_8564 Depth=3
	v_and_b32_e32 v6, 0x7c, v50
	v_and_b32_e32 v7, 3, v50
	v_cmp_ne_u32_e32 vcc, s95, v6
                                        ; implicit-def: $vgpr6
	s_and_saveexec_b64 s[72:73], vcc
	s_xor_b64 s[72:73], exec, s[72:73]
	s_cbranch_execz .LBB6_9019
; %bb.9018:                             ;   in Loop: Header=BB6_8564 Depth=3
	v_ffbh_u32_e32 v8, v7
	v_min_u32_e32 v31, 32, v8
	v_subrev_u32_e32 v8, 29, v31
	v_bfe_u32 v6, v50, 2, 5
	v_lshlrev_b64 v[8:9], v8, v[50:51]
	v_sub_u32_e32 v9, 30, v31
	v_cmp_eq_u32_e32 vcc, 0, v6
	v_and_b32_e32 v8, 3, v8
	v_cndmask_b32_e32 v6, v6, v9, vcc
	v_bfrev_b32_e32 v9, 28
	v_cndmask_b32_e32 v7, v7, v8, vcc
	v_lshlrev_b32_e32 v8, 16, v2
	v_lshl_add_u32 v6, v6, 23, v9
	v_and_or_b32 v6, v8, s96, v6
	v_lshl_or_b32 v6, v7, 21, v6
                                        ; implicit-def: $vgpr7
.LBB6_9019:                             ;   in Loop: Header=BB6_8564 Depth=3
	s_andn2_saveexec_b64 s[72:73], s[72:73]
; %bb.9020:                             ;   in Loop: Header=BB6_8564 Depth=3
	v_cmp_lt_i16_e32 vcc, -1, v2
	v_mov_b32_e32 v6, 0xc7600000
	v_mov_b32_e32 v8, 0x47600000
	v_cndmask_b32_e32 v6, v6, v8, vcc
	v_cmp_eq_u32_e32 vcc, 0, v7
	v_mov_b32_e32 v7, 0x7f800001
	v_cndmask_b32_e32 v6, v7, v6, vcc
; %bb.9021:                             ;   in Loop: Header=BB6_8564 Depth=3
	s_or_b64 exec, exec, s[72:73]
.LBB6_9022:                             ;   in Loop: Header=BB6_8564 Depth=3
	s_or_b64 exec, exec, s[30:31]
.LBB6_9023:                             ;   in Loop: Header=BB6_8564 Depth=3
	s_or_b64 exec, exec, s[70:71]
	v_cmp_ne_u16_e32 vcc, 0, v0
	s_and_saveexec_b64 s[30:31], vcc
	s_cbranch_execz .LBB6_9031
; %bb.9024:                             ;   in Loop: Header=BB6_8564 Depth=3
	v_cmp_ne_u16_e32 vcc, s97, v0
	v_bfrev_b32_e32 v1, 1
	s_and_saveexec_b64 s[70:71], vcc
	s_cbranch_execz .LBB6_9030
; %bb.9025:                             ;   in Loop: Header=BB6_8564 Depth=3
	v_and_b32_e32 v1, 0x7c, v0
	v_and_b32_e32 v7, 3, v0
	v_cmp_ne_u32_e32 vcc, s95, v1
                                        ; implicit-def: $vgpr1
	s_and_saveexec_b64 s[72:73], vcc
	s_xor_b64 s[72:73], exec, s[72:73]
	s_cbranch_execz .LBB6_9027
; %bb.9026:                             ;   in Loop: Header=BB6_8564 Depth=3
	v_ffbh_u32_e32 v9, v7
	v_min_u32_e32 v9, 32, v9
	v_mov_b32_e32 v1, v51
	v_subrev_u32_e32 v31, 29, v9
	v_bfe_u32 v8, v0, 2, 5
	v_lshlrev_b64 v[0:1], v31, v[0:1]
	v_sub_u32_e32 v1, 30, v9
	v_cmp_eq_u32_e32 vcc, 0, v8
	v_and_b32_e32 v0, 3, v0
	v_cndmask_b32_e32 v1, v8, v1, vcc
	v_bfrev_b32_e32 v8, 28
	v_cndmask_b32_e32 v0, v7, v0, vcc
	v_lshlrev_b32_e32 v7, 16, v10
	v_lshl_add_u32 v1, v1, 23, v8
	v_and_or_b32 v1, v7, s96, v1
	v_lshl_or_b32 v1, v0, 21, v1
                                        ; implicit-def: $vgpr7
.LBB6_9027:                             ;   in Loop: Header=BB6_8564 Depth=3
	s_andn2_saveexec_b64 s[72:73], s[72:73]
; %bb.9028:                             ;   in Loop: Header=BB6_8564 Depth=3
	v_cmp_lt_i16_e32 vcc, -1, v10
	v_mov_b32_e32 v0, 0xc7600000
	v_mov_b32_e32 v1, 0x47600000
	v_cndmask_b32_e32 v0, v0, v1, vcc
	v_cmp_eq_u32_e32 vcc, 0, v7
	v_mov_b32_e32 v1, 0x7f800001
	v_cndmask_b32_e32 v1, v1, v0, vcc
; %bb.9029:                             ;   in Loop: Header=BB6_8564 Depth=3
	s_or_b64 exec, exec, s[72:73]
.LBB6_9030:                             ;   in Loop: Header=BB6_8564 Depth=3
	s_or_b64 exec, exec, s[70:71]
.LBB6_9031:                             ;   in Loop: Header=BB6_8564 Depth=3
	s_or_b64 exec, exec, s[30:31]
	v_max_f32_e32 v0, v1, v1
	v_max_f32_e32 v1, v6, v6
	v_min_f32_e32 v1, v1, v0
.LBB6_9032:                             ;   in Loop: Header=BB6_8564 Depth=3
	v_and_b32_sdwa v6, v1, s97 dst_sel:DWORD dst_unused:UNUSED_PAD src0_sel:BYTE_3 src1_sel:DWORD
	v_and_b32_e32 v8, 0x7f800000, v1
	v_mov_b32_e32 v9, v51
	v_and_b32_e32 v50, 0x7fffff, v1
	v_or_b32_e32 v31, 0x7b, v6
	v_cmp_ne_u64_e32 vcc, s[52:53], v[8:9]
	s_and_saveexec_b64 s[30:31], vcc
	s_xor_b64 s[70:71], exec, s[30:31]
	s_cbranch_execz .LBB6_9042
; %bb.9033:                             ;   in Loop: Header=BB6_8564 Depth=3
	v_and_b32_e32 v8, 0x7fffffff, v1
	v_mov_b32_e32 v9, v51
	v_cmp_gt_u64_e32 vcc, s[54:55], v[8:9]
	s_and_saveexec_b64 s[72:73], vcc
	s_cbranch_execz .LBB6_9041
; %bb.9034:                             ;   in Loop: Header=BB6_8564 Depth=3
	v_cmp_ne_u32_e32 vcc, 0, v1
	v_mov_b32_e32 v31, 0
	s_and_saveexec_b64 s[74:75], vcc
	s_cbranch_execz .LBB6_9040
; %bb.9035:                             ;   in Loop: Header=BB6_8564 Depth=3
	v_bfe_u32 v0, v1, 23, 8
	v_cmp_eq_u32_e32 vcc, 0, v0
	v_add_u32_e32 v1, 0xffffff81, v0
	v_cmp_gt_u32_e64 s[30:31], s38, v0
	v_sub_u32_e32 v0, 0x71, v0
	v_mov_b32_e32 v8, 0xffffff82
	v_cndmask_b32_e64 v0, 0, v0, s[30:31]
	v_cndmask_b32_e32 v31, v1, v8, vcc
	v_mov_b32_e32 v1, 0x70
	v_cndmask_b32_e32 v32, v0, v1, vcc
	v_add_u32_e32 v0, 21, v32
	v_or_b32_e32 v7, 0x800000, v50
	v_lshlrev_b64 v[0:1], v0, -1
	v_cndmask_b32_e32 v50, v7, v50, vcc
	v_not_b32_e32 v1, v1
	v_not_b32_e32 v0, v0
	v_add_u32_e32 v7, 20, v32
	v_and_b32_e32 v1, 0, v1
	v_and_b32_e32 v0, v50, v0
	v_lshlrev_b64 v[8:9], v7, 1
	v_cmp_eq_u64_e32 vcc, v[0:1], v[8:9]
	v_lshrrev_b64 v[0:1], v32, v[50:51]
	v_lshrrev_b32_e32 v7, 23, v0
	v_add3_u32 v9, v32, v31, v7
	v_bfe_u32 v7, v0, 21, 1
	v_add_u32_e32 v7, -1, v7
	v_cndmask_b32_e32 v7, 0, v7, vcc
	v_add_u32_e32 v7, v7, v0
	v_and_b32_e32 v7, 0x1fffff, v7
	v_add_co_u32_e32 v0, vcc, v7, v0
	v_add_u32_e32 v8, 14, v9
	v_addc_co_u32_e32 v1, vcc, 0, v1, vcc
	v_cmp_ne_u32_e32 vcc, 0, v8
                                        ; implicit-def: $vgpr7
	s_and_saveexec_b64 s[30:31], vcc
	s_xor_b64 s[30:31], exec, s[30:31]
; %bb.9036:                             ;   in Loop: Header=BB6_8564 Depth=3
	v_add_u32_e32 v7, 15, v9
	v_cmp_lt_u64_e32 vcc, s[56:57], v[0:1]
	v_cndmask_b32_e32 v7, v8, v7, vcc
	v_cndmask_b32_e64 v8, 0, 1, vcc
	v_lshrrev_b64 v[0:1], v8, v[0:1]
; %bb.9037:                             ;   in Loop: Header=BB6_8564 Depth=3
	s_andn2_saveexec_b64 vcc, s[30:31]
; %bb.9038:                             ;   in Loop: Header=BB6_8564 Depth=3
	v_bfe_u32 v7, v0, 23, 1
; %bb.9039:                             ;   in Loop: Header=BB6_8564 Depth=3
	s_or_b64 exec, exec, vcc
	v_lshrrev_b64 v[0:1], 21, v[0:1]
	v_cmp_gt_i32_e32 vcc, 32, v7
	v_cndmask_b32_e32 v1, 0, v1, vcc
	v_cndmask_b32_e32 v0, 3, v0, vcc
	v_cmp_eq_u64_e64 s[30:31], 0, v[0:1]
	v_min_i32_e32 v1, 31, v7
	v_cmp_eq_u32_e32 vcc, 0, v7
	v_lshlrev_b32_e32 v1, 2, v1
	v_and_or_b32 v0, v0, 3, v1
	s_and_b64 vcc, vcc, s[30:31]
	v_cndmask_b32_e64 v0, v0, 0, vcc
	v_or_b32_e32 v31, v0, v6
.LBB6_9040:                             ;   in Loop: Header=BB6_8564 Depth=3
	s_or_b64 exec, exec, s[74:75]
.LBB6_9041:                             ;   in Loop: Header=BB6_8564 Depth=3
	s_or_b64 exec, exec, s[72:73]
                                        ; implicit-def: $vgpr1
.LBB6_9042:                             ;   in Loop: Header=BB6_8564 Depth=3
	s_andn2_saveexec_b64 s[30:31], s[70:71]
; %bb.9043:                             ;   in Loop: Header=BB6_8564 Depth=3
	v_or_b32_sdwa v0, v1, s39 dst_sel:DWORD dst_unused:UNUSED_PAD src0_sel:BYTE_3 src1_sel:DWORD
	v_cmp_eq_u64_e32 vcc, 0, v[50:51]
	v_cndmask_b32_e32 v31, v0, v31, vcc
; %bb.9044:                             ;   in Loop: Header=BB6_8564 Depth=3
	s_or_b64 exec, exec, s[30:31]
	v_lshrrev_b32_e32 v6, 16, v2
	v_lshrrev_b32_e32 v0, 16, v10
	v_cmp_ne_u16_sdwa s[30:31], v6, v51 src0_sel:BYTE_0 src1_sel:DWORD
	s_and_b64 vcc, exec, s[68:69]
	s_cbranch_vccz .LBB6_9062
; %bb.9045:                             ;   in Loop: Header=BB6_8564 Depth=3
	v_mov_b32_e32 v7, 0
	v_mov_b32_e32 v1, 0
	s_and_saveexec_b64 s[70:71], s[30:31]
	s_cbranch_execz .LBB6_9053
; %bb.9046:                             ;   in Loop: Header=BB6_8564 Depth=3
	v_cmp_ne_u16_sdwa vcc, v6, s97 src0_sel:BYTE_0 src1_sel:DWORD
	v_bfrev_b32_e32 v1, 1
	s_and_saveexec_b64 s[72:73], vcc
	s_cbranch_execz .LBB6_9052
; %bb.9047:                             ;   in Loop: Header=BB6_8564 Depth=3
	v_and_b32_e32 v1, 0x7c0000, v2
	v_bfe_u32 v8, v2, 16, 2
	v_cmp_ne_u32_e32 vcc, s36, v1
                                        ; implicit-def: $vgpr1
	s_and_saveexec_b64 s[74:75], vcc
	s_xor_b64 s[74:75], exec, s[74:75]
	s_cbranch_execz .LBB6_9049
; %bb.9048:                             ;   in Loop: Header=BB6_8564 Depth=3
	v_ffbh_u32_e32 v9, v8
	v_min_u32_e32 v9, 32, v9
	v_subrev_u32_e32 v32, 29, v9
	v_bfe_u32 v1, v2, 18, 5
	v_lshlrev_b64 v[32:33], v32, v[6:7]
	v_sub_u32_e32 v9, 30, v9
	v_and_b32_e32 v32, 3, v32
	v_cmp_eq_u32_e32 vcc, 0, v1
	v_cndmask_b32_e32 v1, v1, v9, vcc
	v_cndmask_b32_e32 v8, v8, v32, vcc
	v_bfrev_b32_e32 v32, 28
	v_lshlrev_b32_e32 v9, 24, v6
	v_lshl_add_u32 v1, v1, 23, v32
	v_and_or_b32 v1, v9, s96, v1
	v_lshl_or_b32 v1, v8, 21, v1
                                        ; implicit-def: $vgpr8
.LBB6_9049:                             ;   in Loop: Header=BB6_8564 Depth=3
	s_andn2_saveexec_b64 s[74:75], s[74:75]
; %bb.9050:                             ;   in Loop: Header=BB6_8564 Depth=3
	v_mov_b32_e32 v1, -1
	v_cmp_gt_i16_sdwa vcc, sext(v6), v1 src0_sel:BYTE_0 src1_sel:DWORD
	v_mov_b32_e32 v1, 0xc7600000
	v_mov_b32_e32 v9, 0x47600000
	v_cndmask_b32_e32 v1, v1, v9, vcc
	v_cmp_eq_u32_e32 vcc, 0, v8
	v_mov_b32_e32 v8, 0x7f800001
	v_cndmask_b32_e32 v1, v8, v1, vcc
; %bb.9051:                             ;   in Loop: Header=BB6_8564 Depth=3
	s_or_b64 exec, exec, s[74:75]
.LBB6_9052:                             ;   in Loop: Header=BB6_8564 Depth=3
	s_or_b64 exec, exec, s[72:73]
.LBB6_9053:                             ;   in Loop: Header=BB6_8564 Depth=3
	s_or_b64 exec, exec, s[70:71]
	v_cmp_ne_u16_sdwa vcc, v0, v51 src0_sel:BYTE_0 src1_sel:DWORD
	s_and_saveexec_b64 s[70:71], vcc
	s_cbranch_execz .LBB6_9061
; %bb.9054:                             ;   in Loop: Header=BB6_8564 Depth=3
	v_cmp_ne_u16_sdwa vcc, v0, s97 src0_sel:BYTE_0 src1_sel:DWORD
	v_bfrev_b32_e32 v7, 1
	s_and_saveexec_b64 s[72:73], vcc
	s_cbranch_execz .LBB6_9060
; %bb.9055:                             ;   in Loop: Header=BB6_8564 Depth=3
	v_and_b32_e32 v7, 0x7c0000, v10
	v_bfe_u32 v8, v10, 16, 2
	v_cmp_ne_u32_e32 vcc, s36, v7
                                        ; implicit-def: $vgpr7
	s_and_saveexec_b64 s[74:75], vcc
	s_xor_b64 s[74:75], exec, s[74:75]
	s_cbranch_execz .LBB6_9057
; %bb.9056:                             ;   in Loop: Header=BB6_8564 Depth=3
	v_ffbh_u32_e32 v9, v8
	v_min_u32_e32 v9, 32, v9
	v_subrev_u32_e32 v32, 29, v9
	v_bfe_u32 v7, v10, 18, 5
	v_lshlrev_b64 v[32:33], v32, v[0:1]
	v_sub_u32_e32 v9, 30, v9
	v_and_b32_e32 v32, 3, v32
	v_cmp_eq_u32_e32 vcc, 0, v7
	v_cndmask_b32_e32 v7, v7, v9, vcc
	v_cndmask_b32_e32 v8, v8, v32, vcc
	v_bfrev_b32_e32 v32, 28
	v_lshlrev_b32_e32 v9, 24, v0
	v_lshl_add_u32 v7, v7, 23, v32
	v_and_or_b32 v7, v9, s96, v7
	v_lshl_or_b32 v7, v8, 21, v7
                                        ; implicit-def: $vgpr8
.LBB6_9057:                             ;   in Loop: Header=BB6_8564 Depth=3
	s_andn2_saveexec_b64 s[74:75], s[74:75]
; %bb.9058:                             ;   in Loop: Header=BB6_8564 Depth=3
	v_mov_b32_e32 v7, -1
	v_cmp_gt_i16_sdwa vcc, sext(v0), v7 src0_sel:BYTE_0 src1_sel:DWORD
	v_mov_b32_e32 v7, 0xc7600000
	v_mov_b32_e32 v9, 0x47600000
	v_cndmask_b32_e32 v7, v7, v9, vcc
	v_cmp_eq_u32_e32 vcc, 0, v8
	v_mov_b32_e32 v8, 0x7f800001
	v_cndmask_b32_e32 v7, v8, v7, vcc
; %bb.9059:                             ;   in Loop: Header=BB6_8564 Depth=3
	s_or_b64 exec, exec, s[74:75]
.LBB6_9060:                             ;   in Loop: Header=BB6_8564 Depth=3
	s_or_b64 exec, exec, s[72:73]
.LBB6_9061:                             ;   in Loop: Header=BB6_8564 Depth=3
	s_or_b64 exec, exec, s[70:71]
	v_max_f32_e32 v7, v7, v7
	v_max_f32_e32 v1, v1, v1
	;; [unrolled: 1-line block ×3, first 2 shown]
	s_branch .LBB6_9080
.LBB6_9062:                             ;   in Loop: Header=BB6_8564 Depth=3
                                        ; implicit-def: $vgpr1
	s_cbranch_execz .LBB6_9080
; %bb.9063:                             ;   in Loop: Header=BB6_8564 Depth=3
	v_mov_b32_e32 v7, 0
	v_mov_b32_e32 v1, 0
	s_and_saveexec_b64 s[70:71], s[30:31]
	s_cbranch_execz .LBB6_9071
; %bb.9064:                             ;   in Loop: Header=BB6_8564 Depth=3
	v_cmp_ne_u16_sdwa vcc, v6, s97 src0_sel:BYTE_0 src1_sel:DWORD
	v_bfrev_b32_e32 v1, 1
	s_and_saveexec_b64 s[30:31], vcc
	s_cbranch_execz .LBB6_9070
; %bb.9065:                             ;   in Loop: Header=BB6_8564 Depth=3
	v_and_b32_e32 v1, 0x7c0000, v2
	v_bfe_u32 v8, v2, 16, 2
	v_cmp_ne_u32_e32 vcc, s36, v1
                                        ; implicit-def: $vgpr1
	s_and_saveexec_b64 s[72:73], vcc
	s_xor_b64 s[72:73], exec, s[72:73]
	s_cbranch_execz .LBB6_9067
; %bb.9066:                             ;   in Loop: Header=BB6_8564 Depth=3
	v_ffbh_u32_e32 v9, v8
	v_bfe_u32 v1, v2, 18, 5
	v_min_u32_e32 v9, 32, v9
	v_subrev_u32_e32 v32, 29, v9
	v_sub_u32_e32 v9, 30, v9
	v_cmp_eq_u32_e32 vcc, 0, v1
	v_lshlrev_b64 v[32:33], v32, v[6:7]
	v_cndmask_b32_e32 v1, v1, v9, vcc
	v_bfrev_b32_e32 v9, 28
	v_and_b32_e32 v32, 3, v32
	v_lshlrev_b32_e32 v6, 24, v6
	v_lshl_add_u32 v1, v1, 23, v9
	v_cndmask_b32_e32 v8, v8, v32, vcc
	v_and_or_b32 v1, v6, s96, v1
	v_lshl_or_b32 v1, v8, 21, v1
                                        ; implicit-def: $vgpr8
                                        ; implicit-def: $vgpr6
.LBB6_9067:                             ;   in Loop: Header=BB6_8564 Depth=3
	s_andn2_saveexec_b64 s[72:73], s[72:73]
; %bb.9068:                             ;   in Loop: Header=BB6_8564 Depth=3
	v_mov_b32_e32 v1, -1
	v_cmp_gt_i16_sdwa vcc, sext(v6), v1 src0_sel:BYTE_0 src1_sel:DWORD
	v_mov_b32_e32 v1, 0xc7600000
	v_mov_b32_e32 v6, 0x47600000
	v_cndmask_b32_e32 v1, v1, v6, vcc
	v_cmp_eq_u32_e32 vcc, 0, v8
	v_mov_b32_e32 v6, 0x7f800001
	v_cndmask_b32_e32 v1, v6, v1, vcc
; %bb.9069:                             ;   in Loop: Header=BB6_8564 Depth=3
	s_or_b64 exec, exec, s[72:73]
.LBB6_9070:                             ;   in Loop: Header=BB6_8564 Depth=3
	s_or_b64 exec, exec, s[30:31]
.LBB6_9071:                             ;   in Loop: Header=BB6_8564 Depth=3
	s_or_b64 exec, exec, s[70:71]
	v_cmp_ne_u16_sdwa vcc, v0, v51 src0_sel:BYTE_0 src1_sel:DWORD
	s_and_saveexec_b64 s[30:31], vcc
	s_cbranch_execz .LBB6_9079
; %bb.9072:                             ;   in Loop: Header=BB6_8564 Depth=3
	v_cmp_ne_u16_sdwa vcc, v0, s97 src0_sel:BYTE_0 src1_sel:DWORD
	v_bfrev_b32_e32 v7, 1
	s_and_saveexec_b64 s[70:71], vcc
	s_cbranch_execz .LBB6_9078
; %bb.9073:                             ;   in Loop: Header=BB6_8564 Depth=3
	v_and_b32_e32 v7, 0x7c0000, v10
	v_bfe_u32 v6, v10, 16, 2
	v_cmp_ne_u32_e32 vcc, s36, v7
                                        ; implicit-def: $vgpr7
	s_and_saveexec_b64 s[72:73], vcc
	s_xor_b64 s[72:73], exec, s[72:73]
	s_cbranch_execz .LBB6_9075
; %bb.9074:                             ;   in Loop: Header=BB6_8564 Depth=3
	v_ffbh_u32_e32 v8, v6
	v_min_u32_e32 v32, 32, v8
	v_subrev_u32_e32 v8, 29, v32
	v_bfe_u32 v7, v10, 18, 5
	v_lshlrev_b64 v[8:9], v8, v[0:1]
	v_sub_u32_e32 v9, 30, v32
	v_and_b32_e32 v8, 3, v8
	v_cmp_eq_u32_e32 vcc, 0, v7
	v_cndmask_b32_e32 v7, v7, v9, vcc
	v_cndmask_b32_e32 v6, v6, v8, vcc
	v_bfrev_b32_e32 v8, 28
	v_lshlrev_b32_e32 v0, 24, v0
	v_lshl_add_u32 v7, v7, 23, v8
	v_and_or_b32 v0, v0, s96, v7
	v_lshl_or_b32 v7, v6, 21, v0
                                        ; implicit-def: $vgpr6
                                        ; implicit-def: $vgpr0
.LBB6_9075:                             ;   in Loop: Header=BB6_8564 Depth=3
	s_andn2_saveexec_b64 s[72:73], s[72:73]
; %bb.9076:                             ;   in Loop: Header=BB6_8564 Depth=3
	v_mov_b32_e32 v7, -1
	v_cmp_gt_i16_sdwa vcc, sext(v0), v7 src0_sel:BYTE_0 src1_sel:DWORD
	v_mov_b32_e32 v0, 0xc7600000
	v_mov_b32_e32 v7, 0x47600000
	v_cndmask_b32_e32 v0, v0, v7, vcc
	v_cmp_eq_u32_e32 vcc, 0, v6
	v_mov_b32_e32 v6, 0x7f800001
	v_cndmask_b32_e32 v7, v6, v0, vcc
; %bb.9077:                             ;   in Loop: Header=BB6_8564 Depth=3
	s_or_b64 exec, exec, s[72:73]
.LBB6_9078:                             ;   in Loop: Header=BB6_8564 Depth=3
	s_or_b64 exec, exec, s[70:71]
.LBB6_9079:                             ;   in Loop: Header=BB6_8564 Depth=3
	s_or_b64 exec, exec, s[30:31]
	v_max_f32_e32 v0, v7, v7
	v_max_f32_e32 v1, v1, v1
	v_min_f32_e32 v1, v1, v0
.LBB6_9080:                             ;   in Loop: Header=BB6_8564 Depth=3
	v_and_b32_sdwa v6, v1, s97 dst_sel:DWORD dst_unused:UNUSED_PAD src0_sel:BYTE_3 src1_sel:DWORD
	v_and_b32_e32 v8, 0x7f800000, v1
	v_mov_b32_e32 v9, v51
	v_and_b32_e32 v50, 0x7fffff, v1
	v_or_b32_e32 v32, 0x7b, v6
	v_cmp_ne_u64_e32 vcc, s[52:53], v[8:9]
	s_and_saveexec_b64 s[30:31], vcc
	s_xor_b64 s[70:71], exec, s[30:31]
	s_cbranch_execz .LBB6_9090
; %bb.9081:                             ;   in Loop: Header=BB6_8564 Depth=3
	v_and_b32_e32 v8, 0x7fffffff, v1
	v_mov_b32_e32 v9, v51
	v_cmp_gt_u64_e32 vcc, s[54:55], v[8:9]
	s_and_saveexec_b64 s[72:73], vcc
	s_cbranch_execz .LBB6_9089
; %bb.9082:                             ;   in Loop: Header=BB6_8564 Depth=3
	v_cmp_ne_u32_e32 vcc, 0, v1
	v_mov_b32_e32 v32, 0
	s_and_saveexec_b64 s[74:75], vcc
	s_cbranch_execz .LBB6_9088
; %bb.9083:                             ;   in Loop: Header=BB6_8564 Depth=3
	v_bfe_u32 v0, v1, 23, 8
	v_cmp_eq_u32_e32 vcc, 0, v0
	v_add_u32_e32 v1, 0xffffff81, v0
	v_cmp_gt_u32_e64 s[30:31], s38, v0
	v_sub_u32_e32 v0, 0x71, v0
	v_mov_b32_e32 v8, 0xffffff82
	v_cndmask_b32_e64 v0, 0, v0, s[30:31]
	v_cndmask_b32_e32 v32, v1, v8, vcc
	v_mov_b32_e32 v1, 0x70
	v_cndmask_b32_e32 v33, v0, v1, vcc
	v_add_u32_e32 v0, 21, v33
	v_or_b32_e32 v7, 0x800000, v50
	v_lshlrev_b64 v[0:1], v0, -1
	v_cndmask_b32_e32 v50, v7, v50, vcc
	v_not_b32_e32 v1, v1
	v_not_b32_e32 v0, v0
	v_add_u32_e32 v7, 20, v33
	v_and_b32_e32 v1, 0, v1
	v_and_b32_e32 v0, v50, v0
	v_lshlrev_b64 v[8:9], v7, 1
	v_cmp_eq_u64_e32 vcc, v[0:1], v[8:9]
	v_lshrrev_b64 v[0:1], v33, v[50:51]
	v_lshrrev_b32_e32 v7, 23, v0
	v_add3_u32 v9, v33, v32, v7
	v_bfe_u32 v7, v0, 21, 1
	v_add_u32_e32 v7, -1, v7
	v_cndmask_b32_e32 v7, 0, v7, vcc
	v_add_u32_e32 v7, v7, v0
	v_and_b32_e32 v7, 0x1fffff, v7
	v_add_co_u32_e32 v0, vcc, v7, v0
	v_add_u32_e32 v8, 14, v9
	v_addc_co_u32_e32 v1, vcc, 0, v1, vcc
	v_cmp_ne_u32_e32 vcc, 0, v8
                                        ; implicit-def: $vgpr7
	s_and_saveexec_b64 s[30:31], vcc
	s_xor_b64 s[30:31], exec, s[30:31]
; %bb.9084:                             ;   in Loop: Header=BB6_8564 Depth=3
	v_add_u32_e32 v7, 15, v9
	v_cmp_lt_u64_e32 vcc, s[56:57], v[0:1]
	v_cndmask_b32_e32 v7, v8, v7, vcc
	v_cndmask_b32_e64 v8, 0, 1, vcc
	v_lshrrev_b64 v[0:1], v8, v[0:1]
; %bb.9085:                             ;   in Loop: Header=BB6_8564 Depth=3
	s_andn2_saveexec_b64 vcc, s[30:31]
; %bb.9086:                             ;   in Loop: Header=BB6_8564 Depth=3
	v_bfe_u32 v7, v0, 23, 1
; %bb.9087:                             ;   in Loop: Header=BB6_8564 Depth=3
	s_or_b64 exec, exec, vcc
	v_lshrrev_b64 v[0:1], 21, v[0:1]
	v_cmp_gt_i32_e32 vcc, 32, v7
	v_cndmask_b32_e32 v1, 0, v1, vcc
	v_cndmask_b32_e32 v0, 3, v0, vcc
	v_cmp_eq_u64_e64 s[30:31], 0, v[0:1]
	v_min_i32_e32 v1, 31, v7
	v_cmp_eq_u32_e32 vcc, 0, v7
	v_lshlrev_b32_e32 v1, 2, v1
	v_and_or_b32 v0, v0, 3, v1
	s_and_b64 vcc, vcc, s[30:31]
	v_cndmask_b32_e64 v0, v0, 0, vcc
	v_or_b32_e32 v32, v0, v6
.LBB6_9088:                             ;   in Loop: Header=BB6_8564 Depth=3
	s_or_b64 exec, exec, s[74:75]
.LBB6_9089:                             ;   in Loop: Header=BB6_8564 Depth=3
	s_or_b64 exec, exec, s[72:73]
                                        ; implicit-def: $vgpr1
.LBB6_9090:                             ;   in Loop: Header=BB6_8564 Depth=3
	s_andn2_saveexec_b64 s[30:31], s[70:71]
; %bb.9091:                             ;   in Loop: Header=BB6_8564 Depth=3
	v_or_b32_sdwa v0, v1, s39 dst_sel:DWORD dst_unused:UNUSED_PAD src0_sel:BYTE_3 src1_sel:DWORD
	v_cmp_eq_u64_e32 vcc, 0, v[50:51]
	v_cndmask_b32_e32 v32, v0, v32, vcc
; %bb.9092:                             ;   in Loop: Header=BB6_8564 Depth=3
	s_or_b64 exec, exec, s[30:31]
	v_lshrrev_b32_e32 v6, 24, v2
	v_lshrrev_b32_e32 v0, 24, v10
	v_cmp_lt_u32_e64 s[30:31], s43, v2
	s_and_b64 vcc, exec, s[68:69]
	s_cbranch_vccz .LBB6_9110
; %bb.9093:                             ;   in Loop: Header=BB6_8564 Depth=3
	v_mov_b32_e32 v7, 0
	v_mov_b32_e32 v1, 0
	s_and_saveexec_b64 s[70:71], s[30:31]
	s_cbranch_execz .LBB6_9101
; %bb.9094:                             ;   in Loop: Header=BB6_8564 Depth=3
	v_cmp_ne_u32_e32 vcc, s97, v6
	v_bfrev_b32_e32 v1, 1
	s_and_saveexec_b64 s[72:73], vcc
	s_cbranch_execz .LBB6_9100
; %bb.9095:                             ;   in Loop: Header=BB6_8564 Depth=3
	v_and_b32_e32 v1, 0x7c000000, v2
	v_bfe_u32 v8, v2, 24, 2
	v_cmp_ne_u32_e32 vcc, s37, v1
                                        ; implicit-def: $vgpr1
	s_and_saveexec_b64 s[74:75], vcc
	s_xor_b64 s[74:75], exec, s[74:75]
	s_cbranch_execz .LBB6_9097
; %bb.9096:                             ;   in Loop: Header=BB6_8564 Depth=3
	v_ffbh_u32_e32 v9, v8
	v_bfe_u32 v1, v2, 26, 5
	v_min_u32_e32 v9, 32, v9
	v_subrev_u32_e32 v33, 29, v9
	v_sub_u32_e32 v9, 30, v9
	v_cmp_eq_u32_e32 vcc, 0, v1
	v_lshlrev_b64 v[34:35], v33, v[6:7]
	v_cndmask_b32_e32 v1, v1, v9, vcc
	v_bfrev_b32_e32 v9, 28
	v_and_b32_e32 v33, 3, v34
	v_lshl_add_u32 v1, v1, 23, v9
	v_cndmask_b32_e32 v8, v8, v33, vcc
	v_and_or_b32 v1, v2, s96, v1
	v_lshl_or_b32 v1, v8, 21, v1
                                        ; implicit-def: $vgpr8
.LBB6_9097:                             ;   in Loop: Header=BB6_8564 Depth=3
	s_andn2_saveexec_b64 s[74:75], s[74:75]
; %bb.9098:                             ;   in Loop: Header=BB6_8564 Depth=3
	v_cmp_lt_i32_e32 vcc, -1, v2
	v_mov_b32_e32 v1, 0xc7600000
	v_mov_b32_e32 v9, 0x47600000
	v_cndmask_b32_e32 v1, v1, v9, vcc
	v_cmp_eq_u32_e32 vcc, 0, v8
	v_mov_b32_e32 v8, 0x7f800001
	v_cndmask_b32_e32 v1, v8, v1, vcc
; %bb.9099:                             ;   in Loop: Header=BB6_8564 Depth=3
	s_or_b64 exec, exec, s[74:75]
.LBB6_9100:                             ;   in Loop: Header=BB6_8564 Depth=3
	s_or_b64 exec, exec, s[72:73]
.LBB6_9101:                             ;   in Loop: Header=BB6_8564 Depth=3
	s_or_b64 exec, exec, s[70:71]
	v_cmp_lt_u32_e32 vcc, s43, v10
	s_and_saveexec_b64 s[70:71], vcc
	s_cbranch_execz .LBB6_9109
; %bb.9102:                             ;   in Loop: Header=BB6_8564 Depth=3
	v_cmp_ne_u32_e32 vcc, s97, v0
	v_bfrev_b32_e32 v7, 1
	s_and_saveexec_b64 s[72:73], vcc
	s_cbranch_execz .LBB6_9108
; %bb.9103:                             ;   in Loop: Header=BB6_8564 Depth=3
	v_and_b32_e32 v7, 0x7c000000, v10
	v_bfe_u32 v8, v10, 24, 2
	v_cmp_ne_u32_e32 vcc, s37, v7
                                        ; implicit-def: $vgpr7
	s_and_saveexec_b64 s[74:75], vcc
	s_xor_b64 s[74:75], exec, s[74:75]
	s_cbranch_execz .LBB6_9105
; %bb.9104:                             ;   in Loop: Header=BB6_8564 Depth=3
	v_ffbh_u32_e32 v9, v8
	v_bfe_u32 v7, v10, 26, 5
	v_min_u32_e32 v9, 32, v9
	v_subrev_u32_e32 v33, 29, v9
	v_sub_u32_e32 v9, 30, v9
	v_cmp_eq_u32_e32 vcc, 0, v7
	v_lshlrev_b64 v[34:35], v33, v[0:1]
	v_cndmask_b32_e32 v7, v7, v9, vcc
	v_bfrev_b32_e32 v9, 28
	v_and_b32_e32 v33, 3, v34
	v_lshl_add_u32 v7, v7, 23, v9
	v_cndmask_b32_e32 v8, v8, v33, vcc
	v_and_or_b32 v7, v10, s96, v7
	v_lshl_or_b32 v7, v8, 21, v7
                                        ; implicit-def: $vgpr8
.LBB6_9105:                             ;   in Loop: Header=BB6_8564 Depth=3
	s_andn2_saveexec_b64 s[74:75], s[74:75]
; %bb.9106:                             ;   in Loop: Header=BB6_8564 Depth=3
	v_cmp_lt_i32_e32 vcc, -1, v10
	v_mov_b32_e32 v7, 0xc7600000
	v_mov_b32_e32 v9, 0x47600000
	v_cndmask_b32_e32 v7, v7, v9, vcc
	v_cmp_eq_u32_e32 vcc, 0, v8
	v_mov_b32_e32 v8, 0x7f800001
	v_cndmask_b32_e32 v7, v8, v7, vcc
; %bb.9107:                             ;   in Loop: Header=BB6_8564 Depth=3
	s_or_b64 exec, exec, s[74:75]
.LBB6_9108:                             ;   in Loop: Header=BB6_8564 Depth=3
	s_or_b64 exec, exec, s[72:73]
.LBB6_9109:                             ;   in Loop: Header=BB6_8564 Depth=3
	s_or_b64 exec, exec, s[70:71]
	v_max_f32_e32 v7, v7, v7
	v_max_f32_e32 v1, v1, v1
	;; [unrolled: 1-line block ×3, first 2 shown]
	s_branch .LBB6_9128
.LBB6_9110:                             ;   in Loop: Header=BB6_8564 Depth=3
                                        ; implicit-def: $vgpr1
	s_cbranch_execz .LBB6_9128
; %bb.9111:                             ;   in Loop: Header=BB6_8564 Depth=3
	v_mov_b32_e32 v7, 0
	v_mov_b32_e32 v1, 0
	s_and_saveexec_b64 s[70:71], s[30:31]
	s_cbranch_execz .LBB6_9119
; %bb.9112:                             ;   in Loop: Header=BB6_8564 Depth=3
	v_cmp_ne_u32_e32 vcc, s97, v6
	v_bfrev_b32_e32 v1, 1
	s_and_saveexec_b64 s[30:31], vcc
	s_cbranch_execz .LBB6_9118
; %bb.9113:                             ;   in Loop: Header=BB6_8564 Depth=3
	v_and_b32_e32 v1, 0x7c000000, v2
	v_bfe_u32 v8, v2, 24, 2
	v_cmp_ne_u32_e32 vcc, s37, v1
                                        ; implicit-def: $vgpr1
	s_and_saveexec_b64 s[72:73], vcc
	s_xor_b64 s[72:73], exec, s[72:73]
	s_cbranch_execz .LBB6_9115
; %bb.9114:                             ;   in Loop: Header=BB6_8564 Depth=3
	v_ffbh_u32_e32 v9, v8
	v_min_u32_e32 v9, 32, v9
	v_subrev_u32_e32 v33, 29, v9
	v_bfe_u32 v1, v2, 26, 5
	v_lshlrev_b64 v[34:35], v33, v[6:7]
	v_sub_u32_e32 v6, 30, v9
	v_and_b32_e32 v9, 3, v34
	v_cmp_eq_u32_e32 vcc, 0, v1
	v_cndmask_b32_e32 v1, v1, v6, vcc
	v_cndmask_b32_e32 v6, v8, v9, vcc
	v_bfrev_b32_e32 v8, 28
	v_lshl_add_u32 v1, v1, 23, v8
	v_and_or_b32 v1, v2, s96, v1
	v_lshl_or_b32 v1, v6, 21, v1
                                        ; implicit-def: $vgpr8
.LBB6_9115:                             ;   in Loop: Header=BB6_8564 Depth=3
	s_andn2_saveexec_b64 s[72:73], s[72:73]
; %bb.9116:                             ;   in Loop: Header=BB6_8564 Depth=3
	v_cmp_lt_i32_e32 vcc, -1, v2
	v_mov_b32_e32 v1, 0xc7600000
	v_mov_b32_e32 v6, 0x47600000
	v_cndmask_b32_e32 v1, v1, v6, vcc
	v_cmp_eq_u32_e32 vcc, 0, v8
	v_mov_b32_e32 v6, 0x7f800001
	v_cndmask_b32_e32 v1, v6, v1, vcc
; %bb.9117:                             ;   in Loop: Header=BB6_8564 Depth=3
	s_or_b64 exec, exec, s[72:73]
.LBB6_9118:                             ;   in Loop: Header=BB6_8564 Depth=3
	s_or_b64 exec, exec, s[30:31]
.LBB6_9119:                             ;   in Loop: Header=BB6_8564 Depth=3
	s_or_b64 exec, exec, s[70:71]
	v_cmp_lt_u32_e32 vcc, s43, v10
	s_and_saveexec_b64 s[30:31], vcc
	s_cbranch_execz .LBB6_9127
; %bb.9120:                             ;   in Loop: Header=BB6_8564 Depth=3
	v_cmp_ne_u32_e32 vcc, s97, v0
	v_bfrev_b32_e32 v7, 1
	s_and_saveexec_b64 s[70:71], vcc
	s_cbranch_execz .LBB6_9126
; %bb.9121:                             ;   in Loop: Header=BB6_8564 Depth=3
	v_and_b32_e32 v7, 0x7c000000, v10
	v_bfe_u32 v6, v10, 24, 2
	v_cmp_ne_u32_e32 vcc, s37, v7
                                        ; implicit-def: $vgpr7
	s_and_saveexec_b64 s[72:73], vcc
	s_xor_b64 s[72:73], exec, s[72:73]
	s_cbranch_execz .LBB6_9123
; %bb.9122:                             ;   in Loop: Header=BB6_8564 Depth=3
	v_ffbh_u32_e32 v8, v6
	v_min_u32_e32 v33, 32, v8
	v_bfe_u32 v7, v10, 26, 5
	v_subrev_u32_e32 v8, 29, v33
	v_lshlrev_b64 v[8:9], v8, v[0:1]
	v_sub_u32_e32 v0, 30, v33
	v_cmp_eq_u32_e32 vcc, 0, v7
	v_cndmask_b32_e32 v0, v7, v0, vcc
	v_bfrev_b32_e32 v7, 28
	v_and_b32_e32 v8, 3, v8
	v_lshl_add_u32 v0, v0, 23, v7
	v_cndmask_b32_e32 v6, v6, v8, vcc
	v_and_or_b32 v0, v10, s96, v0
	v_lshl_or_b32 v7, v6, 21, v0
                                        ; implicit-def: $vgpr6
.LBB6_9123:                             ;   in Loop: Header=BB6_8564 Depth=3
	s_andn2_saveexec_b64 s[72:73], s[72:73]
; %bb.9124:                             ;   in Loop: Header=BB6_8564 Depth=3
	v_cmp_lt_i32_e32 vcc, -1, v10
	v_mov_b32_e32 v0, 0xc7600000
	v_mov_b32_e32 v7, 0x47600000
	v_cndmask_b32_e32 v0, v0, v7, vcc
	v_cmp_eq_u32_e32 vcc, 0, v6
	v_mov_b32_e32 v6, 0x7f800001
	v_cndmask_b32_e32 v7, v6, v0, vcc
; %bb.9125:                             ;   in Loop: Header=BB6_8564 Depth=3
	s_or_b64 exec, exec, s[72:73]
.LBB6_9126:                             ;   in Loop: Header=BB6_8564 Depth=3
	s_or_b64 exec, exec, s[70:71]
.LBB6_9127:                             ;   in Loop: Header=BB6_8564 Depth=3
	s_or_b64 exec, exec, s[30:31]
	v_max_f32_e32 v0, v7, v7
	v_max_f32_e32 v1, v1, v1
	v_min_f32_e32 v1, v1, v0
.LBB6_9128:                             ;   in Loop: Header=BB6_8564 Depth=3
	v_and_b32_sdwa v6, v1, s97 dst_sel:DWORD dst_unused:UNUSED_PAD src0_sel:BYTE_3 src1_sel:DWORD
	v_and_b32_e32 v8, 0x7f800000, v1
	v_mov_b32_e32 v9, v51
	v_and_b32_e32 v50, 0x7fffff, v1
	v_or_b32_e32 v33, 0x7b, v6
	v_cmp_ne_u64_e32 vcc, s[52:53], v[8:9]
	s_and_saveexec_b64 s[30:31], vcc
	s_xor_b64 s[70:71], exec, s[30:31]
	s_cbranch_execz .LBB6_9138
; %bb.9129:                             ;   in Loop: Header=BB6_8564 Depth=3
	v_and_b32_e32 v8, 0x7fffffff, v1
	v_mov_b32_e32 v9, v51
	v_cmp_gt_u64_e32 vcc, s[54:55], v[8:9]
	s_and_saveexec_b64 s[72:73], vcc
	s_cbranch_execz .LBB6_9137
; %bb.9130:                             ;   in Loop: Header=BB6_8564 Depth=3
	v_cmp_ne_u32_e32 vcc, 0, v1
	v_mov_b32_e32 v33, 0
	s_and_saveexec_b64 s[74:75], vcc
	s_cbranch_execz .LBB6_9136
; %bb.9131:                             ;   in Loop: Header=BB6_8564 Depth=3
	v_bfe_u32 v0, v1, 23, 8
	v_cmp_eq_u32_e32 vcc, 0, v0
	v_add_u32_e32 v1, 0xffffff81, v0
	v_cmp_gt_u32_e64 s[30:31], s38, v0
	v_sub_u32_e32 v0, 0x71, v0
	v_mov_b32_e32 v8, 0xffffff82
	v_cndmask_b32_e64 v0, 0, v0, s[30:31]
	v_cndmask_b32_e32 v33, v1, v8, vcc
	v_mov_b32_e32 v1, 0x70
	v_cndmask_b32_e32 v34, v0, v1, vcc
	v_add_u32_e32 v0, 21, v34
	v_or_b32_e32 v7, 0x800000, v50
	v_lshlrev_b64 v[0:1], v0, -1
	v_cndmask_b32_e32 v50, v7, v50, vcc
	v_not_b32_e32 v1, v1
	v_not_b32_e32 v0, v0
	v_add_u32_e32 v7, 20, v34
	v_and_b32_e32 v1, 0, v1
	v_and_b32_e32 v0, v50, v0
	v_lshlrev_b64 v[8:9], v7, 1
	v_cmp_eq_u64_e32 vcc, v[0:1], v[8:9]
	v_lshrrev_b64 v[0:1], v34, v[50:51]
	v_lshrrev_b32_e32 v7, 23, v0
	v_add3_u32 v9, v34, v33, v7
	v_bfe_u32 v7, v0, 21, 1
	v_add_u32_e32 v7, -1, v7
	v_cndmask_b32_e32 v7, 0, v7, vcc
	v_add_u32_e32 v7, v7, v0
	v_and_b32_e32 v7, 0x1fffff, v7
	v_add_co_u32_e32 v0, vcc, v7, v0
	v_add_u32_e32 v8, 14, v9
	v_addc_co_u32_e32 v1, vcc, 0, v1, vcc
	v_cmp_ne_u32_e32 vcc, 0, v8
                                        ; implicit-def: $vgpr7
	s_and_saveexec_b64 s[30:31], vcc
	s_xor_b64 s[30:31], exec, s[30:31]
; %bb.9132:                             ;   in Loop: Header=BB6_8564 Depth=3
	v_add_u32_e32 v7, 15, v9
	v_cmp_lt_u64_e32 vcc, s[56:57], v[0:1]
	v_cndmask_b32_e32 v7, v8, v7, vcc
	v_cndmask_b32_e64 v8, 0, 1, vcc
	v_lshrrev_b64 v[0:1], v8, v[0:1]
; %bb.9133:                             ;   in Loop: Header=BB6_8564 Depth=3
	s_andn2_saveexec_b64 vcc, s[30:31]
; %bb.9134:                             ;   in Loop: Header=BB6_8564 Depth=3
	v_bfe_u32 v7, v0, 23, 1
; %bb.9135:                             ;   in Loop: Header=BB6_8564 Depth=3
	s_or_b64 exec, exec, vcc
	v_lshrrev_b64 v[0:1], 21, v[0:1]
	v_cmp_gt_i32_e32 vcc, 32, v7
	v_cndmask_b32_e32 v1, 0, v1, vcc
	v_cndmask_b32_e32 v0, 3, v0, vcc
	v_cmp_eq_u64_e64 s[30:31], 0, v[0:1]
	v_min_i32_e32 v1, 31, v7
	v_cmp_eq_u32_e32 vcc, 0, v7
	v_lshlrev_b32_e32 v1, 2, v1
	v_and_or_b32 v0, v0, 3, v1
	s_and_b64 vcc, vcc, s[30:31]
	v_cndmask_b32_e64 v0, v0, 0, vcc
	v_or_b32_e32 v33, v0, v6
.LBB6_9136:                             ;   in Loop: Header=BB6_8564 Depth=3
	s_or_b64 exec, exec, s[74:75]
.LBB6_9137:                             ;   in Loop: Header=BB6_8564 Depth=3
	s_or_b64 exec, exec, s[72:73]
                                        ; implicit-def: $vgpr1
.LBB6_9138:                             ;   in Loop: Header=BB6_8564 Depth=3
	s_andn2_saveexec_b64 s[30:31], s[70:71]
; %bb.9139:                             ;   in Loop: Header=BB6_8564 Depth=3
	v_or_b32_sdwa v0, v1, s39 dst_sel:DWORD dst_unused:UNUSED_PAD src0_sel:BYTE_3 src1_sel:DWORD
	v_cmp_eq_u64_e32 vcc, 0, v[50:51]
	v_cndmask_b32_e32 v33, v0, v33, vcc
; %bb.9140:                             ;   in Loop: Header=BB6_8564 Depth=3
	s_or_b64 exec, exec, s[30:31]
	v_mov_b32_e32 v50, v3
	v_mov_b32_e32 v0, v11
	;; [unrolled: 1-line block ×3, first 2 shown]
	v_cmp_ne_u16_sdwa s[30:31], v3, v51 src0_sel:BYTE_0 src1_sel:DWORD
	s_and_b64 vcc, exec, s[68:69]
	s_cbranch_vccz .LBB6_9158
; %bb.9141:                             ;   in Loop: Header=BB6_8564 Depth=3
	v_mov_b32_e32 v7, 0
	v_mov_b32_e32 v6, 0
	s_and_saveexec_b64 s[70:71], s[30:31]
	s_cbranch_execz .LBB6_9149
; %bb.9142:                             ;   in Loop: Header=BB6_8564 Depth=3
	v_cmp_ne_u16_sdwa vcc, v3, s97 src0_sel:BYTE_0 src1_sel:DWORD
	v_bfrev_b32_e32 v6, 1
	s_and_saveexec_b64 s[72:73], vcc
	s_cbranch_execz .LBB6_9148
; %bb.9143:                             ;   in Loop: Header=BB6_8564 Depth=3
	v_and_b32_e32 v6, 0x7c, v3
	v_and_b32_e32 v8, 3, v3
	v_cmp_ne_u32_e32 vcc, s95, v6
                                        ; implicit-def: $vgpr6
	s_and_saveexec_b64 s[74:75], vcc
	s_xor_b64 s[74:75], exec, s[74:75]
	s_cbranch_execz .LBB6_9145
; %bb.9144:                             ;   in Loop: Header=BB6_8564 Depth=3
	v_ffbh_u32_e32 v9, v8
	v_min_u32_e32 v9, 32, v9
	v_subrev_u32_e32 v34, 29, v9
	v_bfe_u32 v6, v3, 2, 5
	v_lshlrev_b64 v[34:35], v34, v[50:51]
	v_sub_u32_e32 v9, 30, v9
	v_and_b32_e32 v34, 3, v34
	v_cmp_eq_u32_e32 vcc, 0, v6
	v_cndmask_b32_e32 v6, v6, v9, vcc
	v_cndmask_b32_e32 v8, v8, v34, vcc
	v_bfrev_b32_e32 v34, 28
	v_lshlrev_b32_e32 v9, 24, v3
	v_lshl_add_u32 v6, v6, 23, v34
	v_and_or_b32 v6, v9, s96, v6
	v_lshl_or_b32 v6, v8, 21, v6
                                        ; implicit-def: $vgpr8
.LBB6_9145:                             ;   in Loop: Header=BB6_8564 Depth=3
	s_andn2_saveexec_b64 s[74:75], s[74:75]
; %bb.9146:                             ;   in Loop: Header=BB6_8564 Depth=3
	v_mov_b32_e32 v6, -1
	v_cmp_gt_i16_sdwa vcc, sext(v3), v6 src0_sel:BYTE_0 src1_sel:DWORD
	v_mov_b32_e32 v6, 0xc7600000
	v_mov_b32_e32 v9, 0x47600000
	v_cndmask_b32_e32 v6, v6, v9, vcc
	v_cmp_eq_u32_e32 vcc, 0, v8
	v_mov_b32_e32 v8, 0x7f800001
	v_cndmask_b32_e32 v6, v8, v6, vcc
; %bb.9147:                             ;   in Loop: Header=BB6_8564 Depth=3
	s_or_b64 exec, exec, s[74:75]
.LBB6_9148:                             ;   in Loop: Header=BB6_8564 Depth=3
	s_or_b64 exec, exec, s[72:73]
.LBB6_9149:                             ;   in Loop: Header=BB6_8564 Depth=3
	s_or_b64 exec, exec, s[70:71]
	v_cmp_ne_u16_sdwa vcc, v11, v51 src0_sel:BYTE_0 src1_sel:DWORD
	s_and_saveexec_b64 s[70:71], vcc
	s_cbranch_execz .LBB6_9157
; %bb.9150:                             ;   in Loop: Header=BB6_8564 Depth=3
	v_cmp_ne_u16_sdwa vcc, v11, s97 src0_sel:BYTE_0 src1_sel:DWORD
	v_bfrev_b32_e32 v7, 1
	s_and_saveexec_b64 s[72:73], vcc
	s_cbranch_execz .LBB6_9156
; %bb.9151:                             ;   in Loop: Header=BB6_8564 Depth=3
	v_and_b32_e32 v7, 0x7c, v11
	v_and_b32_e32 v8, 3, v11
	v_cmp_ne_u32_e32 vcc, s95, v7
                                        ; implicit-def: $vgpr7
	s_and_saveexec_b64 s[74:75], vcc
	s_xor_b64 s[74:75], exec, s[74:75]
	s_cbranch_execz .LBB6_9153
; %bb.9152:                             ;   in Loop: Header=BB6_8564 Depth=3
	v_ffbh_u32_e32 v9, v8
	v_min_u32_e32 v9, 32, v9
	v_subrev_u32_e32 v34, 29, v9
	v_bfe_u32 v7, v11, 2, 5
	v_lshlrev_b64 v[34:35], v34, v[0:1]
	v_sub_u32_e32 v9, 30, v9
	v_and_b32_e32 v34, 3, v34
	v_cmp_eq_u32_e32 vcc, 0, v7
	v_cndmask_b32_e32 v7, v7, v9, vcc
	v_cndmask_b32_e32 v8, v8, v34, vcc
	v_bfrev_b32_e32 v34, 28
	v_lshlrev_b32_e32 v9, 24, v11
	v_lshl_add_u32 v7, v7, 23, v34
	v_and_or_b32 v7, v9, s96, v7
	v_lshl_or_b32 v7, v8, 21, v7
                                        ; implicit-def: $vgpr8
.LBB6_9153:                             ;   in Loop: Header=BB6_8564 Depth=3
	s_andn2_saveexec_b64 s[74:75], s[74:75]
; %bb.9154:                             ;   in Loop: Header=BB6_8564 Depth=3
	v_mov_b32_e32 v7, -1
	v_cmp_gt_i16_sdwa vcc, sext(v11), v7 src0_sel:BYTE_0 src1_sel:DWORD
	v_mov_b32_e32 v7, 0xc7600000
	v_mov_b32_e32 v9, 0x47600000
	v_cndmask_b32_e32 v7, v7, v9, vcc
	v_cmp_eq_u32_e32 vcc, 0, v8
	v_mov_b32_e32 v8, 0x7f800001
	v_cndmask_b32_e32 v7, v8, v7, vcc
; %bb.9155:                             ;   in Loop: Header=BB6_8564 Depth=3
	s_or_b64 exec, exec, s[74:75]
.LBB6_9156:                             ;   in Loop: Header=BB6_8564 Depth=3
	s_or_b64 exec, exec, s[72:73]
.LBB6_9157:                             ;   in Loop: Header=BB6_8564 Depth=3
	s_or_b64 exec, exec, s[70:71]
	v_max_f32_e32 v7, v7, v7
	v_max_f32_e32 v6, v6, v6
	;; [unrolled: 1-line block ×3, first 2 shown]
	s_branch .LBB6_9176
.LBB6_9158:                             ;   in Loop: Header=BB6_8564 Depth=3
                                        ; implicit-def: $vgpr8
	s_cbranch_execz .LBB6_9176
; %bb.9159:                             ;   in Loop: Header=BB6_8564 Depth=3
	v_mov_b32_e32 v7, 0
	v_mov_b32_e32 v6, 0
	s_and_saveexec_b64 s[70:71], s[30:31]
	s_cbranch_execz .LBB6_9167
; %bb.9160:                             ;   in Loop: Header=BB6_8564 Depth=3
	v_cmp_ne_u16_sdwa vcc, v3, s97 src0_sel:BYTE_0 src1_sel:DWORD
	v_bfrev_b32_e32 v6, 1
	s_and_saveexec_b64 s[30:31], vcc
	s_cbranch_execz .LBB6_9166
; %bb.9161:                             ;   in Loop: Header=BB6_8564 Depth=3
	v_and_b32_e32 v6, 0x7c, v3
	v_and_b32_e32 v8, 3, v3
	v_cmp_ne_u32_e32 vcc, s95, v6
                                        ; implicit-def: $vgpr6
	s_and_saveexec_b64 s[72:73], vcc
	s_xor_b64 s[72:73], exec, s[72:73]
	s_cbranch_execz .LBB6_9163
; %bb.9162:                             ;   in Loop: Header=BB6_8564 Depth=3
	v_ffbh_u32_e32 v9, v8
	v_min_u32_e32 v9, 32, v9
	v_subrev_u32_e32 v34, 29, v9
	v_bfe_u32 v6, v3, 2, 5
	v_lshlrev_b64 v[34:35], v34, v[50:51]
	v_sub_u32_e32 v9, 30, v9
	v_and_b32_e32 v34, 3, v34
	v_cmp_eq_u32_e32 vcc, 0, v6
	v_cndmask_b32_e32 v6, v6, v9, vcc
	v_cndmask_b32_e32 v8, v8, v34, vcc
	v_bfrev_b32_e32 v34, 28
	v_lshlrev_b32_e32 v9, 24, v3
	v_lshl_add_u32 v6, v6, 23, v34
	v_and_or_b32 v6, v9, s96, v6
	v_lshl_or_b32 v6, v8, 21, v6
                                        ; implicit-def: $vgpr8
.LBB6_9163:                             ;   in Loop: Header=BB6_8564 Depth=3
	s_andn2_saveexec_b64 s[72:73], s[72:73]
; %bb.9164:                             ;   in Loop: Header=BB6_8564 Depth=3
	v_mov_b32_e32 v6, -1
	v_cmp_gt_i16_sdwa vcc, sext(v3), v6 src0_sel:BYTE_0 src1_sel:DWORD
	v_mov_b32_e32 v6, 0xc7600000
	v_mov_b32_e32 v9, 0x47600000
	v_cndmask_b32_e32 v6, v6, v9, vcc
	v_cmp_eq_u32_e32 vcc, 0, v8
	v_mov_b32_e32 v8, 0x7f800001
	v_cndmask_b32_e32 v6, v8, v6, vcc
; %bb.9165:                             ;   in Loop: Header=BB6_8564 Depth=3
	s_or_b64 exec, exec, s[72:73]
.LBB6_9166:                             ;   in Loop: Header=BB6_8564 Depth=3
	s_or_b64 exec, exec, s[30:31]
.LBB6_9167:                             ;   in Loop: Header=BB6_8564 Depth=3
	s_or_b64 exec, exec, s[70:71]
	v_cmp_ne_u16_sdwa vcc, v11, v51 src0_sel:BYTE_0 src1_sel:DWORD
	s_and_saveexec_b64 s[30:31], vcc
	s_cbranch_execz .LBB6_9175
; %bb.9168:                             ;   in Loop: Header=BB6_8564 Depth=3
	v_cmp_ne_u16_sdwa vcc, v11, s97 src0_sel:BYTE_0 src1_sel:DWORD
	v_bfrev_b32_e32 v7, 1
	s_and_saveexec_b64 s[70:71], vcc
	s_cbranch_execz .LBB6_9174
; %bb.9169:                             ;   in Loop: Header=BB6_8564 Depth=3
	v_and_b32_e32 v7, 0x7c, v11
	v_and_b32_e32 v8, 3, v11
	v_cmp_ne_u32_e32 vcc, s95, v7
                                        ; implicit-def: $vgpr7
	s_and_saveexec_b64 s[72:73], vcc
	s_xor_b64 s[72:73], exec, s[72:73]
	s_cbranch_execz .LBB6_9171
; %bb.9170:                             ;   in Loop: Header=BB6_8564 Depth=3
	v_ffbh_u32_e32 v9, v8
	v_min_u32_e32 v9, 32, v9
	v_subrev_u32_e32 v34, 29, v9
	v_bfe_u32 v7, v11, 2, 5
	v_lshlrev_b64 v[34:35], v34, v[0:1]
	v_sub_u32_e32 v1, 30, v9
	v_and_b32_e32 v9, 3, v34
	v_cmp_eq_u32_e32 vcc, 0, v7
	v_cndmask_b32_e32 v1, v7, v1, vcc
	v_cndmask_b32_e32 v7, v8, v9, vcc
	v_bfrev_b32_e32 v9, 28
	v_lshlrev_b32_e32 v8, 24, v11
	v_lshl_add_u32 v1, v1, 23, v9
	v_and_or_b32 v1, v8, s96, v1
	v_lshl_or_b32 v7, v7, 21, v1
                                        ; implicit-def: $vgpr8
.LBB6_9171:                             ;   in Loop: Header=BB6_8564 Depth=3
	s_andn2_saveexec_b64 s[72:73], s[72:73]
; %bb.9172:                             ;   in Loop: Header=BB6_8564 Depth=3
	v_mov_b32_e32 v1, -1
	v_cmp_gt_i16_sdwa vcc, sext(v11), v1 src0_sel:BYTE_0 src1_sel:DWORD
	v_mov_b32_e32 v1, 0xc7600000
	v_mov_b32_e32 v7, 0x47600000
	v_cndmask_b32_e32 v1, v1, v7, vcc
	v_cmp_eq_u32_e32 vcc, 0, v8
	v_mov_b32_e32 v7, 0x7f800001
	v_cndmask_b32_e32 v7, v7, v1, vcc
; %bb.9173:                             ;   in Loop: Header=BB6_8564 Depth=3
	s_or_b64 exec, exec, s[72:73]
.LBB6_9174:                             ;   in Loop: Header=BB6_8564 Depth=3
	s_or_b64 exec, exec, s[70:71]
.LBB6_9175:                             ;   in Loop: Header=BB6_8564 Depth=3
	s_or_b64 exec, exec, s[30:31]
	v_max_f32_e32 v1, v7, v7
	v_max_f32_e32 v6, v6, v6
	v_min_f32_e32 v8, v6, v1
.LBB6_9176:                             ;   in Loop: Header=BB6_8564 Depth=3
	v_and_b32_sdwa v1, v8, s97 dst_sel:DWORD dst_unused:UNUSED_PAD src0_sel:BYTE_3 src1_sel:DWORD
	v_and_b32_e32 v36, 0x7f800000, v8
	v_mov_b32_e32 v37, v51
	v_and_b32_e32 v6, 0x7fffff, v8
	v_mov_b32_e32 v7, v51
	v_or_b32_e32 v34, 0x7b, v1
	v_cmp_ne_u64_e32 vcc, s[52:53], v[36:37]
	s_and_saveexec_b64 s[30:31], vcc
	s_xor_b64 s[70:71], exec, s[30:31]
	s_cbranch_execz .LBB6_9186
; %bb.9177:                             ;   in Loop: Header=BB6_8564 Depth=3
	v_and_b32_e32 v36, 0x7fffffff, v8
	v_mov_b32_e32 v37, v51
	v_cmp_gt_u64_e32 vcc, s[54:55], v[36:37]
	s_and_saveexec_b64 s[72:73], vcc
	s_cbranch_execz .LBB6_9185
; %bb.9178:                             ;   in Loop: Header=BB6_8564 Depth=3
	v_cmp_ne_u32_e32 vcc, 0, v8
	v_mov_b32_e32 v34, 0
	s_and_saveexec_b64 s[74:75], vcc
	s_cbranch_execz .LBB6_9184
; %bb.9179:                             ;   in Loop: Header=BB6_8564 Depth=3
	v_bfe_u32 v8, v8, 23, 8
	v_cmp_eq_u32_e32 vcc, 0, v8
	v_add_u32_e32 v9, 0xffffff81, v8
	v_cmp_gt_u32_e64 s[30:31], s38, v8
	v_sub_u32_e32 v8, 0x71, v8
	v_mov_b32_e32 v35, 0xffffff82
	v_cndmask_b32_e64 v8, 0, v8, s[30:31]
	v_cndmask_b32_e32 v36, v9, v35, vcc
	v_mov_b32_e32 v9, 0x70
	v_cndmask_b32_e32 v37, v8, v9, vcc
	v_add_u32_e32 v8, 21, v37
	v_or_b32_e32 v34, 0x800000, v6
	v_lshlrev_b64 v[8:9], v8, -1
	v_cndmask_b32_e32 v6, v34, v6, vcc
	v_not_b32_e32 v9, v9
	v_not_b32_e32 v8, v8
	v_add_u32_e32 v34, 20, v37
	v_and_b32_e32 v9, 0, v9
	v_and_b32_e32 v8, v6, v8
	v_lshlrev_b64 v[34:35], v34, 1
	v_lshrrev_b64 v[6:7], v37, v[6:7]
	v_cmp_eq_u64_e32 vcc, v[8:9], v[34:35]
	v_lshrrev_b32_e32 v8, 23, v6
	v_add3_u32 v34, v37, v36, v8
	v_bfe_u32 v8, v6, 21, 1
	v_add_u32_e32 v8, -1, v8
	v_cndmask_b32_e32 v8, 0, v8, vcc
	v_add_u32_e32 v8, v8, v6
	v_and_b32_e32 v8, 0x1fffff, v8
	v_add_co_u32_e32 v6, vcc, v8, v6
	v_add_u32_e32 v9, 14, v34
	v_addc_co_u32_e32 v7, vcc, 0, v7, vcc
	v_cmp_ne_u32_e32 vcc, 0, v9
                                        ; implicit-def: $vgpr8
	s_and_saveexec_b64 s[30:31], vcc
	s_xor_b64 s[30:31], exec, s[30:31]
; %bb.9180:                             ;   in Loop: Header=BB6_8564 Depth=3
	v_add_u32_e32 v8, 15, v34
	v_cmp_lt_u64_e32 vcc, s[56:57], v[6:7]
	v_cndmask_b32_e32 v8, v9, v8, vcc
	v_cndmask_b32_e64 v9, 0, 1, vcc
	v_lshrrev_b64 v[6:7], v9, v[6:7]
; %bb.9181:                             ;   in Loop: Header=BB6_8564 Depth=3
	s_andn2_saveexec_b64 vcc, s[30:31]
; %bb.9182:                             ;   in Loop: Header=BB6_8564 Depth=3
	v_bfe_u32 v8, v6, 23, 1
; %bb.9183:                             ;   in Loop: Header=BB6_8564 Depth=3
	s_or_b64 exec, exec, vcc
	v_lshrrev_b64 v[6:7], 21, v[6:7]
	v_cmp_gt_i32_e32 vcc, 32, v8
	v_cndmask_b32_e32 v7, 0, v7, vcc
	v_cndmask_b32_e32 v6, 3, v6, vcc
	v_cmp_eq_u64_e64 s[30:31], 0, v[6:7]
	v_min_i32_e32 v7, 31, v8
	v_cmp_eq_u32_e32 vcc, 0, v8
	v_lshlrev_b32_e32 v7, 2, v7
	v_and_or_b32 v6, v6, 3, v7
	s_and_b64 vcc, vcc, s[30:31]
	v_cndmask_b32_e64 v6, v6, 0, vcc
	v_or_b32_e32 v34, v6, v1
.LBB6_9184:                             ;   in Loop: Header=BB6_8564 Depth=3
	s_or_b64 exec, exec, s[74:75]
.LBB6_9185:                             ;   in Loop: Header=BB6_8564 Depth=3
	s_or_b64 exec, exec, s[72:73]
                                        ; implicit-def: $vgpr8
                                        ; implicit-def: $vgpr6_vgpr7
.LBB6_9186:                             ;   in Loop: Header=BB6_8564 Depth=3
	s_andn2_saveexec_b64 s[30:31], s[70:71]
; %bb.9187:                             ;   in Loop: Header=BB6_8564 Depth=3
	v_or_b32_sdwa v1, v8, s39 dst_sel:DWORD dst_unused:UNUSED_PAD src0_sel:BYTE_3 src1_sel:DWORD
	v_cmp_eq_u64_e32 vcc, 0, v[6:7]
	v_cndmask_b32_e32 v34, v1, v34, vcc
; %bb.9188:                             ;   in Loop: Header=BB6_8564 Depth=3
	s_or_b64 exec, exec, s[30:31]
	v_lshrrev_b16_e32 v8, 8, v50
	v_lshrrev_b16_e32 v6, 8, v0
	v_cmp_ne_u16_e64 s[30:31], 0, v8
	s_and_b64 vcc, exec, s[68:69]
	s_cbranch_vccz .LBB6_9206
; %bb.9189:                             ;   in Loop: Header=BB6_8564 Depth=3
	v_mov_b32_e32 v7, 0
	v_mov_b32_e32 v1, 0
	s_and_saveexec_b64 s[70:71], s[30:31]
	s_cbranch_execz .LBB6_9197
; %bb.9190:                             ;   in Loop: Header=BB6_8564 Depth=3
	v_cmp_ne_u16_e32 vcc, s97, v8
	v_bfrev_b32_e32 v1, 1
	s_and_saveexec_b64 s[72:73], vcc
	s_cbranch_execz .LBB6_9196
; %bb.9191:                             ;   in Loop: Header=BB6_8564 Depth=3
	v_and_b32_e32 v1, 0x7c, v8
	v_and_b32_e32 v35, 3, v8
	v_cmp_ne_u32_e32 vcc, s95, v1
                                        ; implicit-def: $vgpr1
	s_and_saveexec_b64 s[74:75], vcc
	s_xor_b64 s[74:75], exec, s[74:75]
	s_cbranch_execz .LBB6_9193
; %bb.9192:                             ;   in Loop: Header=BB6_8564 Depth=3
	v_ffbh_u32_e32 v36, v35
	v_min_u32_e32 v38, 32, v36
	v_mov_b32_e32 v9, v51
	v_subrev_u32_e32 v36, 29, v38
	v_bfe_u32 v1, v8, 2, 5
	v_lshlrev_b64 v[36:37], v36, v[8:9]
	v_sub_u32_e32 v9, 30, v38
	v_and_b32_e32 v36, 3, v36
	v_cmp_eq_u32_e32 vcc, 0, v1
	v_cndmask_b32_e32 v1, v1, v9, vcc
	v_cndmask_b32_e32 v9, v35, v36, vcc
	v_bfrev_b32_e32 v36, 28
	v_lshlrev_b32_e32 v35, 16, v50
	v_lshl_add_u32 v1, v1, 23, v36
	v_and_or_b32 v1, v35, s96, v1
	v_lshl_or_b32 v1, v9, 21, v1
                                        ; implicit-def: $vgpr35
.LBB6_9193:                             ;   in Loop: Header=BB6_8564 Depth=3
	s_andn2_saveexec_b64 s[74:75], s[74:75]
; %bb.9194:                             ;   in Loop: Header=BB6_8564 Depth=3
	v_cmp_lt_i16_e32 vcc, -1, v50
	v_mov_b32_e32 v1, 0xc7600000
	v_mov_b32_e32 v9, 0x47600000
	v_cndmask_b32_e32 v1, v1, v9, vcc
	v_cmp_eq_u32_e32 vcc, 0, v35
	v_mov_b32_e32 v9, 0x7f800001
	v_cndmask_b32_e32 v1, v9, v1, vcc
; %bb.9195:                             ;   in Loop: Header=BB6_8564 Depth=3
	s_or_b64 exec, exec, s[74:75]
.LBB6_9196:                             ;   in Loop: Header=BB6_8564 Depth=3
	s_or_b64 exec, exec, s[72:73]
.LBB6_9197:                             ;   in Loop: Header=BB6_8564 Depth=3
	s_or_b64 exec, exec, s[70:71]
	v_cmp_ne_u16_e32 vcc, 0, v6
	s_and_saveexec_b64 s[70:71], vcc
	s_cbranch_execz .LBB6_9205
; %bb.9198:                             ;   in Loop: Header=BB6_8564 Depth=3
	v_cmp_ne_u16_e32 vcc, s97, v6
	v_bfrev_b32_e32 v7, 1
	s_and_saveexec_b64 s[72:73], vcc
	s_cbranch_execz .LBB6_9204
; %bb.9199:                             ;   in Loop: Header=BB6_8564 Depth=3
	v_and_b32_e32 v7, 0x7c, v6
	v_and_b32_e32 v9, 3, v6
	v_cmp_ne_u32_e32 vcc, s95, v7
                                        ; implicit-def: $vgpr7
	s_and_saveexec_b64 s[74:75], vcc
	s_xor_b64 s[74:75], exec, s[74:75]
	s_cbranch_execz .LBB6_9201
; %bb.9200:                             ;   in Loop: Header=BB6_8564 Depth=3
	v_ffbh_u32_e32 v36, v9
	v_min_u32_e32 v38, 32, v36
	v_mov_b32_e32 v7, v51
	v_subrev_u32_e32 v36, 29, v38
	v_bfe_u32 v35, v6, 2, 5
	v_lshlrev_b64 v[36:37], v36, v[6:7]
	v_sub_u32_e32 v7, 30, v38
	v_and_b32_e32 v36, 3, v36
	v_cmp_eq_u32_e32 vcc, 0, v35
	v_cndmask_b32_e32 v7, v35, v7, vcc
	v_cndmask_b32_e32 v9, v9, v36, vcc
	v_bfrev_b32_e32 v36, 28
	v_lshlrev_b32_e32 v35, 16, v0
	v_lshl_add_u32 v7, v7, 23, v36
	v_and_or_b32 v7, v35, s96, v7
	v_lshl_or_b32 v7, v9, 21, v7
                                        ; implicit-def: $vgpr9
.LBB6_9201:                             ;   in Loop: Header=BB6_8564 Depth=3
	s_andn2_saveexec_b64 s[74:75], s[74:75]
; %bb.9202:                             ;   in Loop: Header=BB6_8564 Depth=3
	v_cmp_lt_i16_e32 vcc, -1, v0
	v_mov_b32_e32 v7, 0xc7600000
	v_mov_b32_e32 v35, 0x47600000
	v_cndmask_b32_e32 v7, v7, v35, vcc
	v_cmp_eq_u32_e32 vcc, 0, v9
	v_mov_b32_e32 v9, 0x7f800001
	v_cndmask_b32_e32 v7, v9, v7, vcc
; %bb.9203:                             ;   in Loop: Header=BB6_8564 Depth=3
	s_or_b64 exec, exec, s[74:75]
.LBB6_9204:                             ;   in Loop: Header=BB6_8564 Depth=3
	s_or_b64 exec, exec, s[72:73]
.LBB6_9205:                             ;   in Loop: Header=BB6_8564 Depth=3
	s_or_b64 exec, exec, s[70:71]
	v_max_f32_e32 v7, v7, v7
	v_max_f32_e32 v1, v1, v1
	;; [unrolled: 1-line block ×3, first 2 shown]
	s_branch .LBB6_9224
.LBB6_9206:                             ;   in Loop: Header=BB6_8564 Depth=3
                                        ; implicit-def: $vgpr1
	s_cbranch_execz .LBB6_9224
; %bb.9207:                             ;   in Loop: Header=BB6_8564 Depth=3
	v_mov_b32_e32 v7, 0
	v_mov_b32_e32 v9, 0
	s_and_saveexec_b64 s[70:71], s[30:31]
	s_cbranch_execz .LBB6_9215
; %bb.9208:                             ;   in Loop: Header=BB6_8564 Depth=3
	v_cmp_ne_u16_e32 vcc, s97, v8
	v_bfrev_b32_e32 v9, 1
	s_and_saveexec_b64 s[30:31], vcc
	s_cbranch_execz .LBB6_9214
; %bb.9209:                             ;   in Loop: Header=BB6_8564 Depth=3
	v_and_b32_e32 v9, 0x7c, v8
	v_and_b32_e32 v1, 3, v8
	v_cmp_ne_u32_e32 vcc, s95, v9
                                        ; implicit-def: $vgpr9
	s_and_saveexec_b64 s[72:73], vcc
	s_xor_b64 s[72:73], exec, s[72:73]
	s_cbranch_execz .LBB6_9211
; %bb.9210:                             ;   in Loop: Header=BB6_8564 Depth=3
	v_ffbh_u32_e32 v36, v1
	v_min_u32_e32 v36, 32, v36
	v_mov_b32_e32 v9, v51
	v_subrev_u32_e32 v37, 29, v36
	v_bfe_u32 v35, v8, 2, 5
	v_lshlrev_b64 v[8:9], v37, v[8:9]
	v_sub_u32_e32 v9, 30, v36
	v_cmp_eq_u32_e32 vcc, 0, v35
	v_and_b32_e32 v8, 3, v8
	v_cndmask_b32_e32 v9, v35, v9, vcc
	v_bfrev_b32_e32 v35, 28
	v_cndmask_b32_e32 v1, v1, v8, vcc
	v_lshlrev_b32_e32 v8, 16, v50
	v_lshl_add_u32 v9, v9, 23, v35
	v_and_or_b32 v8, v8, s96, v9
	v_lshl_or_b32 v9, v1, 21, v8
                                        ; implicit-def: $vgpr1
.LBB6_9211:                             ;   in Loop: Header=BB6_8564 Depth=3
	s_andn2_saveexec_b64 s[72:73], s[72:73]
; %bb.9212:                             ;   in Loop: Header=BB6_8564 Depth=3
	v_cmp_lt_i16_e32 vcc, -1, v50
	v_mov_b32_e32 v8, 0xc7600000
	v_mov_b32_e32 v9, 0x47600000
	v_cndmask_b32_e32 v8, v8, v9, vcc
	v_cmp_eq_u32_e32 vcc, 0, v1
	v_mov_b32_e32 v1, 0x7f800001
	v_cndmask_b32_e32 v9, v1, v8, vcc
; %bb.9213:                             ;   in Loop: Header=BB6_8564 Depth=3
	s_or_b64 exec, exec, s[72:73]
.LBB6_9214:                             ;   in Loop: Header=BB6_8564 Depth=3
	s_or_b64 exec, exec, s[30:31]
.LBB6_9215:                             ;   in Loop: Header=BB6_8564 Depth=3
	s_or_b64 exec, exec, s[70:71]
	v_cmp_ne_u16_e32 vcc, 0, v6
	s_and_saveexec_b64 s[30:31], vcc
	s_cbranch_execz .LBB6_9223
; %bb.9216:                             ;   in Loop: Header=BB6_8564 Depth=3
	v_cmp_ne_u16_e32 vcc, s97, v6
	v_bfrev_b32_e32 v7, 1
	s_and_saveexec_b64 s[70:71], vcc
	s_cbranch_execz .LBB6_9222
; %bb.9217:                             ;   in Loop: Header=BB6_8564 Depth=3
	v_and_b32_e32 v1, 0x7c, v6
	v_and_b32_e32 v8, 3, v6
	v_cmp_ne_u32_e32 vcc, s95, v1
                                        ; implicit-def: $vgpr7
	s_and_saveexec_b64 s[72:73], vcc
	s_xor_b64 s[72:73], exec, s[72:73]
	s_cbranch_execz .LBB6_9219
; %bb.9218:                             ;   in Loop: Header=BB6_8564 Depth=3
	v_ffbh_u32_e32 v35, v8
	v_min_u32_e32 v35, 32, v35
	v_mov_b32_e32 v7, v51
	v_subrev_u32_e32 v36, 29, v35
	v_bfe_u32 v1, v6, 2, 5
	v_lshlrev_b64 v[6:7], v36, v[6:7]
	v_sub_u32_e32 v7, 30, v35
	v_cmp_eq_u32_e32 vcc, 0, v1
	v_cndmask_b32_e32 v1, v1, v7, vcc
	v_bfrev_b32_e32 v7, 28
	v_and_b32_e32 v6, 3, v6
	v_lshlrev_b32_e32 v0, 16, v0
	v_lshl_add_u32 v1, v1, 23, v7
	v_cndmask_b32_e32 v6, v8, v6, vcc
	v_and_or_b32 v0, v0, s96, v1
	v_lshl_or_b32 v7, v6, 21, v0
                                        ; implicit-def: $vgpr8
                                        ; implicit-def: $vgpr0_vgpr1
.LBB6_9219:                             ;   in Loop: Header=BB6_8564 Depth=3
	s_andn2_saveexec_b64 s[72:73], s[72:73]
; %bb.9220:                             ;   in Loop: Header=BB6_8564 Depth=3
	v_cmp_lt_i16_e32 vcc, -1, v0
	v_mov_b32_e32 v0, 0xc7600000
	v_mov_b32_e32 v1, 0x47600000
	v_cndmask_b32_e32 v0, v0, v1, vcc
	v_cmp_eq_u32_e32 vcc, 0, v8
	v_mov_b32_e32 v1, 0x7f800001
	v_cndmask_b32_e32 v7, v1, v0, vcc
; %bb.9221:                             ;   in Loop: Header=BB6_8564 Depth=3
	s_or_b64 exec, exec, s[72:73]
.LBB6_9222:                             ;   in Loop: Header=BB6_8564 Depth=3
	s_or_b64 exec, exec, s[70:71]
.LBB6_9223:                             ;   in Loop: Header=BB6_8564 Depth=3
	s_or_b64 exec, exec, s[30:31]
	v_max_f32_e32 v0, v7, v7
	v_max_f32_e32 v1, v9, v9
	v_min_f32_e32 v1, v1, v0
.LBB6_9224:                             ;   in Loop: Header=BB6_8564 Depth=3
	v_and_b32_sdwa v6, v1, s97 dst_sel:DWORD dst_unused:UNUSED_PAD src0_sel:BYTE_3 src1_sel:DWORD
	v_and_b32_e32 v8, 0x7f800000, v1
	v_mov_b32_e32 v9, v51
	v_and_b32_e32 v50, 0x7fffff, v1
	v_or_b32_e32 v7, 0x7b, v6
	v_cmp_ne_u64_e32 vcc, s[52:53], v[8:9]
	s_and_saveexec_b64 s[30:31], vcc
	s_xor_b64 s[70:71], exec, s[30:31]
	s_cbranch_execz .LBB6_9234
; %bb.9225:                             ;   in Loop: Header=BB6_8564 Depth=3
	v_and_b32_e32 v8, 0x7fffffff, v1
	v_mov_b32_e32 v9, v51
	v_cmp_gt_u64_e32 vcc, s[54:55], v[8:9]
	s_and_saveexec_b64 s[72:73], vcc
	s_cbranch_execz .LBB6_9233
; %bb.9226:                             ;   in Loop: Header=BB6_8564 Depth=3
	v_cmp_ne_u32_e32 vcc, 0, v1
	v_mov_b32_e32 v7, 0
	s_and_saveexec_b64 s[74:75], vcc
	s_cbranch_execz .LBB6_9232
; %bb.9227:                             ;   in Loop: Header=BB6_8564 Depth=3
	v_bfe_u32 v0, v1, 23, 8
	v_cmp_eq_u32_e32 vcc, 0, v0
	v_add_u32_e32 v1, 0xffffff81, v0
	v_cmp_gt_u32_e64 s[30:31], s38, v0
	v_sub_u32_e32 v0, 0x71, v0
	v_mov_b32_e32 v8, 0xffffff82
	v_cndmask_b32_e64 v0, 0, v0, s[30:31]
	v_cndmask_b32_e32 v35, v1, v8, vcc
	v_mov_b32_e32 v1, 0x70
	v_cndmask_b32_e32 v36, v0, v1, vcc
	v_add_u32_e32 v0, 21, v36
	v_or_b32_e32 v7, 0x800000, v50
	v_lshlrev_b64 v[0:1], v0, -1
	v_cndmask_b32_e32 v50, v7, v50, vcc
	v_not_b32_e32 v1, v1
	v_not_b32_e32 v0, v0
	v_add_u32_e32 v7, 20, v36
	v_and_b32_e32 v1, 0, v1
	v_and_b32_e32 v0, v50, v0
	v_lshlrev_b64 v[8:9], v7, 1
	v_cmp_eq_u64_e32 vcc, v[0:1], v[8:9]
	v_lshrrev_b64 v[0:1], v36, v[50:51]
	v_lshrrev_b32_e32 v7, 23, v0
	v_add3_u32 v9, v36, v35, v7
	v_bfe_u32 v7, v0, 21, 1
	v_add_u32_e32 v7, -1, v7
	v_cndmask_b32_e32 v7, 0, v7, vcc
	v_add_u32_e32 v7, v7, v0
	v_and_b32_e32 v7, 0x1fffff, v7
	v_add_co_u32_e32 v0, vcc, v7, v0
	v_add_u32_e32 v8, 14, v9
	v_addc_co_u32_e32 v1, vcc, 0, v1, vcc
	v_cmp_ne_u32_e32 vcc, 0, v8
                                        ; implicit-def: $vgpr7
	s_and_saveexec_b64 s[30:31], vcc
	s_xor_b64 s[30:31], exec, s[30:31]
; %bb.9228:                             ;   in Loop: Header=BB6_8564 Depth=3
	v_add_u32_e32 v7, 15, v9
	v_cmp_lt_u64_e32 vcc, s[56:57], v[0:1]
	v_cndmask_b32_e32 v7, v8, v7, vcc
	v_cndmask_b32_e64 v8, 0, 1, vcc
	v_lshrrev_b64 v[0:1], v8, v[0:1]
; %bb.9229:                             ;   in Loop: Header=BB6_8564 Depth=3
	s_andn2_saveexec_b64 vcc, s[30:31]
; %bb.9230:                             ;   in Loop: Header=BB6_8564 Depth=3
	v_bfe_u32 v7, v0, 23, 1
; %bb.9231:                             ;   in Loop: Header=BB6_8564 Depth=3
	s_or_b64 exec, exec, vcc
	v_lshrrev_b64 v[0:1], 21, v[0:1]
	v_cmp_gt_i32_e32 vcc, 32, v7
	v_cndmask_b32_e32 v1, 0, v1, vcc
	v_cndmask_b32_e32 v0, 3, v0, vcc
	v_cmp_eq_u64_e64 s[30:31], 0, v[0:1]
	v_min_i32_e32 v1, 31, v7
	v_cmp_eq_u32_e32 vcc, 0, v7
	v_lshlrev_b32_e32 v1, 2, v1
	v_and_or_b32 v0, v0, 3, v1
	s_and_b64 vcc, vcc, s[30:31]
	v_cndmask_b32_e64 v0, v0, 0, vcc
	v_or_b32_e32 v7, v0, v6
.LBB6_9232:                             ;   in Loop: Header=BB6_8564 Depth=3
	s_or_b64 exec, exec, s[74:75]
.LBB6_9233:                             ;   in Loop: Header=BB6_8564 Depth=3
	s_or_b64 exec, exec, s[72:73]
                                        ; implicit-def: $vgpr1
.LBB6_9234:                             ;   in Loop: Header=BB6_8564 Depth=3
	s_andn2_saveexec_b64 s[30:31], s[70:71]
; %bb.9235:                             ;   in Loop: Header=BB6_8564 Depth=3
	v_or_b32_sdwa v0, v1, s39 dst_sel:DWORD dst_unused:UNUSED_PAD src0_sel:BYTE_3 src1_sel:DWORD
	v_cmp_eq_u64_e32 vcc, 0, v[50:51]
	v_cndmask_b32_e32 v7, v0, v7, vcc
; %bb.9236:                             ;   in Loop: Header=BB6_8564 Depth=3
	s_or_b64 exec, exec, s[30:31]
	v_lshrrev_b32_e32 v6, 16, v3
	v_lshrrev_b32_e32 v0, 16, v11
	v_cmp_ne_u16_sdwa s[30:31], v6, v51 src0_sel:BYTE_0 src1_sel:DWORD
	s_and_b64 vcc, exec, s[68:69]
	s_cbranch_vccz .LBB6_9254
; %bb.9237:                             ;   in Loop: Header=BB6_8564 Depth=3
	v_mov_b32_e32 v8, 0
	v_mov_b32_e32 v1, 0
	s_and_saveexec_b64 s[70:71], s[30:31]
	s_cbranch_execz .LBB6_9245
; %bb.9238:                             ;   in Loop: Header=BB6_8564 Depth=3
	v_cmp_ne_u16_sdwa vcc, v6, s97 src0_sel:BYTE_0 src1_sel:DWORD
	v_bfrev_b32_e32 v1, 1
	s_and_saveexec_b64 s[72:73], vcc
	s_cbranch_execz .LBB6_9244
; %bb.9239:                             ;   in Loop: Header=BB6_8564 Depth=3
	v_and_b32_e32 v1, 0x7c0000, v3
	v_bfe_u32 v9, v3, 16, 2
	v_cmp_ne_u32_e32 vcc, s36, v1
                                        ; implicit-def: $vgpr1
	s_and_saveexec_b64 s[74:75], vcc
	s_xor_b64 s[74:75], exec, s[74:75]
	s_cbranch_execz .LBB6_9241
; %bb.9240:                             ;   in Loop: Header=BB6_8564 Depth=3
	v_ffbh_u32_e32 v35, v9
	v_min_u32_e32 v35, 32, v35
	v_subrev_u32_e32 v36, 29, v35
	v_bfe_u32 v1, v3, 18, 5
	v_lshlrev_b64 v[36:37], v36, v[6:7]
	v_sub_u32_e32 v35, 30, v35
	v_and_b32_e32 v36, 3, v36
	v_cmp_eq_u32_e32 vcc, 0, v1
	v_cndmask_b32_e32 v1, v1, v35, vcc
	v_cndmask_b32_e32 v9, v9, v36, vcc
	v_bfrev_b32_e32 v36, 28
	v_lshlrev_b32_e32 v35, 24, v6
	v_lshl_add_u32 v1, v1, 23, v36
	v_and_or_b32 v1, v35, s96, v1
	v_lshl_or_b32 v1, v9, 21, v1
                                        ; implicit-def: $vgpr9
.LBB6_9241:                             ;   in Loop: Header=BB6_8564 Depth=3
	s_andn2_saveexec_b64 s[74:75], s[74:75]
; %bb.9242:                             ;   in Loop: Header=BB6_8564 Depth=3
	v_mov_b32_e32 v1, -1
	v_cmp_gt_i16_sdwa vcc, sext(v6), v1 src0_sel:BYTE_0 src1_sel:DWORD
	v_mov_b32_e32 v1, 0xc7600000
	v_mov_b32_e32 v35, 0x47600000
	v_cndmask_b32_e32 v1, v1, v35, vcc
	v_cmp_eq_u32_e32 vcc, 0, v9
	v_mov_b32_e32 v9, 0x7f800001
	v_cndmask_b32_e32 v1, v9, v1, vcc
; %bb.9243:                             ;   in Loop: Header=BB6_8564 Depth=3
	s_or_b64 exec, exec, s[74:75]
.LBB6_9244:                             ;   in Loop: Header=BB6_8564 Depth=3
	s_or_b64 exec, exec, s[72:73]
.LBB6_9245:                             ;   in Loop: Header=BB6_8564 Depth=3
	s_or_b64 exec, exec, s[70:71]
	v_cmp_ne_u16_sdwa vcc, v0, v51 src0_sel:BYTE_0 src1_sel:DWORD
	s_and_saveexec_b64 s[70:71], vcc
	s_cbranch_execz .LBB6_9253
; %bb.9246:                             ;   in Loop: Header=BB6_8564 Depth=3
	v_cmp_ne_u16_sdwa vcc, v0, s97 src0_sel:BYTE_0 src1_sel:DWORD
	v_bfrev_b32_e32 v8, 1
	s_and_saveexec_b64 s[72:73], vcc
	s_cbranch_execz .LBB6_9252
; %bb.9247:                             ;   in Loop: Header=BB6_8564 Depth=3
	v_and_b32_e32 v8, 0x7c0000, v11
	v_bfe_u32 v9, v11, 16, 2
	v_cmp_ne_u32_e32 vcc, s36, v8
                                        ; implicit-def: $vgpr8
	s_and_saveexec_b64 s[74:75], vcc
	s_xor_b64 s[74:75], exec, s[74:75]
	s_cbranch_execz .LBB6_9249
; %bb.9248:                             ;   in Loop: Header=BB6_8564 Depth=3
	v_ffbh_u32_e32 v35, v9
	v_min_u32_e32 v35, 32, v35
	v_subrev_u32_e32 v36, 29, v35
	v_bfe_u32 v8, v11, 18, 5
	v_lshlrev_b64 v[36:37], v36, v[0:1]
	v_sub_u32_e32 v35, 30, v35
	v_and_b32_e32 v36, 3, v36
	v_cmp_eq_u32_e32 vcc, 0, v8
	v_cndmask_b32_e32 v8, v8, v35, vcc
	v_cndmask_b32_e32 v9, v9, v36, vcc
	v_bfrev_b32_e32 v36, 28
	v_lshlrev_b32_e32 v35, 24, v0
	v_lshl_add_u32 v8, v8, 23, v36
	v_and_or_b32 v8, v35, s96, v8
	v_lshl_or_b32 v8, v9, 21, v8
                                        ; implicit-def: $vgpr9
.LBB6_9249:                             ;   in Loop: Header=BB6_8564 Depth=3
	s_andn2_saveexec_b64 s[74:75], s[74:75]
; %bb.9250:                             ;   in Loop: Header=BB6_8564 Depth=3
	v_mov_b32_e32 v8, -1
	v_cmp_gt_i16_sdwa vcc, sext(v0), v8 src0_sel:BYTE_0 src1_sel:DWORD
	v_mov_b32_e32 v8, 0xc7600000
	v_mov_b32_e32 v35, 0x47600000
	v_cndmask_b32_e32 v8, v8, v35, vcc
	v_cmp_eq_u32_e32 vcc, 0, v9
	v_mov_b32_e32 v9, 0x7f800001
	v_cndmask_b32_e32 v8, v9, v8, vcc
; %bb.9251:                             ;   in Loop: Header=BB6_8564 Depth=3
	s_or_b64 exec, exec, s[74:75]
.LBB6_9252:                             ;   in Loop: Header=BB6_8564 Depth=3
	s_or_b64 exec, exec, s[72:73]
.LBB6_9253:                             ;   in Loop: Header=BB6_8564 Depth=3
	s_or_b64 exec, exec, s[70:71]
	v_max_f32_e32 v8, v8, v8
	v_max_f32_e32 v1, v1, v1
	v_max_f32_e32 v1, v1, v8
	s_branch .LBB6_9272
.LBB6_9254:                             ;   in Loop: Header=BB6_8564 Depth=3
                                        ; implicit-def: $vgpr1
	s_cbranch_execz .LBB6_9272
; %bb.9255:                             ;   in Loop: Header=BB6_8564 Depth=3
	v_mov_b32_e32 v8, 0
	v_mov_b32_e32 v1, 0
	s_and_saveexec_b64 s[70:71], s[30:31]
	s_cbranch_execz .LBB6_9263
; %bb.9256:                             ;   in Loop: Header=BB6_8564 Depth=3
	v_cmp_ne_u16_sdwa vcc, v6, s97 src0_sel:BYTE_0 src1_sel:DWORD
	v_bfrev_b32_e32 v1, 1
	s_and_saveexec_b64 s[30:31], vcc
	s_cbranch_execz .LBB6_9262
; %bb.9257:                             ;   in Loop: Header=BB6_8564 Depth=3
	v_and_b32_e32 v1, 0x7c0000, v3
	v_bfe_u32 v9, v3, 16, 2
	v_cmp_ne_u32_e32 vcc, s36, v1
                                        ; implicit-def: $vgpr1
	s_and_saveexec_b64 s[72:73], vcc
	s_xor_b64 s[72:73], exec, s[72:73]
	s_cbranch_execz .LBB6_9259
; %bb.9258:                             ;   in Loop: Header=BB6_8564 Depth=3
	v_ffbh_u32_e32 v35, v9
	v_bfe_u32 v1, v3, 18, 5
	v_min_u32_e32 v35, 32, v35
	v_subrev_u32_e32 v36, 29, v35
	v_sub_u32_e32 v35, 30, v35
	v_cmp_eq_u32_e32 vcc, 0, v1
	v_lshlrev_b64 v[36:37], v36, v[6:7]
	v_cndmask_b32_e32 v1, v1, v35, vcc
	v_bfrev_b32_e32 v35, 28
	v_and_b32_e32 v36, 3, v36
	v_lshlrev_b32_e32 v6, 24, v6
	v_lshl_add_u32 v1, v1, 23, v35
	v_cndmask_b32_e32 v9, v9, v36, vcc
	v_and_or_b32 v1, v6, s96, v1
	v_lshl_or_b32 v1, v9, 21, v1
                                        ; implicit-def: $vgpr9
                                        ; implicit-def: $vgpr6
.LBB6_9259:                             ;   in Loop: Header=BB6_8564 Depth=3
	s_andn2_saveexec_b64 s[72:73], s[72:73]
; %bb.9260:                             ;   in Loop: Header=BB6_8564 Depth=3
	v_mov_b32_e32 v1, -1
	v_cmp_gt_i16_sdwa vcc, sext(v6), v1 src0_sel:BYTE_0 src1_sel:DWORD
	v_mov_b32_e32 v1, 0xc7600000
	v_mov_b32_e32 v6, 0x47600000
	v_cndmask_b32_e32 v1, v1, v6, vcc
	v_cmp_eq_u32_e32 vcc, 0, v9
	v_mov_b32_e32 v6, 0x7f800001
	v_cndmask_b32_e32 v1, v6, v1, vcc
; %bb.9261:                             ;   in Loop: Header=BB6_8564 Depth=3
	s_or_b64 exec, exec, s[72:73]
.LBB6_9262:                             ;   in Loop: Header=BB6_8564 Depth=3
	s_or_b64 exec, exec, s[30:31]
.LBB6_9263:                             ;   in Loop: Header=BB6_8564 Depth=3
	s_or_b64 exec, exec, s[70:71]
	v_cmp_ne_u16_sdwa vcc, v0, v51 src0_sel:BYTE_0 src1_sel:DWORD
	s_and_saveexec_b64 s[30:31], vcc
	s_cbranch_execz .LBB6_9271
; %bb.9264:                             ;   in Loop: Header=BB6_8564 Depth=3
	v_cmp_ne_u16_sdwa vcc, v0, s97 src0_sel:BYTE_0 src1_sel:DWORD
	v_bfrev_b32_e32 v8, 1
	s_and_saveexec_b64 s[70:71], vcc
	s_cbranch_execz .LBB6_9270
; %bb.9265:                             ;   in Loop: Header=BB6_8564 Depth=3
	v_and_b32_e32 v8, 0x7c0000, v11
	v_bfe_u32 v6, v11, 16, 2
	v_cmp_ne_u32_e32 vcc, s36, v8
                                        ; implicit-def: $vgpr8
	s_and_saveexec_b64 s[72:73], vcc
	s_xor_b64 s[72:73], exec, s[72:73]
	s_cbranch_execz .LBB6_9267
; %bb.9266:                             ;   in Loop: Header=BB6_8564 Depth=3
	v_ffbh_u32_e32 v8, v6
	v_min_u32_e32 v36, 32, v8
	v_subrev_u32_e32 v8, 29, v36
	v_bfe_u32 v35, v11, 18, 5
	v_lshlrev_b64 v[8:9], v8, v[0:1]
	v_sub_u32_e32 v9, 30, v36
	v_and_b32_e32 v8, 3, v8
	v_cmp_eq_u32_e32 vcc, 0, v35
	v_cndmask_b32_e32 v9, v35, v9, vcc
	v_cndmask_b32_e32 v6, v6, v8, vcc
	v_bfrev_b32_e32 v8, 28
	v_lshlrev_b32_e32 v0, 24, v0
	v_lshl_add_u32 v8, v9, 23, v8
	v_and_or_b32 v0, v0, s96, v8
	v_lshl_or_b32 v8, v6, 21, v0
                                        ; implicit-def: $vgpr6
                                        ; implicit-def: $vgpr0
.LBB6_9267:                             ;   in Loop: Header=BB6_8564 Depth=3
	s_andn2_saveexec_b64 s[72:73], s[72:73]
; %bb.9268:                             ;   in Loop: Header=BB6_8564 Depth=3
	v_mov_b32_e32 v8, -1
	v_cmp_gt_i16_sdwa vcc, sext(v0), v8 src0_sel:BYTE_0 src1_sel:DWORD
	v_mov_b32_e32 v0, 0xc7600000
	v_mov_b32_e32 v8, 0x47600000
	v_cndmask_b32_e32 v0, v0, v8, vcc
	v_cmp_eq_u32_e32 vcc, 0, v6
	v_mov_b32_e32 v6, 0x7f800001
	v_cndmask_b32_e32 v8, v6, v0, vcc
; %bb.9269:                             ;   in Loop: Header=BB6_8564 Depth=3
	s_or_b64 exec, exec, s[72:73]
.LBB6_9270:                             ;   in Loop: Header=BB6_8564 Depth=3
	s_or_b64 exec, exec, s[70:71]
.LBB6_9271:                             ;   in Loop: Header=BB6_8564 Depth=3
	s_or_b64 exec, exec, s[30:31]
	v_max_f32_e32 v0, v8, v8
	v_max_f32_e32 v1, v1, v1
	v_min_f32_e32 v1, v1, v0
.LBB6_9272:                             ;   in Loop: Header=BB6_8564 Depth=3
	v_and_b32_sdwa v6, v1, s97 dst_sel:DWORD dst_unused:UNUSED_PAD src0_sel:BYTE_3 src1_sel:DWORD
	v_and_b32_e32 v36, 0x7f800000, v1
	v_mov_b32_e32 v37, v51
	v_and_b32_e32 v50, 0x7fffff, v1
	v_or_b32_e32 v8, 0x7b, v6
	v_cmp_ne_u64_e32 vcc, s[52:53], v[36:37]
	s_and_saveexec_b64 s[30:31], vcc
	s_xor_b64 s[70:71], exec, s[30:31]
	s_cbranch_execz .LBB6_9282
; %bb.9273:                             ;   in Loop: Header=BB6_8564 Depth=3
	v_and_b32_e32 v36, 0x7fffffff, v1
	v_mov_b32_e32 v37, v51
	v_cmp_gt_u64_e32 vcc, s[54:55], v[36:37]
	s_and_saveexec_b64 s[72:73], vcc
	s_cbranch_execz .LBB6_9281
; %bb.9274:                             ;   in Loop: Header=BB6_8564 Depth=3
	v_cmp_ne_u32_e32 vcc, 0, v1
	v_mov_b32_e32 v8, 0
	s_and_saveexec_b64 s[74:75], vcc
	s_cbranch_execz .LBB6_9280
; %bb.9275:                             ;   in Loop: Header=BB6_8564 Depth=3
	v_bfe_u32 v0, v1, 23, 8
	v_cmp_eq_u32_e32 vcc, 0, v0
	v_add_u32_e32 v1, 0xffffff81, v0
	v_cmp_gt_u32_e64 s[30:31], s38, v0
	v_sub_u32_e32 v0, 0x71, v0
	v_mov_b32_e32 v9, 0xffffff82
	v_cndmask_b32_e64 v0, 0, v0, s[30:31]
	v_cndmask_b32_e32 v35, v1, v9, vcc
	v_mov_b32_e32 v1, 0x70
	v_cndmask_b32_e32 v36, v0, v1, vcc
	v_add_u32_e32 v0, 21, v36
	v_or_b32_e32 v8, 0x800000, v50
	v_lshlrev_b64 v[0:1], v0, -1
	v_cndmask_b32_e32 v50, v8, v50, vcc
	v_not_b32_e32 v1, v1
	v_not_b32_e32 v0, v0
	v_add_u32_e32 v8, 20, v36
	v_and_b32_e32 v1, 0, v1
	v_and_b32_e32 v0, v50, v0
	v_lshlrev_b64 v[8:9], v8, 1
	v_cmp_eq_u64_e32 vcc, v[0:1], v[8:9]
	v_lshrrev_b64 v[0:1], v36, v[50:51]
	v_lshrrev_b32_e32 v8, 23, v0
	v_add3_u32 v35, v36, v35, v8
	v_bfe_u32 v8, v0, 21, 1
	v_add_u32_e32 v8, -1, v8
	v_cndmask_b32_e32 v8, 0, v8, vcc
	v_add_u32_e32 v8, v8, v0
	v_and_b32_e32 v8, 0x1fffff, v8
	v_add_co_u32_e32 v0, vcc, v8, v0
	v_add_u32_e32 v9, 14, v35
	v_addc_co_u32_e32 v1, vcc, 0, v1, vcc
	v_cmp_ne_u32_e32 vcc, 0, v9
                                        ; implicit-def: $vgpr8
	s_and_saveexec_b64 s[30:31], vcc
	s_xor_b64 s[30:31], exec, s[30:31]
; %bb.9276:                             ;   in Loop: Header=BB6_8564 Depth=3
	v_add_u32_e32 v8, 15, v35
	v_cmp_lt_u64_e32 vcc, s[56:57], v[0:1]
	v_cndmask_b32_e32 v8, v9, v8, vcc
	v_cndmask_b32_e64 v9, 0, 1, vcc
	v_lshrrev_b64 v[0:1], v9, v[0:1]
; %bb.9277:                             ;   in Loop: Header=BB6_8564 Depth=3
	s_andn2_saveexec_b64 vcc, s[30:31]
; %bb.9278:                             ;   in Loop: Header=BB6_8564 Depth=3
	v_bfe_u32 v8, v0, 23, 1
; %bb.9279:                             ;   in Loop: Header=BB6_8564 Depth=3
	s_or_b64 exec, exec, vcc
	v_lshrrev_b64 v[0:1], 21, v[0:1]
	v_cmp_gt_i32_e32 vcc, 32, v8
	v_cndmask_b32_e32 v1, 0, v1, vcc
	v_cndmask_b32_e32 v0, 3, v0, vcc
	v_cmp_eq_u64_e64 s[30:31], 0, v[0:1]
	v_min_i32_e32 v1, 31, v8
	v_cmp_eq_u32_e32 vcc, 0, v8
	v_lshlrev_b32_e32 v1, 2, v1
	v_and_or_b32 v0, v0, 3, v1
	s_and_b64 vcc, vcc, s[30:31]
	v_cndmask_b32_e64 v0, v0, 0, vcc
	v_or_b32_e32 v8, v0, v6
.LBB6_9280:                             ;   in Loop: Header=BB6_8564 Depth=3
	s_or_b64 exec, exec, s[74:75]
.LBB6_9281:                             ;   in Loop: Header=BB6_8564 Depth=3
	s_or_b64 exec, exec, s[72:73]
                                        ; implicit-def: $vgpr1
.LBB6_9282:                             ;   in Loop: Header=BB6_8564 Depth=3
	s_andn2_saveexec_b64 s[30:31], s[70:71]
; %bb.9283:                             ;   in Loop: Header=BB6_8564 Depth=3
	v_or_b32_sdwa v0, v1, s39 dst_sel:DWORD dst_unused:UNUSED_PAD src0_sel:BYTE_3 src1_sel:DWORD
	v_cmp_eq_u64_e32 vcc, 0, v[50:51]
	v_cndmask_b32_e32 v8, v0, v8, vcc
; %bb.9284:                             ;   in Loop: Header=BB6_8564 Depth=3
	s_or_b64 exec, exec, s[30:31]
	v_lshrrev_b32_e32 v6, 24, v3
	v_lshrrev_b32_e32 v0, 24, v11
	v_cmp_lt_u64_e64 s[30:31], s[42:43], v[2:3]
	s_and_b64 vcc, exec, s[68:69]
	s_cbranch_vccz .LBB6_9302
; %bb.9285:                             ;   in Loop: Header=BB6_8564 Depth=3
	v_mov_b32_e32 v9, 0
	v_mov_b32_e32 v1, 0
	s_and_saveexec_b64 s[70:71], s[30:31]
	s_cbranch_execz .LBB6_9293
; %bb.9286:                             ;   in Loop: Header=BB6_8564 Depth=3
	v_cmp_ne_u32_e32 vcc, s97, v6
	v_bfrev_b32_e32 v1, 1
	s_and_saveexec_b64 s[72:73], vcc
	s_cbranch_execz .LBB6_9292
; %bb.9287:                             ;   in Loop: Header=BB6_8564 Depth=3
	v_and_b32_e32 v1, 0x7c000000, v3
	v_bfe_u32 v35, v3, 24, 2
	v_cmp_ne_u32_e32 vcc, s37, v1
                                        ; implicit-def: $vgpr1
	s_and_saveexec_b64 s[74:75], vcc
	s_xor_b64 s[74:75], exec, s[74:75]
	s_cbranch_execz .LBB6_9289
; %bb.9288:                             ;   in Loop: Header=BB6_8564 Depth=3
	v_ffbh_u32_e32 v36, v35
	v_min_u32_e32 v38, 32, v36
	v_subrev_u32_e32 v36, 29, v38
	v_bfe_u32 v1, v3, 26, 5
	v_lshlrev_b64 v[36:37], v36, v[6:7]
	v_sub_u32_e32 v37, 30, v38
	v_and_b32_e32 v36, 3, v36
	v_cmp_eq_u32_e32 vcc, 0, v1
	v_cndmask_b32_e32 v1, v1, v37, vcc
	v_cndmask_b32_e32 v35, v35, v36, vcc
	v_bfrev_b32_e32 v36, 28
	v_lshl_add_u32 v1, v1, 23, v36
	v_and_or_b32 v1, v3, s96, v1
	v_lshl_or_b32 v1, v35, 21, v1
                                        ; implicit-def: $vgpr35
.LBB6_9289:                             ;   in Loop: Header=BB6_8564 Depth=3
	s_andn2_saveexec_b64 s[74:75], s[74:75]
; %bb.9290:                             ;   in Loop: Header=BB6_8564 Depth=3
	v_cmp_lt_i64_e32 vcc, -1, v[2:3]
	v_mov_b32_e32 v1, 0xc7600000
	v_mov_b32_e32 v36, 0x47600000
	v_cndmask_b32_e32 v1, v1, v36, vcc
	v_cmp_eq_u32_e32 vcc, 0, v35
	v_mov_b32_e32 v35, 0x7f800001
	v_cndmask_b32_e32 v1, v35, v1, vcc
; %bb.9291:                             ;   in Loop: Header=BB6_8564 Depth=3
	s_or_b64 exec, exec, s[74:75]
.LBB6_9292:                             ;   in Loop: Header=BB6_8564 Depth=3
	s_or_b64 exec, exec, s[72:73]
.LBB6_9293:                             ;   in Loop: Header=BB6_8564 Depth=3
	s_or_b64 exec, exec, s[70:71]
	v_cmp_lt_u64_e32 vcc, s[42:43], v[10:11]
	s_and_saveexec_b64 s[70:71], vcc
	s_cbranch_execz .LBB6_9301
; %bb.9294:                             ;   in Loop: Header=BB6_8564 Depth=3
	v_cmp_ne_u32_e32 vcc, s97, v0
	v_bfrev_b32_e32 v9, 1
	s_and_saveexec_b64 s[72:73], vcc
	s_cbranch_execz .LBB6_9300
; %bb.9295:                             ;   in Loop: Header=BB6_8564 Depth=3
	v_and_b32_e32 v9, 0x7c000000, v11
	v_bfe_u32 v35, v11, 24, 2
	v_cmp_ne_u32_e32 vcc, s37, v9
                                        ; implicit-def: $vgpr9
	s_and_saveexec_b64 s[74:75], vcc
	s_xor_b64 s[74:75], exec, s[74:75]
	s_cbranch_execz .LBB6_9297
; %bb.9296:                             ;   in Loop: Header=BB6_8564 Depth=3
	v_ffbh_u32_e32 v36, v35
	v_min_u32_e32 v38, 32, v36
	v_subrev_u32_e32 v36, 29, v38
	v_bfe_u32 v9, v11, 26, 5
	v_lshlrev_b64 v[36:37], v36, v[0:1]
	v_sub_u32_e32 v37, 30, v38
	v_and_b32_e32 v36, 3, v36
	v_cmp_eq_u32_e32 vcc, 0, v9
	v_cndmask_b32_e32 v9, v9, v37, vcc
	v_cndmask_b32_e32 v35, v35, v36, vcc
	v_bfrev_b32_e32 v36, 28
	v_lshl_add_u32 v9, v9, 23, v36
	v_and_or_b32 v9, v11, s96, v9
	v_lshl_or_b32 v9, v35, 21, v9
                                        ; implicit-def: $vgpr35
.LBB6_9297:                             ;   in Loop: Header=BB6_8564 Depth=3
	s_andn2_saveexec_b64 s[74:75], s[74:75]
; %bb.9298:                             ;   in Loop: Header=BB6_8564 Depth=3
	v_cmp_lt_i64_e32 vcc, -1, v[10:11]
	v_mov_b32_e32 v9, 0xc7600000
	v_mov_b32_e32 v36, 0x47600000
	v_cndmask_b32_e32 v9, v9, v36, vcc
	v_cmp_eq_u32_e32 vcc, 0, v35
	v_mov_b32_e32 v35, 0x7f800001
	v_cndmask_b32_e32 v9, v35, v9, vcc
; %bb.9299:                             ;   in Loop: Header=BB6_8564 Depth=3
	s_or_b64 exec, exec, s[74:75]
.LBB6_9300:                             ;   in Loop: Header=BB6_8564 Depth=3
	s_or_b64 exec, exec, s[72:73]
.LBB6_9301:                             ;   in Loop: Header=BB6_8564 Depth=3
	s_or_b64 exec, exec, s[70:71]
	v_max_f32_e32 v9, v9, v9
	v_max_f32_e32 v1, v1, v1
	;; [unrolled: 1-line block ×3, first 2 shown]
	s_branch .LBB6_9320
.LBB6_9302:                             ;   in Loop: Header=BB6_8564 Depth=3
                                        ; implicit-def: $vgpr1
	s_cbranch_execz .LBB6_9320
; %bb.9303:                             ;   in Loop: Header=BB6_8564 Depth=3
	v_mov_b32_e32 v9, 0
	v_mov_b32_e32 v1, 0
	s_and_saveexec_b64 s[70:71], s[30:31]
	s_cbranch_execz .LBB6_9311
; %bb.9304:                             ;   in Loop: Header=BB6_8564 Depth=3
	v_cmp_ne_u32_e32 vcc, s97, v6
	v_bfrev_b32_e32 v1, 1
	s_and_saveexec_b64 s[30:31], vcc
	s_cbranch_execz .LBB6_9310
; %bb.9305:                             ;   in Loop: Header=BB6_8564 Depth=3
	v_and_b32_e32 v1, 0x7c000000, v3
	v_bfe_u32 v35, v3, 24, 2
	v_cmp_ne_u32_e32 vcc, s37, v1
                                        ; implicit-def: $vgpr1
	s_and_saveexec_b64 s[72:73], vcc
	s_xor_b64 s[72:73], exec, s[72:73]
	s_cbranch_execz .LBB6_9307
; %bb.9306:                             ;   in Loop: Header=BB6_8564 Depth=3
	v_ffbh_u32_e32 v2, v35
	v_min_u32_e32 v2, 32, v2
	v_subrev_u32_e32 v36, 29, v2
	v_bfe_u32 v1, v3, 26, 5
	v_lshlrev_b64 v[36:37], v36, v[6:7]
	v_sub_u32_e32 v2, 30, v2
	v_and_b32_e32 v6, 3, v36
	v_cmp_eq_u32_e32 vcc, 0, v1
	v_cndmask_b32_e32 v1, v1, v2, vcc
	v_cndmask_b32_e32 v2, v35, v6, vcc
	v_bfrev_b32_e32 v6, 28
	v_lshl_add_u32 v1, v1, 23, v6
	v_and_or_b32 v1, v3, s96, v1
	v_lshl_or_b32 v1, v2, 21, v1
                                        ; implicit-def: $vgpr35
                                        ; implicit-def: $vgpr2_vgpr3
.LBB6_9307:                             ;   in Loop: Header=BB6_8564 Depth=3
	s_andn2_saveexec_b64 s[72:73], s[72:73]
; %bb.9308:                             ;   in Loop: Header=BB6_8564 Depth=3
	v_cmp_lt_i64_e32 vcc, -1, v[2:3]
	v_mov_b32_e32 v1, 0xc7600000
	v_mov_b32_e32 v2, 0x47600000
	v_cndmask_b32_e32 v1, v1, v2, vcc
	v_cmp_eq_u32_e32 vcc, 0, v35
	v_mov_b32_e32 v2, 0x7f800001
	v_cndmask_b32_e32 v1, v2, v1, vcc
; %bb.9309:                             ;   in Loop: Header=BB6_8564 Depth=3
	s_or_b64 exec, exec, s[72:73]
.LBB6_9310:                             ;   in Loop: Header=BB6_8564 Depth=3
	s_or_b64 exec, exec, s[30:31]
.LBB6_9311:                             ;   in Loop: Header=BB6_8564 Depth=3
	s_or_b64 exec, exec, s[70:71]
	v_cmp_lt_u64_e32 vcc, s[42:43], v[10:11]
	s_and_saveexec_b64 s[30:31], vcc
	s_cbranch_execz .LBB6_9319
; %bb.9312:                             ;   in Loop: Header=BB6_8564 Depth=3
	v_cmp_ne_u32_e32 vcc, s97, v0
	v_bfrev_b32_e32 v9, 1
	s_and_saveexec_b64 s[70:71], vcc
	s_cbranch_execz .LBB6_9318
; %bb.9313:                             ;   in Loop: Header=BB6_8564 Depth=3
	v_and_b32_e32 v3, 0x7c000000, v11
	v_bfe_u32 v2, v11, 24, 2
	v_cmp_ne_u32_e32 vcc, s37, v3
                                        ; implicit-def: $vgpr9
	s_and_saveexec_b64 s[72:73], vcc
	s_xor_b64 s[72:73], exec, s[72:73]
	s_cbranch_execz .LBB6_9315
; %bb.9314:                             ;   in Loop: Header=BB6_8564 Depth=3
	v_ffbh_u32_e32 v6, v2
	v_min_u32_e32 v6, 32, v6
	v_bfe_u32 v3, v11, 26, 5
	v_subrev_u32_e32 v9, 29, v6
	v_lshlrev_b64 v[36:37], v9, v[0:1]
	v_sub_u32_e32 v0, 30, v6
	v_cmp_eq_u32_e32 vcc, 0, v3
	v_cndmask_b32_e32 v0, v3, v0, vcc
	v_bfrev_b32_e32 v3, 28
	v_and_b32_e32 v6, 3, v36
	v_lshl_add_u32 v0, v0, 23, v3
	v_cndmask_b32_e32 v2, v2, v6, vcc
	v_and_or_b32 v0, v11, s96, v0
	v_lshl_or_b32 v9, v2, 21, v0
                                        ; implicit-def: $vgpr2
                                        ; implicit-def: $vgpr10_vgpr11
.LBB6_9315:                             ;   in Loop: Header=BB6_8564 Depth=3
	s_andn2_saveexec_b64 s[72:73], s[72:73]
; %bb.9316:                             ;   in Loop: Header=BB6_8564 Depth=3
	v_cmp_lt_i64_e32 vcc, -1, v[10:11]
	v_mov_b32_e32 v0, 0xc7600000
	v_mov_b32_e32 v3, 0x47600000
	v_cndmask_b32_e32 v0, v0, v3, vcc
	v_cmp_eq_u32_e32 vcc, 0, v2
	v_mov_b32_e32 v2, 0x7f800001
	v_cndmask_b32_e32 v9, v2, v0, vcc
; %bb.9317:                             ;   in Loop: Header=BB6_8564 Depth=3
	s_or_b64 exec, exec, s[72:73]
.LBB6_9318:                             ;   in Loop: Header=BB6_8564 Depth=3
	s_or_b64 exec, exec, s[70:71]
.LBB6_9319:                             ;   in Loop: Header=BB6_8564 Depth=3
	s_or_b64 exec, exec, s[30:31]
	v_max_f32_e32 v0, v9, v9
	v_max_f32_e32 v1, v1, v1
	v_min_f32_e32 v1, v1, v0
.LBB6_9320:                             ;   in Loop: Header=BB6_8564 Depth=3
	v_and_b32_sdwa v2, v1, s97 dst_sel:DWORD dst_unused:UNUSED_PAD src0_sel:BYTE_3 src1_sel:DWORD
	v_and_b32_e32 v50, 0x7fffff, v1
	v_or_b32_e32 v0, 0x7b, v2
	v_and_b32_e32 v10, 0x7f800000, v1
	v_mov_b32_e32 v11, v51
	v_cmp_ne_u64_e32 vcc, s[52:53], v[10:11]
	s_mov_b64 s[30:31], exec
	s_and_b64 vcc, s[30:31], vcc
	s_xor_b64 s[70:71], vcc, s[30:31]
	v_accvgpr_read_b32 v6, a34
	s_mov_b64 exec, vcc
	s_cbranch_execz .LBB6_9330
; %bb.9321:                             ;   in Loop: Header=BB6_8564 Depth=3
	v_and_b32_e32 v10, 0x7fffffff, v1
	v_mov_b32_e32 v11, v51
	v_cmp_gt_u64_e32 vcc, s[54:55], v[10:11]
	s_and_saveexec_b64 s[72:73], vcc
	s_cbranch_execz .LBB6_9329
; %bb.9322:                             ;   in Loop: Header=BB6_8564 Depth=3
	v_cmp_ne_u32_e32 vcc, 0, v1
	v_mov_b32_e32 v0, 0
	s_and_saveexec_b64 s[74:75], vcc
	s_cbranch_execz .LBB6_9328
; %bb.9323:                             ;   in Loop: Header=BB6_8564 Depth=3
	v_bfe_u32 v0, v1, 23, 8
	v_cmp_eq_u32_e32 vcc, 0, v0
	v_add_u32_e32 v1, 0xffffff81, v0
	v_cmp_gt_u32_e64 s[30:31], s38, v0
	v_sub_u32_e32 v0, 0x71, v0
	v_mov_b32_e32 v6, 0xffffff82
	v_cndmask_b32_e64 v0, 0, v0, s[30:31]
	v_cndmask_b32_e32 v6, v1, v6, vcc
	v_mov_b32_e32 v1, 0x70
	v_cndmask_b32_e32 v9, v0, v1, vcc
	v_add_u32_e32 v0, 21, v9
	v_or_b32_e32 v3, 0x800000, v50
	v_lshlrev_b64 v[0:1], v0, -1
	v_cndmask_b32_e32 v50, v3, v50, vcc
	v_not_b32_e32 v1, v1
	v_not_b32_e32 v0, v0
	v_add_u32_e32 v3, 20, v9
	v_and_b32_e32 v1, 0, v1
	v_and_b32_e32 v0, v50, v0
	v_lshlrev_b64 v[10:11], v3, 1
	v_cmp_eq_u64_e32 vcc, v[0:1], v[10:11]
	v_lshrrev_b64 v[0:1], v9, v[50:51]
	v_lshrrev_b32_e32 v3, 23, v0
	v_add3_u32 v9, v9, v6, v3
	v_bfe_u32 v3, v0, 21, 1
	v_add_u32_e32 v3, -1, v3
	v_cndmask_b32_e32 v3, 0, v3, vcc
	v_add_u32_e32 v3, v3, v0
	v_and_b32_e32 v3, 0x1fffff, v3
	v_add_co_u32_e32 v0, vcc, v3, v0
	v_add_u32_e32 v6, 14, v9
	v_addc_co_u32_e32 v1, vcc, 0, v1, vcc
	v_cmp_ne_u32_e32 vcc, 0, v6
                                        ; implicit-def: $vgpr3
	s_and_saveexec_b64 s[30:31], vcc
	s_xor_b64 s[30:31], exec, s[30:31]
; %bb.9324:                             ;   in Loop: Header=BB6_8564 Depth=3
	v_add_u32_e32 v3, 15, v9
	v_cmp_lt_u64_e32 vcc, s[56:57], v[0:1]
	v_cndmask_b32_e32 v3, v6, v3, vcc
	v_cndmask_b32_e64 v6, 0, 1, vcc
	v_lshrrev_b64 v[0:1], v6, v[0:1]
; %bb.9325:                             ;   in Loop: Header=BB6_8564 Depth=3
	s_andn2_saveexec_b64 vcc, s[30:31]
; %bb.9326:                             ;   in Loop: Header=BB6_8564 Depth=3
	v_bfe_u32 v3, v0, 23, 1
; %bb.9327:                             ;   in Loop: Header=BB6_8564 Depth=3
	s_or_b64 exec, exec, vcc
	v_lshrrev_b64 v[0:1], 21, v[0:1]
	v_cmp_gt_i32_e32 vcc, 32, v3
	v_cndmask_b32_e32 v1, 0, v1, vcc
	v_cndmask_b32_e32 v0, 3, v0, vcc
	v_cmp_eq_u64_e64 s[30:31], 0, v[0:1]
	v_min_i32_e32 v1, 31, v3
	v_lshlrev_b32_e32 v1, 2, v1
	v_cmp_eq_u32_e32 vcc, 0, v3
	v_and_b32_e32 v1, 0xfc, v1
	v_and_or_b32 v0, v0, 3, v1
	s_and_b64 vcc, vcc, s[30:31]
	v_cndmask_b32_e64 v0, v0, 0, vcc
	v_or_b32_e32 v0, v0, v2
	v_accvgpr_read_b32 v6, a34
.LBB6_9328:                             ;   in Loop: Header=BB6_8564 Depth=3
	s_or_b64 exec, exec, s[74:75]
.LBB6_9329:                             ;   in Loop: Header=BB6_8564 Depth=3
	s_or_b64 exec, exec, s[72:73]
                                        ; implicit-def: $vgpr1
.LBB6_9330:                             ;   in Loop: Header=BB6_8564 Depth=3
	s_andn2_saveexec_b64 s[30:31], s[70:71]
	s_cbranch_execz .LBB6_8563
; %bb.9331:                             ;   in Loop: Header=BB6_8564 Depth=3
	v_or_b32_sdwa v1, v1, s39 dst_sel:DWORD dst_unused:UNUSED_PAD src0_sel:BYTE_3 src1_sel:DWORD
	v_cmp_eq_u64_e32 vcc, 0, v[50:51]
	v_cndmask_b32_e32 v0, v1, v0, vcc
	s_branch .LBB6_8563
.LBB6_9332:                             ;   in Loop: Header=BB6_3679 Depth=2
	s_or_b64 exec, exec, s[66:67]
.LBB6_9333:                             ;   in Loop: Header=BB6_3679 Depth=2
	s_or_b64 exec, exec, s[64:65]
	v_and_b32_e32 v1, 15, v44
	v_cndmask_b32_e64 v3, v24, v1, s[28:29]
	v_cmp_ne_u32_e32 vcc, 0, v3
	s_mov_b64 s[30:31], 0
	v_mov_b32_e32 v9, 0
                                        ; implicit-def: $vgpr2
                                        ; implicit-def: $vgpr0
	s_and_saveexec_b64 s[64:65], vcc
	s_cbranch_execz .LBB6_9335
; %bb.9334:                             ;   in Loop: Header=BB6_3679 Depth=2
	v_sub_u32_e32 v0, v24, v1
	v_cndmask_b32_e64 v0, 0, v0, s[28:29]
	v_cmp_lt_i32_e32 vcc, 0, v23
	v_add3_u32 v9, v22, v20, v0
	v_cndmask_b32_e32 v0, 0, v40, vcc
	v_sub_u32_e32 v0, v0, v23
	v_lshl_add_u32 v2, v0, 6, v21
	v_ashrrev_i32_e32 v0, 31, v2
	v_lshrrev_b32_e32 v0, 26, v0
	v_add_u32_e32 v0, v2, v0
	s_mov_b64 s[30:31], exec
	v_ashrrev_i32_e32 v0, 6, v0
.LBB6_9335:                             ;   in Loop: Header=BB6_3679 Depth=2
	s_or_b64 exec, exec, s[64:65]
	s_and_b64 s[28:29], s[30:31], exec
.LBB6_9336:                             ;   in Loop: Header=BB6_3679 Depth=2
	s_or_b64 exec, exec, s[34:35]
	v_accvgpr_read_b32 v25, a17
	v_accvgpr_read_b32 v24, a16
	;; [unrolled: 1-line block ×4, first 2 shown]
	s_and_saveexec_b64 s[64:65], s[28:29]
	s_cbranch_execz .LBB6_7019
.LBB6_9337:                             ;   in Loop: Header=BB6_3679 Depth=2
	v_ashrrev_i32_e32 v1, 31, v3
	v_lshrrev_b32_e32 v1, 22, v1
	v_add_u32_e32 v1, v3, v1
	v_ashrrev_i32_e32 v25, 10, v1
	v_sub_u32_e32 v24, v25, v0
	v_cmp_lt_i32_e32 vcc, 0, v24
	s_and_saveexec_b64 s[34:35], vcc
	s_cbranch_execz .LBB6_10173
; %bb.9338:                             ;   in Loop: Header=BB6_3679 Depth=2
	v_ashrrev_i32_e32 v1, 31, v2
	s_trap 2
	ds_read_b128 v[4:7], v0
	v_lshrrev_b32_e32 v1, 26, v1
	v_add_u32_e32 v1, v2, v1
	v_and_b32_e32 v1, 0xffffffc0, v1
	v_sub_u32_e32 v1, v2, v1
	v_lshlrev_b32_e32 v0, 10, v0
	v_accvgpr_write_b32 a8, v2
	v_add3_u32 v2, v9, v1, v0
	ds_read_b64 v[0:1], v0
	v_accvgpr_write_b32 a7, v3
	v_ashrrev_i32_e32 v3, 31, v2
	s_waitcnt lgkmcnt(0)
	v_add_co_u32_e32 v4, vcc, v4, v2
	v_addc_co_u32_e32 v5, vcc, v5, v3, vcc
	v_add_co_u32_e32 v8, vcc, v6, v2
	v_accvgpr_write_b32 a6, v9
	v_addc_co_u32_e32 v9, vcc, v7, v3, vcc
	v_add_co_u32_e32 v0, vcc, 0x3c0, v0
	v_addc_co_u32_e32 v1, vcc, 0, v1, vcc
	v_accvgpr_write_b32 a14, v58
	s_bitcmp1_b32 s27, 0
	v_add_co_u32_e32 v10, vcc, v0, v2
	v_accvgpr_write_b32 a11, v44
	v_accvgpr_write_b32 a5, v23
	v_accvgpr_write_b32 a62, v56
	v_accvgpr_write_b32 a15, v59
	v_accvgpr_write_b32 a4, v46
	s_cselect_b64 s[66:67], -1, 0
	v_addc_co_u32_e32 v11, vcc, v1, v3, vcc
	s_mov_b64 s[68:69], 0
	s_branch .LBB6_9340
.LBB6_9339:                             ;   in Loop: Header=BB6_9340 Depth=3
	s_or_b64 exec, exec, s[28:29]
	v_add_co_u32_e32 v22, vcc, 0xfffffc40, v10
	v_addc_co_u32_e32 v23, vcc, -1, v11, vcc
	flat_store_byte v[22:23], v60 glc slc
	v_add_co_u32_e32 v22, vcc, 0xfffffc80, v10
	v_addc_co_u32_e32 v23, vcc, -1, v11, vcc
	flat_store_byte v[22:23], v19 glc slc
	;; [unrolled: 3-line block ×3, first 2 shown]
	v_add_co_u32_e32 v22, vcc, 0xfffffd00, v10
	v_addc_co_u32_e32 v23, vcc, -1, v11, vcc
	v_add_co_u32_e32 v16, vcc, 0xfffffd40, v10
	flat_store_byte v[22:23], v17 glc slc
	v_addc_co_u32_e32 v17, vcc, -1, v11, vcc
	flat_store_byte v[16:17], v18 glc slc
	v_add_co_u32_e32 v16, vcc, 0xfffffd80, v10
	v_addc_co_u32_e32 v17, vcc, -1, v11, vcc
	flat_store_byte v[16:17], v13 glc slc
	v_add_co_u32_e32 v16, vcc, 0xfffffdc0, v10
	;; [unrolled: 3-line block ×10, first 2 shown]
	v_addc_co_u32_e32 v3, vcc, -1, v11, vcc
	v_accvgpr_read_b32 v0, a47
	flat_store_byte v[2:3], v21 glc slc
	flat_store_byte v[10:11], v1 glc slc
	v_add_co_u32_e32 v4, vcc, v4, v0
	v_accvgpr_read_b32 v1, a48
	v_addc_co_u32_e32 v5, vcc, v5, v1, vcc
	v_add_co_u32_e32 v8, vcc, v8, v0
	v_addc_co_u32_e32 v9, vcc, v9, v1, vcc
	v_sub_u32_e32 v24, v24, v40
	v_cmp_gt_i32_e32 vcc, 1, v24
	s_or_b64 s[68:69], vcc, s[68:69]
	v_add_co_u32_e32 v10, vcc, v10, v0
	v_addc_co_u32_e32 v11, vcc, v11, v1, vcc
	s_andn2_b64 exec, exec, s[68:69]
	s_cbranch_execz .LBB6_10172
.LBB6_9340:                             ;   Parent Loop BB6_47 Depth=1
                                        ;     Parent Loop BB6_3679 Depth=2
                                        ; =>    This Inner Loop Header: Depth=3
	flat_load_ubyte v3, v[4:5] glc slc
	flat_load_sbyte v20, v[4:5] offset:64 glc slc
	flat_load_sbyte v16, v[4:5] offset:128 glc slc
	;; [unrolled: 1-line block ×15, first 2 shown]
	flat_load_sbyte v18, v[8:9] glc slc
	flat_load_sbyte v32, v[8:9] offset:64 glc slc
	flat_load_sbyte v12, v[8:9] offset:128 glc slc
	;; [unrolled: 1-line block ×15, first 2 shown]
	s_and_b64 vcc, exec, s[66:67]
	s_waitcnt vmcnt(0) lgkmcnt(0)
	v_bfe_i32 v50, v3, 0, 8
	v_and_b32_e32 v1, 0xffff, v3
	v_cmp_ne_u16_e64 s[28:29], 0, v3
	s_cbranch_vccz .LBB6_9358
; %bb.9341:                             ;   in Loop: Header=BB6_9340 Depth=3
	v_mov_b32_e32 v7, 0
	v_mov_b32_e32 v3, 0
	s_and_saveexec_b64 s[30:31], s[28:29]
	s_cbranch_execz .LBB6_9349
; %bb.9342:                             ;   in Loop: Header=BB6_9340 Depth=3
	v_cmp_ne_u16_e32 vcc, s94, v50
	v_bfrev_b32_e32 v3, 1
	s_and_saveexec_b64 s[70:71], vcc
	s_cbranch_execz .LBB6_9348
; %bb.9343:                             ;   in Loop: Header=BB6_9340 Depth=3
	v_and_b32_e32 v3, 0x7c, v1
	v_and_b32_e32 v13, 3, v1
	v_cmp_ne_u32_e32 vcc, s95, v3
                                        ; implicit-def: $vgpr3
	s_and_saveexec_b64 s[72:73], vcc
	s_xor_b64 s[72:73], exec, s[72:73]
	s_cbranch_execz .LBB6_9345
; %bb.9344:                             ;   in Loop: Header=BB6_9340 Depth=3
	v_ffbh_u32_e32 v17, v13
	v_bfe_u32 v3, v1, 2, 5
	v_min_u32_e32 v17, 32, v17
	v_subrev_u32_e32 v19, 29, v17
	v_sub_u32_e32 v17, 30, v17
	v_cmp_eq_u32_e32 vcc, 0, v3
	v_lshlrev_b64 v[22:23], v19, v[50:51]
	v_cndmask_b32_e32 v3, v3, v17, vcc
	v_bfrev_b32_e32 v17, 28
	v_bfe_i32 v15, v50, 0, 16
	v_and_b32_e32 v19, 3, v22
	v_lshl_add_u32 v3, v3, 23, v17
	v_cndmask_b32_e32 v13, v13, v19, vcc
	v_and_or_b32 v3, v15, s96, v3
	v_lshl_or_b32 v3, v13, 21, v3
                                        ; implicit-def: $vgpr13
.LBB6_9345:                             ;   in Loop: Header=BB6_9340 Depth=3
	s_andn2_saveexec_b64 s[72:73], s[72:73]
; %bb.9346:                             ;   in Loop: Header=BB6_9340 Depth=3
	v_cmp_lt_i16_e32 vcc, -1, v50
	v_mov_b32_e32 v3, 0xc7600000
	v_mov_b32_e32 v15, 0x47600000
	v_cndmask_b32_e32 v3, v3, v15, vcc
	v_cmp_eq_u32_e32 vcc, 0, v13
	v_mov_b32_e32 v13, 0x7f800001
	v_cndmask_b32_e32 v3, v13, v3, vcc
; %bb.9347:                             ;   in Loop: Header=BB6_9340 Depth=3
	s_or_b64 exec, exec, s[72:73]
.LBB6_9348:                             ;   in Loop: Header=BB6_9340 Depth=3
	s_or_b64 exec, exec, s[70:71]
.LBB6_9349:                             ;   in Loop: Header=BB6_9340 Depth=3
	s_or_b64 exec, exec, s[30:31]
	v_cmp_ne_u16_e32 vcc, 0, v18
	s_and_saveexec_b64 s[30:31], vcc
	s_cbranch_execz .LBB6_9357
; %bb.9350:                             ;   in Loop: Header=BB6_9340 Depth=3
	v_cmp_ne_u16_e32 vcc, s94, v18
	v_bfrev_b32_e32 v7, 1
	s_and_saveexec_b64 s[70:71], vcc
	s_cbranch_execz .LBB6_9356
; %bb.9351:                             ;   in Loop: Header=BB6_9340 Depth=3
	v_and_b32_e32 v7, 0x7c, v18
	v_and_b32_e32 v13, 3, v18
	v_cmp_ne_u32_e32 vcc, s95, v7
                                        ; implicit-def: $vgpr7
	s_and_saveexec_b64 s[72:73], vcc
	s_xor_b64 s[72:73], exec, s[72:73]
	s_cbranch_execz .LBB6_9353
; %bb.9352:                             ;   in Loop: Header=BB6_9340 Depth=3
	v_and_b32_e32 v7, 0xff, v18
	v_ffbh_u32_e32 v17, v13
	v_bfe_u32 v7, v7, 2, 5
	v_min_u32_e32 v17, 32, v17
	v_mov_b32_e32 v19, v51
	v_subrev_u32_e32 v21, 29, v17
	v_sub_u32_e32 v17, 30, v17
	v_cmp_eq_u32_e32 vcc, 0, v7
	v_lshlrev_b64 v[22:23], v21, v[18:19]
	v_cndmask_b32_e32 v7, v7, v17, vcc
	v_bfrev_b32_e32 v17, 28
	v_bfe_i32 v15, v18, 0, 16
	v_and_b32_e32 v19, 3, v22
	v_lshl_add_u32 v7, v7, 23, v17
	v_cndmask_b32_e32 v13, v13, v19, vcc
	v_and_or_b32 v7, v15, s96, v7
	v_lshl_or_b32 v7, v13, 21, v7
                                        ; implicit-def: $vgpr13
.LBB6_9353:                             ;   in Loop: Header=BB6_9340 Depth=3
	s_andn2_saveexec_b64 s[72:73], s[72:73]
; %bb.9354:                             ;   in Loop: Header=BB6_9340 Depth=3
	v_cmp_lt_i16_e32 vcc, -1, v18
	v_mov_b32_e32 v7, 0xc7600000
	v_mov_b32_e32 v15, 0x47600000
	v_cndmask_b32_e32 v7, v7, v15, vcc
	v_cmp_eq_u32_e32 vcc, 0, v13
	v_mov_b32_e32 v13, 0x7f800001
	v_cndmask_b32_e32 v7, v13, v7, vcc
; %bb.9355:                             ;   in Loop: Header=BB6_9340 Depth=3
	s_or_b64 exec, exec, s[72:73]
.LBB6_9356:                             ;   in Loop: Header=BB6_9340 Depth=3
	s_or_b64 exec, exec, s[70:71]
.LBB6_9357:                             ;   in Loop: Header=BB6_9340 Depth=3
	s_or_b64 exec, exec, s[30:31]
	v_max_f32_e32 v7, v7, v7
	v_max_f32_e32 v3, v3, v3
	;; [unrolled: 1-line block ×3, first 2 shown]
	s_branch .LBB6_9376
.LBB6_9358:                             ;   in Loop: Header=BB6_9340 Depth=3
                                        ; implicit-def: $vgpr3
	s_cbranch_execz .LBB6_9376
; %bb.9359:                             ;   in Loop: Header=BB6_9340 Depth=3
	v_mov_b32_e32 v7, 0
	v_mov_b32_e32 v3, 0
	s_and_saveexec_b64 s[30:31], s[28:29]
	s_cbranch_execz .LBB6_9367
; %bb.9360:                             ;   in Loop: Header=BB6_9340 Depth=3
	v_cmp_ne_u16_e32 vcc, s94, v50
	v_bfrev_b32_e32 v3, 1
	s_and_saveexec_b64 s[28:29], vcc
	s_cbranch_execz .LBB6_9366
; %bb.9361:                             ;   in Loop: Header=BB6_9340 Depth=3
	v_and_b32_e32 v3, 0x7c, v1
	v_and_b32_e32 v13, 3, v1
	v_cmp_ne_u32_e32 vcc, s95, v3
                                        ; implicit-def: $vgpr3
	s_and_saveexec_b64 s[70:71], vcc
	s_xor_b64 s[70:71], exec, s[70:71]
	s_cbranch_execz .LBB6_9363
; %bb.9362:                             ;   in Loop: Header=BB6_9340 Depth=3
	v_ffbh_u32_e32 v15, v13
	v_bfe_u32 v1, v1, 2, 5
	v_min_u32_e32 v15, 32, v15
	v_subrev_u32_e32 v17, 29, v15
	v_sub_u32_e32 v15, 30, v15
	v_cmp_eq_u32_e32 vcc, 0, v1
	v_lshlrev_b64 v[22:23], v17, v[50:51]
	v_cndmask_b32_e32 v1, v1, v15, vcc
	v_bfrev_b32_e32 v15, 28
	v_bfe_i32 v3, v50, 0, 16
	v_and_b32_e32 v17, 3, v22
	v_lshl_add_u32 v1, v1, 23, v15
	v_cndmask_b32_e32 v13, v13, v17, vcc
	v_and_or_b32 v1, v3, s96, v1
	v_lshl_or_b32 v3, v13, 21, v1
                                        ; implicit-def: $vgpr13
.LBB6_9363:                             ;   in Loop: Header=BB6_9340 Depth=3
	s_andn2_saveexec_b64 s[70:71], s[70:71]
; %bb.9364:                             ;   in Loop: Header=BB6_9340 Depth=3
	v_cmp_lt_i16_e32 vcc, -1, v50
	v_mov_b32_e32 v1, 0xc7600000
	v_mov_b32_e32 v3, 0x47600000
	v_cndmask_b32_e32 v1, v1, v3, vcc
	v_cmp_eq_u32_e32 vcc, 0, v13
	v_mov_b32_e32 v3, 0x7f800001
	v_cndmask_b32_e32 v3, v3, v1, vcc
; %bb.9365:                             ;   in Loop: Header=BB6_9340 Depth=3
	s_or_b64 exec, exec, s[70:71]
.LBB6_9366:                             ;   in Loop: Header=BB6_9340 Depth=3
	s_or_b64 exec, exec, s[28:29]
.LBB6_9367:                             ;   in Loop: Header=BB6_9340 Depth=3
	s_or_b64 exec, exec, s[30:31]
	v_cmp_ne_u16_e32 vcc, 0, v18
	s_and_saveexec_b64 s[28:29], vcc
	s_cbranch_execz .LBB6_9375
; %bb.9368:                             ;   in Loop: Header=BB6_9340 Depth=3
	v_cmp_ne_u16_e32 vcc, s94, v18
	v_bfrev_b32_e32 v7, 1
	s_and_saveexec_b64 s[30:31], vcc
	s_cbranch_execz .LBB6_9374
; %bb.9369:                             ;   in Loop: Header=BB6_9340 Depth=3
	v_and_b32_e32 v7, 0x7c, v18
	v_and_b32_e32 v1, 3, v18
	v_cmp_ne_u32_e32 vcc, s95, v7
                                        ; implicit-def: $vgpr7
	s_and_saveexec_b64 s[70:71], vcc
	s_xor_b64 s[70:71], exec, s[70:71]
	s_cbranch_execz .LBB6_9371
; %bb.9370:                             ;   in Loop: Header=BB6_9340 Depth=3
	v_and_b32_e32 v7, 0xff, v18
	v_ffbh_u32_e32 v15, v1
	v_bfe_u32 v7, v7, 2, 5
	v_min_u32_e32 v15, 32, v15
	v_mov_b32_e32 v19, v51
	v_subrev_u32_e32 v17, 29, v15
	v_sub_u32_e32 v15, 30, v15
	v_cmp_eq_u32_e32 vcc, 0, v7
	v_bfe_i32 v13, v18, 0, 16
	v_lshlrev_b64 v[18:19], v17, v[18:19]
	v_cndmask_b32_e32 v7, v7, v15, vcc
	v_bfrev_b32_e32 v15, 28
	v_and_b32_e32 v17, 3, v18
	v_lshl_add_u32 v7, v7, 23, v15
	v_cndmask_b32_e32 v1, v1, v17, vcc
	v_and_or_b32 v7, v13, s96, v7
	v_lshl_or_b32 v7, v1, 21, v7
                                        ; implicit-def: $vgpr1
                                        ; implicit-def: $vgpr18
.LBB6_9371:                             ;   in Loop: Header=BB6_9340 Depth=3
	s_andn2_saveexec_b64 s[70:71], s[70:71]
; %bb.9372:                             ;   in Loop: Header=BB6_9340 Depth=3
	v_cmp_lt_i16_e32 vcc, -1, v18
	v_mov_b32_e32 v7, 0xc7600000
	v_mov_b32_e32 v13, 0x47600000
	v_cndmask_b32_e32 v7, v7, v13, vcc
	v_cmp_eq_u32_e32 vcc, 0, v1
	v_mov_b32_e32 v1, 0x7f800001
	v_cndmask_b32_e32 v7, v1, v7, vcc
; %bb.9373:                             ;   in Loop: Header=BB6_9340 Depth=3
	s_or_b64 exec, exec, s[70:71]
.LBB6_9374:                             ;   in Loop: Header=BB6_9340 Depth=3
	s_or_b64 exec, exec, s[30:31]
.LBB6_9375:                             ;   in Loop: Header=BB6_9340 Depth=3
	s_or_b64 exec, exec, s[28:29]
	v_max_f32_e32 v1, v7, v7
	v_max_f32_e32 v3, v3, v3
	v_min_f32_e32 v3, v3, v1
.LBB6_9376:                             ;   in Loop: Header=BB6_9340 Depth=3
	v_and_b32_sdwa v1, v3, s97 dst_sel:DWORD dst_unused:UNUSED_PAD src0_sel:BYTE_3 src1_sel:DWORD
	v_and_b32_e32 v18, 0x7f800000, v3
	v_mov_b32_e32 v19, v51
	v_and_b32_e32 v50, 0x7fffff, v3
	v_or_b32_e32 v60, 0x7b, v1
	v_cmp_ne_u64_e32 vcc, s[52:53], v[18:19]
	s_and_saveexec_b64 s[28:29], vcc
	s_xor_b64 s[30:31], exec, s[28:29]
	s_cbranch_execz .LBB6_9390
; %bb.9377:                             ;   in Loop: Header=BB6_9340 Depth=3
	v_and_b32_e32 v18, 0x7fffffff, v3
	v_mov_b32_e32 v19, v51
	v_cmp_gt_u64_e32 vcc, s[54:55], v[18:19]
	s_and_saveexec_b64 s[28:29], vcc
	s_xor_b64 s[70:71], exec, s[28:29]
	s_cbranch_execz .LBB6_9389
; %bb.9378:                             ;   in Loop: Header=BB6_9340 Depth=3
	v_cmp_ne_u32_e32 vcc, 0, v3
	v_mov_b32_e32 v60, 0
	s_and_saveexec_b64 s[72:73], vcc
	s_cbranch_execz .LBB6_9388
; %bb.9379:                             ;   in Loop: Header=BB6_9340 Depth=3
	v_bfe_u32 v3, v3, 23, 8
	v_cmp_eq_u32_e32 vcc, 0, v3
	v_add_u32_e32 v7, 0xffffff81, v3
	v_cmp_gt_u32_e64 s[28:29], s38, v3
	v_sub_u32_e32 v3, 0x71, v3
	v_mov_b32_e32 v15, 0xffffff82
	v_cndmask_b32_e64 v3, 0, v3, s[28:29]
	v_cndmask_b32_e32 v7, v7, v15, vcc
	v_mov_b32_e32 v15, 0x70
	v_or_b32_e32 v13, 0x800000, v50
	v_cndmask_b32_e32 v3, v3, v15, vcc
	v_cndmask_b32_e32 v50, v13, v50, vcc
	v_add_u32_e32 v13, 21, v3
	v_lshlrev_b64 v[18:19], v13, -1
	v_not_b32_e32 v13, v19
	v_not_b32_e32 v15, v18
	v_and_b32_e32 v19, 0, v13
	v_add_u32_e32 v13, 20, v3
	v_and_b32_e32 v18, v50, v15
	v_lshlrev_b64 v[22:23], v13, 1
	v_cmp_eq_u64_e32 vcc, v[18:19], v[22:23]
	v_lshrrev_b64 v[18:19], v3, v[50:51]
	v_lshrrev_b32_e32 v13, 23, v18
	v_add3_u32 v13, v3, v7, v13
	v_bfe_u32 v3, v18, 21, 1
	v_add_u32_e32 v3, -1, v3
	v_cndmask_b32_e32 v3, 0, v3, vcc
	v_add_u32_e32 v3, v3, v18
	v_and_b32_e32 v3, 0x1fffff, v3
	v_add_co_u32_e32 v18, vcc, v3, v18
	v_add_u32_e32 v7, 14, v13
	v_addc_co_u32_e32 v19, vcc, 0, v19, vcc
	v_cmp_ne_u32_e32 vcc, 0, v7
                                        ; implicit-def: $vgpr3
	s_and_saveexec_b64 s[28:29], vcc
	s_xor_b64 s[28:29], exec, s[28:29]
; %bb.9380:                             ;   in Loop: Header=BB6_9340 Depth=3
	v_add_u32_e32 v3, 15, v13
	v_cmp_lt_u64_e32 vcc, s[56:57], v[18:19]
	v_cndmask_b32_e32 v3, v7, v3, vcc
	v_cndmask_b32_e64 v7, 0, 1, vcc
	v_lshrrev_b64 v[18:19], v7, v[18:19]
; %bb.9381:                             ;   in Loop: Header=BB6_9340 Depth=3
	s_andn2_saveexec_b64 s[28:29], s[28:29]
; %bb.9382:                             ;   in Loop: Header=BB6_9340 Depth=3
	v_bfe_u32 v3, v18, 23, 1
; %bb.9383:                             ;   in Loop: Header=BB6_9340 Depth=3
	s_or_b64 exec, exec, s[28:29]
	v_lshrrev_b64 v[18:19], 21, v[18:19]
	v_cmp_gt_i32_e32 vcc, 32, v3
	v_cndmask_b32_e32 v19, 0, v19, vcc
	v_cndmask_b32_e32 v18, 3, v18, vcc
	v_cmp_ne_u32_e32 vcc, 0, v3
	v_cmp_ne_u64_e64 s[28:29], 0, v[18:19]
	s_or_b64 s[28:29], vcc, s[28:29]
                                        ; implicit-def: $vgpr60
	s_and_saveexec_b64 vcc, s[28:29]
	s_xor_b64 s[28:29], exec, vcc
; %bb.9384:                             ;   in Loop: Header=BB6_9340 Depth=3
	v_min_i32_e32 v3, 31, v3
	v_lshl_or_b32 v1, v3, 2, v1
	v_and_or_b32 v60, v18, 3, v1
                                        ; implicit-def: $vgpr1
; %bb.9385:                             ;   in Loop: Header=BB6_9340 Depth=3
	s_andn2_saveexec_b64 s[28:29], s[28:29]
; %bb.9386:                             ;   in Loop: Header=BB6_9340 Depth=3
	v_mov_b32_e32 v60, v1
; %bb.9387:                             ;   in Loop: Header=BB6_9340 Depth=3
	s_or_b64 exec, exec, s[28:29]
.LBB6_9388:                             ;   in Loop: Header=BB6_9340 Depth=3
	s_or_b64 exec, exec, s[72:73]
.LBB6_9389:                             ;   in Loop: Header=BB6_9340 Depth=3
	s_andn2_saveexec_b64 s[28:29], s[70:71]
	s_or_b64 exec, exec, s[28:29]
                                        ; implicit-def: $vgpr3
.LBB6_9390:                             ;   in Loop: Header=BB6_9340 Depth=3
	s_andn2_saveexec_b64 s[28:29], s[30:31]
; %bb.9391:                             ;   in Loop: Header=BB6_9340 Depth=3
	v_or_b32_sdwa v1, v3, s39 dst_sel:DWORD dst_unused:UNUSED_PAD src0_sel:BYTE_3 src1_sel:DWORD
	v_cmp_eq_u64_e32 vcc, 0, v[50:51]
	v_cndmask_b32_e32 v60, v1, v60, vcc
; %bb.9392:                             ;   in Loop: Header=BB6_9340 Depth=3
	s_or_b64 exec, exec, s[28:29]
	v_cndmask_b32_e64 v3, 0, 1, s[66:67]
	v_and_b32_e32 v1, 0xff, v20
	v_cmp_ne_u32_e64 s[28:29], 1, v3
	s_andn2_b64 vcc, exec, s[66:67]
	v_cmp_ne_u16_e64 s[30:31], 0, v20
	s_cbranch_vccnz .LBB6_9410
; %bb.9393:                             ;   in Loop: Header=BB6_9340 Depth=3
	v_mov_b32_e32 v7, 0
	v_mov_b32_e32 v3, 0
	s_and_saveexec_b64 s[70:71], s[30:31]
	s_cbranch_execz .LBB6_9401
; %bb.9394:                             ;   in Loop: Header=BB6_9340 Depth=3
	v_cmp_ne_u16_e32 vcc, s94, v20
	v_bfrev_b32_e32 v3, 1
	s_and_saveexec_b64 s[72:73], vcc
	s_cbranch_execz .LBB6_9400
; %bb.9395:                             ;   in Loop: Header=BB6_9340 Depth=3
	v_and_b32_e32 v3, 0x7c, v1
	v_and_b32_e32 v13, 3, v1
	v_cmp_ne_u32_e32 vcc, s95, v3
                                        ; implicit-def: $vgpr3
	s_and_saveexec_b64 s[74:75], vcc
	s_xor_b64 s[74:75], exec, s[74:75]
	s_cbranch_execz .LBB6_9397
; %bb.9396:                             ;   in Loop: Header=BB6_9340 Depth=3
	v_ffbh_u32_e32 v17, v13
	v_bfe_u32 v3, v1, 2, 5
	v_min_u32_e32 v17, 32, v17
	v_mov_b32_e32 v21, v51
	v_subrev_u32_e32 v18, 29, v17
	v_sub_u32_e32 v17, 30, v17
	v_cmp_eq_u32_e32 vcc, 0, v3
	v_lshlrev_b64 v[18:19], v18, v[20:21]
	v_cndmask_b32_e32 v3, v3, v17, vcc
	v_bfrev_b32_e32 v17, 28
	v_bfe_i32 v15, v20, 0, 16
	v_and_b32_e32 v18, 3, v18
	v_lshl_add_u32 v3, v3, 23, v17
	v_cndmask_b32_e32 v13, v13, v18, vcc
	v_and_or_b32 v3, v15, s96, v3
	v_lshl_or_b32 v3, v13, 21, v3
                                        ; implicit-def: $vgpr13
.LBB6_9397:                             ;   in Loop: Header=BB6_9340 Depth=3
	s_andn2_saveexec_b64 s[74:75], s[74:75]
; %bb.9398:                             ;   in Loop: Header=BB6_9340 Depth=3
	v_cmp_lt_i16_e32 vcc, -1, v20
	v_mov_b32_e32 v3, 0xc7600000
	v_mov_b32_e32 v15, 0x47600000
	v_cndmask_b32_e32 v3, v3, v15, vcc
	v_cmp_eq_u32_e32 vcc, 0, v13
	v_mov_b32_e32 v13, 0x7f800001
	v_cndmask_b32_e32 v3, v13, v3, vcc
; %bb.9399:                             ;   in Loop: Header=BB6_9340 Depth=3
	s_or_b64 exec, exec, s[74:75]
.LBB6_9400:                             ;   in Loop: Header=BB6_9340 Depth=3
	s_or_b64 exec, exec, s[72:73]
.LBB6_9401:                             ;   in Loop: Header=BB6_9340 Depth=3
	s_or_b64 exec, exec, s[70:71]
	v_cmp_ne_u16_e32 vcc, 0, v32
	s_and_saveexec_b64 s[70:71], vcc
	s_cbranch_execz .LBB6_9409
; %bb.9402:                             ;   in Loop: Header=BB6_9340 Depth=3
	v_cmp_ne_u16_e32 vcc, s94, v32
	v_bfrev_b32_e32 v7, 1
	s_and_saveexec_b64 s[72:73], vcc
	s_cbranch_execz .LBB6_9408
; %bb.9403:                             ;   in Loop: Header=BB6_9340 Depth=3
	v_and_b32_e32 v7, 0x7c, v32
	v_and_b32_e32 v13, 3, v32
	v_cmp_ne_u32_e32 vcc, s95, v7
                                        ; implicit-def: $vgpr7
	s_and_saveexec_b64 s[74:75], vcc
	s_xor_b64 s[74:75], exec, s[74:75]
	s_cbranch_execz .LBB6_9405
; %bb.9404:                             ;   in Loop: Header=BB6_9340 Depth=3
	v_and_b32_e32 v7, 0xff, v32
	v_ffbh_u32_e32 v17, v13
	v_bfe_u32 v7, v7, 2, 5
	v_min_u32_e32 v17, 32, v17
	v_mov_b32_e32 v33, v51
	v_subrev_u32_e32 v18, 29, v17
	v_sub_u32_e32 v17, 30, v17
	v_cmp_eq_u32_e32 vcc, 0, v7
	v_lshlrev_b64 v[18:19], v18, v[32:33]
	v_cndmask_b32_e32 v7, v7, v17, vcc
	v_bfrev_b32_e32 v17, 28
	v_bfe_i32 v15, v32, 0, 16
	v_and_b32_e32 v18, 3, v18
	v_lshl_add_u32 v7, v7, 23, v17
	v_cndmask_b32_e32 v13, v13, v18, vcc
	v_and_or_b32 v7, v15, s96, v7
	v_lshl_or_b32 v7, v13, 21, v7
                                        ; implicit-def: $vgpr13
.LBB6_9405:                             ;   in Loop: Header=BB6_9340 Depth=3
	s_andn2_saveexec_b64 s[74:75], s[74:75]
; %bb.9406:                             ;   in Loop: Header=BB6_9340 Depth=3
	v_cmp_lt_i16_e32 vcc, -1, v32
	v_mov_b32_e32 v7, 0xc7600000
	v_mov_b32_e32 v15, 0x47600000
	v_cndmask_b32_e32 v7, v7, v15, vcc
	v_cmp_eq_u32_e32 vcc, 0, v13
	v_mov_b32_e32 v13, 0x7f800001
	v_cndmask_b32_e32 v7, v13, v7, vcc
; %bb.9407:                             ;   in Loop: Header=BB6_9340 Depth=3
	s_or_b64 exec, exec, s[74:75]
.LBB6_9408:                             ;   in Loop: Header=BB6_9340 Depth=3
	s_or_b64 exec, exec, s[72:73]
.LBB6_9409:                             ;   in Loop: Header=BB6_9340 Depth=3
	s_or_b64 exec, exec, s[70:71]
	v_max_f32_e32 v7, v7, v7
	v_max_f32_e32 v3, v3, v3
	;; [unrolled: 1-line block ×3, first 2 shown]
	s_branch .LBB6_9428
.LBB6_9410:                             ;   in Loop: Header=BB6_9340 Depth=3
                                        ; implicit-def: $vgpr3
	s_cbranch_execz .LBB6_9428
; %bb.9411:                             ;   in Loop: Header=BB6_9340 Depth=3
	v_mov_b32_e32 v7, 0
	v_mov_b32_e32 v3, 0
	s_and_saveexec_b64 s[70:71], s[30:31]
	s_cbranch_execz .LBB6_9419
; %bb.9412:                             ;   in Loop: Header=BB6_9340 Depth=3
	v_cmp_ne_u16_e32 vcc, s94, v20
	v_bfrev_b32_e32 v3, 1
	s_and_saveexec_b64 s[30:31], vcc
	s_cbranch_execz .LBB6_9418
; %bb.9413:                             ;   in Loop: Header=BB6_9340 Depth=3
	v_and_b32_e32 v3, 0x7c, v1
	v_and_b32_e32 v13, 3, v1
	v_cmp_ne_u32_e32 vcc, s95, v3
                                        ; implicit-def: $vgpr3
	s_and_saveexec_b64 s[72:73], vcc
	s_xor_b64 s[72:73], exec, s[72:73]
	s_cbranch_execz .LBB6_9415
; %bb.9414:                             ;   in Loop: Header=BB6_9340 Depth=3
	v_ffbh_u32_e32 v15, v13
	v_bfe_u32 v1, v1, 2, 5
	v_min_u32_e32 v15, 32, v15
	v_mov_b32_e32 v21, v51
	v_subrev_u32_e32 v17, 29, v15
	v_sub_u32_e32 v15, 30, v15
	v_cmp_eq_u32_e32 vcc, 0, v1
	v_lshlrev_b64 v[18:19], v17, v[20:21]
	v_cndmask_b32_e32 v1, v1, v15, vcc
	v_bfrev_b32_e32 v15, 28
	v_bfe_i32 v3, v20, 0, 16
	v_and_b32_e32 v17, 3, v18
	v_lshl_add_u32 v1, v1, 23, v15
	v_cndmask_b32_e32 v13, v13, v17, vcc
	v_and_or_b32 v1, v3, s96, v1
	v_lshl_or_b32 v3, v13, 21, v1
                                        ; implicit-def: $vgpr13
                                        ; implicit-def: $vgpr20
.LBB6_9415:                             ;   in Loop: Header=BB6_9340 Depth=3
	s_andn2_saveexec_b64 s[72:73], s[72:73]
; %bb.9416:                             ;   in Loop: Header=BB6_9340 Depth=3
	v_cmp_lt_i16_e32 vcc, -1, v20
	v_mov_b32_e32 v1, 0xc7600000
	v_mov_b32_e32 v3, 0x47600000
	v_cndmask_b32_e32 v1, v1, v3, vcc
	v_cmp_eq_u32_e32 vcc, 0, v13
	v_mov_b32_e32 v3, 0x7f800001
	v_cndmask_b32_e32 v3, v3, v1, vcc
; %bb.9417:                             ;   in Loop: Header=BB6_9340 Depth=3
	s_or_b64 exec, exec, s[72:73]
.LBB6_9418:                             ;   in Loop: Header=BB6_9340 Depth=3
	s_or_b64 exec, exec, s[30:31]
.LBB6_9419:                             ;   in Loop: Header=BB6_9340 Depth=3
	s_or_b64 exec, exec, s[70:71]
	v_cmp_ne_u16_e32 vcc, 0, v32
	s_and_saveexec_b64 s[30:31], vcc
	s_cbranch_execz .LBB6_9427
; %bb.9420:                             ;   in Loop: Header=BB6_9340 Depth=3
	v_cmp_ne_u16_e32 vcc, s94, v32
	v_bfrev_b32_e32 v7, 1
	s_and_saveexec_b64 s[70:71], vcc
	s_cbranch_execz .LBB6_9426
; %bb.9421:                             ;   in Loop: Header=BB6_9340 Depth=3
	v_and_b32_e32 v7, 0x7c, v32
	v_and_b32_e32 v1, 3, v32
	v_cmp_ne_u32_e32 vcc, s95, v7
                                        ; implicit-def: $vgpr7
	s_and_saveexec_b64 s[72:73], vcc
	s_xor_b64 s[72:73], exec, s[72:73]
	s_cbranch_execz .LBB6_9423
; %bb.9422:                             ;   in Loop: Header=BB6_9340 Depth=3
	v_and_b32_e32 v7, 0xff, v32
	v_ffbh_u32_e32 v15, v1
	v_bfe_u32 v7, v7, 2, 5
	v_min_u32_e32 v15, 32, v15
	v_mov_b32_e32 v33, v51
	v_subrev_u32_e32 v17, 29, v15
	v_sub_u32_e32 v15, 30, v15
	v_cmp_eq_u32_e32 vcc, 0, v7
	v_lshlrev_b64 v[18:19], v17, v[32:33]
	v_cndmask_b32_e32 v7, v7, v15, vcc
	v_bfrev_b32_e32 v15, 28
	v_bfe_i32 v13, v32, 0, 16
	v_and_b32_e32 v17, 3, v18
	v_lshl_add_u32 v7, v7, 23, v15
	v_cndmask_b32_e32 v1, v1, v17, vcc
	v_and_or_b32 v7, v13, s96, v7
	v_lshl_or_b32 v7, v1, 21, v7
                                        ; implicit-def: $vgpr1
                                        ; implicit-def: $vgpr32
.LBB6_9423:                             ;   in Loop: Header=BB6_9340 Depth=3
	s_andn2_saveexec_b64 s[72:73], s[72:73]
; %bb.9424:                             ;   in Loop: Header=BB6_9340 Depth=3
	v_cmp_lt_i16_e32 vcc, -1, v32
	v_mov_b32_e32 v7, 0xc7600000
	v_mov_b32_e32 v13, 0x47600000
	v_cndmask_b32_e32 v7, v7, v13, vcc
	v_cmp_eq_u32_e32 vcc, 0, v1
	v_mov_b32_e32 v1, 0x7f800001
	v_cndmask_b32_e32 v7, v1, v7, vcc
; %bb.9425:                             ;   in Loop: Header=BB6_9340 Depth=3
	s_or_b64 exec, exec, s[72:73]
.LBB6_9426:                             ;   in Loop: Header=BB6_9340 Depth=3
	s_or_b64 exec, exec, s[70:71]
.LBB6_9427:                             ;   in Loop: Header=BB6_9340 Depth=3
	s_or_b64 exec, exec, s[30:31]
	v_max_f32_e32 v1, v7, v7
	v_max_f32_e32 v3, v3, v3
	v_min_f32_e32 v3, v3, v1
.LBB6_9428:                             ;   in Loop: Header=BB6_9340 Depth=3
	v_and_b32_sdwa v1, v3, s97 dst_sel:DWORD dst_unused:UNUSED_PAD src0_sel:BYTE_3 src1_sel:DWORD
	v_and_b32_e32 v20, 0x7f800000, v3
	v_mov_b32_e32 v21, v51
	v_and_b32_e32 v50, 0x7fffff, v3
	v_or_b32_e32 v19, 0x7b, v1
	v_cmp_ne_u64_e32 vcc, s[52:53], v[20:21]
	s_and_saveexec_b64 s[30:31], vcc
	s_xor_b64 s[70:71], exec, s[30:31]
	s_cbranch_execz .LBB6_9442
; %bb.9429:                             ;   in Loop: Header=BB6_9340 Depth=3
	v_and_b32_e32 v20, 0x7fffffff, v3
	v_mov_b32_e32 v21, v51
	v_cmp_gt_u64_e32 vcc, s[54:55], v[20:21]
	s_and_saveexec_b64 s[30:31], vcc
	s_xor_b64 s[72:73], exec, s[30:31]
	s_cbranch_execz .LBB6_9441
; %bb.9430:                             ;   in Loop: Header=BB6_9340 Depth=3
	v_cmp_ne_u32_e32 vcc, 0, v3
	v_mov_b32_e32 v19, 0
	s_and_saveexec_b64 s[74:75], vcc
	s_cbranch_execz .LBB6_9440
; %bb.9431:                             ;   in Loop: Header=BB6_9340 Depth=3
	v_bfe_u32 v3, v3, 23, 8
	v_cmp_eq_u32_e32 vcc, 0, v3
	v_add_u32_e32 v7, 0xffffff81, v3
	v_cmp_gt_u32_e64 s[30:31], s38, v3
	v_sub_u32_e32 v3, 0x71, v3
	v_mov_b32_e32 v15, 0xffffff82
	v_cndmask_b32_e64 v3, 0, v3, s[30:31]
	v_cndmask_b32_e32 v7, v7, v15, vcc
	v_mov_b32_e32 v15, 0x70
	v_or_b32_e32 v13, 0x800000, v50
	v_cndmask_b32_e32 v3, v3, v15, vcc
	v_cndmask_b32_e32 v50, v13, v50, vcc
	v_add_u32_e32 v13, 21, v3
	v_lshlrev_b64 v[18:19], v13, -1
	v_not_b32_e32 v13, v19
	v_not_b32_e32 v15, v18
	v_and_b32_e32 v19, 0, v13
	v_add_u32_e32 v13, 20, v3
	v_and_b32_e32 v18, v50, v15
	v_lshlrev_b64 v[20:21], v13, 1
	v_cmp_eq_u64_e32 vcc, v[18:19], v[20:21]
	v_lshrrev_b64 v[18:19], v3, v[50:51]
	v_lshrrev_b32_e32 v13, 23, v18
	v_add3_u32 v13, v3, v7, v13
	v_bfe_u32 v3, v18, 21, 1
	v_add_u32_e32 v3, -1, v3
	v_cndmask_b32_e32 v3, 0, v3, vcc
	v_add_u32_e32 v3, v3, v18
	v_and_b32_e32 v3, 0x1fffff, v3
	v_add_co_u32_e32 v18, vcc, v3, v18
	v_add_u32_e32 v7, 14, v13
	v_addc_co_u32_e32 v19, vcc, 0, v19, vcc
	v_cmp_ne_u32_e32 vcc, 0, v7
                                        ; implicit-def: $vgpr3
	s_and_saveexec_b64 s[30:31], vcc
	s_xor_b64 s[30:31], exec, s[30:31]
; %bb.9432:                             ;   in Loop: Header=BB6_9340 Depth=3
	v_add_u32_e32 v3, 15, v13
	v_cmp_lt_u64_e32 vcc, s[56:57], v[18:19]
	v_cndmask_b32_e32 v3, v7, v3, vcc
	v_cndmask_b32_e64 v7, 0, 1, vcc
	v_lshrrev_b64 v[18:19], v7, v[18:19]
; %bb.9433:                             ;   in Loop: Header=BB6_9340 Depth=3
	s_andn2_saveexec_b64 vcc, s[30:31]
; %bb.9434:                             ;   in Loop: Header=BB6_9340 Depth=3
	v_bfe_u32 v3, v18, 23, 1
; %bb.9435:                             ;   in Loop: Header=BB6_9340 Depth=3
	s_or_b64 exec, exec, vcc
	v_lshrrev_b64 v[18:19], 21, v[18:19]
	v_cmp_gt_i32_e32 vcc, 32, v3
	v_cndmask_b32_e32 v19, 0, v19, vcc
	v_cndmask_b32_e32 v18, 3, v18, vcc
	v_cmp_ne_u32_e32 vcc, 0, v3
	v_cmp_ne_u64_e64 s[30:31], 0, v[18:19]
	s_or_b64 vcc, vcc, s[30:31]
                                        ; implicit-def: $vgpr19
	s_and_saveexec_b64 s[30:31], vcc
	s_xor_b64 vcc, exec, s[30:31]
; %bb.9436:                             ;   in Loop: Header=BB6_9340 Depth=3
	v_min_i32_e32 v3, 31, v3
	v_lshl_or_b32 v1, v3, 2, v1
	v_and_or_b32 v19, v18, 3, v1
                                        ; implicit-def: $vgpr1
; %bb.9437:                             ;   in Loop: Header=BB6_9340 Depth=3
	s_andn2_saveexec_b64 vcc, vcc
; %bb.9438:                             ;   in Loop: Header=BB6_9340 Depth=3
	v_mov_b32_e32 v19, v1
; %bb.9439:                             ;   in Loop: Header=BB6_9340 Depth=3
	s_or_b64 exec, exec, vcc
.LBB6_9440:                             ;   in Loop: Header=BB6_9340 Depth=3
	s_or_b64 exec, exec, s[74:75]
.LBB6_9441:                             ;   in Loop: Header=BB6_9340 Depth=3
	s_andn2_saveexec_b64 vcc, s[72:73]
	s_or_b64 exec, exec, vcc
                                        ; implicit-def: $vgpr3
.LBB6_9442:                             ;   in Loop: Header=BB6_9340 Depth=3
	s_andn2_saveexec_b64 s[30:31], s[70:71]
; %bb.9443:                             ;   in Loop: Header=BB6_9340 Depth=3
	v_or_b32_sdwa v1, v3, s39 dst_sel:DWORD dst_unused:UNUSED_PAD src0_sel:BYTE_3 src1_sel:DWORD
	v_cmp_eq_u64_e32 vcc, 0, v[50:51]
	v_cndmask_b32_e32 v19, v1, v19, vcc
; %bb.9444:                             ;   in Loop: Header=BB6_9340 Depth=3
	s_or_b64 exec, exec, s[30:31]
	v_and_b32_e32 v1, 0xff, v16
	s_and_b64 vcc, exec, s[28:29]
	v_cmp_ne_u16_e64 s[30:31], 0, v16
	s_cbranch_vccnz .LBB6_9462
; %bb.9445:                             ;   in Loop: Header=BB6_9340 Depth=3
	v_mov_b32_e32 v7, 0
	v_mov_b32_e32 v3, 0
	s_and_saveexec_b64 s[70:71], s[30:31]
	s_cbranch_execz .LBB6_9453
; %bb.9446:                             ;   in Loop: Header=BB6_9340 Depth=3
	v_cmp_ne_u16_e32 vcc, s94, v16
	v_bfrev_b32_e32 v3, 1
	s_and_saveexec_b64 s[72:73], vcc
	s_cbranch_execz .LBB6_9452
; %bb.9447:                             ;   in Loop: Header=BB6_9340 Depth=3
	v_and_b32_e32 v3, 0x7c, v1
	v_and_b32_e32 v13, 3, v1
	v_cmp_ne_u32_e32 vcc, s95, v3
                                        ; implicit-def: $vgpr3
	s_and_saveexec_b64 s[74:75], vcc
	s_xor_b64 s[74:75], exec, s[74:75]
	s_cbranch_execz .LBB6_9449
; %bb.9448:                             ;   in Loop: Header=BB6_9340 Depth=3
	v_ffbh_u32_e32 v18, v13
	v_min_u32_e32 v18, 32, v18
	v_mov_b32_e32 v17, v51
	v_bfe_u32 v3, v1, 2, 5
	v_subrev_u32_e32 v20, 29, v18
	v_lshlrev_b64 v[20:21], v20, v[16:17]
	v_sub_u32_e32 v17, 30, v18
	v_cmp_eq_u32_e32 vcc, 0, v3
	v_cndmask_b32_e32 v3, v3, v17, vcc
	v_bfrev_b32_e32 v17, 28
	v_bfe_i32 v15, v16, 0, 16
	v_and_b32_e32 v18, 3, v20
	v_lshl_add_u32 v3, v3, 23, v17
	v_cndmask_b32_e32 v13, v13, v18, vcc
	v_and_or_b32 v3, v15, s96, v3
	v_lshl_or_b32 v3, v13, 21, v3
                                        ; implicit-def: $vgpr13
.LBB6_9449:                             ;   in Loop: Header=BB6_9340 Depth=3
	s_andn2_saveexec_b64 s[74:75], s[74:75]
; %bb.9450:                             ;   in Loop: Header=BB6_9340 Depth=3
	v_cmp_lt_i16_e32 vcc, -1, v16
	v_mov_b32_e32 v3, 0xc7600000
	v_mov_b32_e32 v15, 0x47600000
	v_cndmask_b32_e32 v3, v3, v15, vcc
	v_cmp_eq_u32_e32 vcc, 0, v13
	v_mov_b32_e32 v13, 0x7f800001
	v_cndmask_b32_e32 v3, v13, v3, vcc
; %bb.9451:                             ;   in Loop: Header=BB6_9340 Depth=3
	s_or_b64 exec, exec, s[74:75]
.LBB6_9452:                             ;   in Loop: Header=BB6_9340 Depth=3
	s_or_b64 exec, exec, s[72:73]
.LBB6_9453:                             ;   in Loop: Header=BB6_9340 Depth=3
	s_or_b64 exec, exec, s[70:71]
	v_cmp_ne_u16_e32 vcc, 0, v12
	s_and_saveexec_b64 s[70:71], vcc
	s_cbranch_execz .LBB6_9461
; %bb.9454:                             ;   in Loop: Header=BB6_9340 Depth=3
	v_cmp_ne_u16_e32 vcc, s94, v12
	v_bfrev_b32_e32 v7, 1
	s_and_saveexec_b64 s[72:73], vcc
	s_cbranch_execz .LBB6_9460
; %bb.9455:                             ;   in Loop: Header=BB6_9340 Depth=3
	v_and_b32_e32 v7, 0x7c, v12
	v_and_b32_e32 v15, 3, v12
	v_cmp_ne_u32_e32 vcc, s95, v7
                                        ; implicit-def: $vgpr7
	s_and_saveexec_b64 s[74:75], vcc
	s_xor_b64 s[74:75], exec, s[74:75]
	s_cbranch_execz .LBB6_9457
; %bb.9456:                             ;   in Loop: Header=BB6_9340 Depth=3
	v_ffbh_u32_e32 v18, v15
	v_min_u32_e32 v18, 32, v18
	v_and_b32_e32 v7, 0xff, v12
	v_mov_b32_e32 v13, v51
	v_subrev_u32_e32 v20, 29, v18
	v_bfe_u32 v7, v7, 2, 5
	v_lshlrev_b64 v[20:21], v20, v[12:13]
	v_sub_u32_e32 v13, 30, v18
	v_and_b32_e32 v18, 3, v20
	v_cmp_eq_u32_e32 vcc, 0, v7
	v_cndmask_b32_e32 v7, v7, v13, vcc
	v_cndmask_b32_e32 v13, v15, v18, vcc
	v_bfrev_b32_e32 v15, 28
	v_bfe_i32 v17, v12, 0, 16
	v_lshl_add_u32 v7, v7, 23, v15
	v_and_or_b32 v7, v17, s96, v7
	v_lshl_or_b32 v7, v13, 21, v7
                                        ; implicit-def: $vgpr15
.LBB6_9457:                             ;   in Loop: Header=BB6_9340 Depth=3
	s_andn2_saveexec_b64 s[74:75], s[74:75]
; %bb.9458:                             ;   in Loop: Header=BB6_9340 Depth=3
	v_cmp_lt_i16_e32 vcc, -1, v12
	v_mov_b32_e32 v7, 0xc7600000
	v_mov_b32_e32 v13, 0x47600000
	v_cndmask_b32_e32 v7, v7, v13, vcc
	v_cmp_eq_u32_e32 vcc, 0, v15
	v_mov_b32_e32 v13, 0x7f800001
	v_cndmask_b32_e32 v7, v13, v7, vcc
; %bb.9459:                             ;   in Loop: Header=BB6_9340 Depth=3
	s_or_b64 exec, exec, s[74:75]
.LBB6_9460:                             ;   in Loop: Header=BB6_9340 Depth=3
	s_or_b64 exec, exec, s[72:73]
.LBB6_9461:                             ;   in Loop: Header=BB6_9340 Depth=3
	s_or_b64 exec, exec, s[70:71]
	v_max_f32_e32 v7, v7, v7
	v_max_f32_e32 v3, v3, v3
	;; [unrolled: 1-line block ×3, first 2 shown]
	s_branch .LBB6_9480
.LBB6_9462:                             ;   in Loop: Header=BB6_9340 Depth=3
                                        ; implicit-def: $vgpr3
	s_cbranch_execz .LBB6_9480
; %bb.9463:                             ;   in Loop: Header=BB6_9340 Depth=3
	v_mov_b32_e32 v7, 0
	v_mov_b32_e32 v3, 0
	s_and_saveexec_b64 s[70:71], s[30:31]
	s_cbranch_execz .LBB6_9471
; %bb.9464:                             ;   in Loop: Header=BB6_9340 Depth=3
	v_cmp_ne_u16_e32 vcc, s94, v16
	v_bfrev_b32_e32 v3, 1
	s_and_saveexec_b64 s[30:31], vcc
	s_cbranch_execz .LBB6_9470
; %bb.9465:                             ;   in Loop: Header=BB6_9340 Depth=3
	v_and_b32_e32 v3, 0x7c, v1
	v_and_b32_e32 v13, 3, v1
	v_cmp_ne_u32_e32 vcc, s95, v3
                                        ; implicit-def: $vgpr3
	s_and_saveexec_b64 s[72:73], vcc
	s_xor_b64 s[72:73], exec, s[72:73]
	s_cbranch_execz .LBB6_9467
; %bb.9466:                             ;   in Loop: Header=BB6_9340 Depth=3
	v_ffbh_u32_e32 v15, v13
	v_bfe_u32 v1, v1, 2, 5
	v_min_u32_e32 v15, 32, v15
	v_mov_b32_e32 v17, v51
	v_subrev_u32_e32 v18, 29, v15
	v_sub_u32_e32 v15, 30, v15
	v_cmp_eq_u32_e32 vcc, 0, v1
	v_bfe_i32 v3, v16, 0, 16
	v_lshlrev_b64 v[16:17], v18, v[16:17]
	v_cndmask_b32_e32 v1, v1, v15, vcc
	v_bfrev_b32_e32 v15, 28
	v_and_b32_e32 v16, 3, v16
	v_lshl_add_u32 v1, v1, 23, v15
	v_cndmask_b32_e32 v13, v13, v16, vcc
	v_and_or_b32 v1, v3, s96, v1
	v_lshl_or_b32 v3, v13, 21, v1
                                        ; implicit-def: $vgpr13
                                        ; implicit-def: $vgpr16
.LBB6_9467:                             ;   in Loop: Header=BB6_9340 Depth=3
	s_andn2_saveexec_b64 s[72:73], s[72:73]
; %bb.9468:                             ;   in Loop: Header=BB6_9340 Depth=3
	v_cmp_lt_i16_e32 vcc, -1, v16
	v_mov_b32_e32 v1, 0xc7600000
	v_mov_b32_e32 v3, 0x47600000
	v_cndmask_b32_e32 v1, v1, v3, vcc
	v_cmp_eq_u32_e32 vcc, 0, v13
	v_mov_b32_e32 v3, 0x7f800001
	v_cndmask_b32_e32 v3, v3, v1, vcc
; %bb.9469:                             ;   in Loop: Header=BB6_9340 Depth=3
	s_or_b64 exec, exec, s[72:73]
.LBB6_9470:                             ;   in Loop: Header=BB6_9340 Depth=3
	s_or_b64 exec, exec, s[30:31]
.LBB6_9471:                             ;   in Loop: Header=BB6_9340 Depth=3
	s_or_b64 exec, exec, s[70:71]
	v_cmp_ne_u16_e32 vcc, 0, v12
	s_and_saveexec_b64 s[30:31], vcc
	s_cbranch_execz .LBB6_9479
; %bb.9472:                             ;   in Loop: Header=BB6_9340 Depth=3
	v_cmp_ne_u16_e32 vcc, s94, v12
	v_bfrev_b32_e32 v7, 1
	s_and_saveexec_b64 s[70:71], vcc
	s_cbranch_execz .LBB6_9478
; %bb.9473:                             ;   in Loop: Header=BB6_9340 Depth=3
	v_and_b32_e32 v7, 0x7c, v12
	v_and_b32_e32 v1, 3, v12
	v_cmp_ne_u32_e32 vcc, s95, v7
                                        ; implicit-def: $vgpr7
	s_and_saveexec_b64 s[72:73], vcc
	s_xor_b64 s[72:73], exec, s[72:73]
	s_cbranch_execz .LBB6_9475
; %bb.9474:                             ;   in Loop: Header=BB6_9340 Depth=3
	v_ffbh_u32_e32 v16, v1
	v_min_u32_e32 v16, 32, v16
	v_and_b32_e32 v7, 0xff, v12
	v_mov_b32_e32 v13, v51
	v_subrev_u32_e32 v17, 29, v16
	v_bfe_u32 v7, v7, 2, 5
	v_bfe_i32 v15, v12, 0, 16
	v_lshlrev_b64 v[12:13], v17, v[12:13]
	v_sub_u32_e32 v13, 30, v16
	v_and_b32_e32 v12, 3, v12
	v_cmp_eq_u32_e32 vcc, 0, v7
	v_cndmask_b32_e32 v7, v7, v13, vcc
	v_cndmask_b32_e32 v1, v1, v12, vcc
	v_bfrev_b32_e32 v12, 28
	v_lshl_add_u32 v7, v7, 23, v12
	v_and_or_b32 v7, v15, s96, v7
	v_lshl_or_b32 v7, v1, 21, v7
                                        ; implicit-def: $vgpr1
                                        ; implicit-def: $vgpr12
.LBB6_9475:                             ;   in Loop: Header=BB6_9340 Depth=3
	s_andn2_saveexec_b64 s[72:73], s[72:73]
; %bb.9476:                             ;   in Loop: Header=BB6_9340 Depth=3
	v_cmp_lt_i16_e32 vcc, -1, v12
	v_mov_b32_e32 v7, 0xc7600000
	v_mov_b32_e32 v12, 0x47600000
	v_cndmask_b32_e32 v7, v7, v12, vcc
	v_cmp_eq_u32_e32 vcc, 0, v1
	v_mov_b32_e32 v1, 0x7f800001
	v_cndmask_b32_e32 v7, v1, v7, vcc
; %bb.9477:                             ;   in Loop: Header=BB6_9340 Depth=3
	s_or_b64 exec, exec, s[72:73]
.LBB6_9478:                             ;   in Loop: Header=BB6_9340 Depth=3
	s_or_b64 exec, exec, s[70:71]
.LBB6_9479:                             ;   in Loop: Header=BB6_9340 Depth=3
	s_or_b64 exec, exec, s[30:31]
	v_max_f32_e32 v1, v7, v7
	v_max_f32_e32 v3, v3, v3
	v_min_f32_e32 v3, v3, v1
.LBB6_9480:                             ;   in Loop: Header=BB6_9340 Depth=3
	v_and_b32_sdwa v1, v3, s97 dst_sel:DWORD dst_unused:UNUSED_PAD src0_sel:BYTE_3 src1_sel:DWORD
	v_and_b32_e32 v12, 0x7f800000, v3
	v_mov_b32_e32 v13, v51
	v_and_b32_e32 v50, 0x7fffff, v3
	v_or_b32_e32 v16, 0x7b, v1
	v_cmp_ne_u64_e32 vcc, s[52:53], v[12:13]
	s_and_saveexec_b64 s[30:31], vcc
	s_xor_b64 s[70:71], exec, s[30:31]
	s_cbranch_execz .LBB6_9494
; %bb.9481:                             ;   in Loop: Header=BB6_9340 Depth=3
	v_and_b32_e32 v12, 0x7fffffff, v3
	v_mov_b32_e32 v13, v51
	v_cmp_gt_u64_e32 vcc, s[54:55], v[12:13]
	s_and_saveexec_b64 s[30:31], vcc
	s_xor_b64 s[72:73], exec, s[30:31]
	s_cbranch_execz .LBB6_9493
; %bb.9482:                             ;   in Loop: Header=BB6_9340 Depth=3
	v_cmp_ne_u32_e32 vcc, 0, v3
	v_mov_b32_e32 v16, 0
	s_and_saveexec_b64 s[74:75], vcc
	s_cbranch_execz .LBB6_9492
; %bb.9483:                             ;   in Loop: Header=BB6_9340 Depth=3
	v_bfe_u32 v3, v3, 23, 8
	v_cmp_eq_u32_e32 vcc, 0, v3
	v_add_u32_e32 v7, 0xffffff81, v3
	v_cmp_gt_u32_e64 s[30:31], s38, v3
	v_sub_u32_e32 v3, 0x71, v3
	v_mov_b32_e32 v13, 0xffffff82
	v_cndmask_b32_e64 v3, 0, v3, s[30:31]
	v_cndmask_b32_e32 v7, v7, v13, vcc
	v_mov_b32_e32 v13, 0x70
	v_or_b32_e32 v12, 0x800000, v50
	v_cndmask_b32_e32 v3, v3, v13, vcc
	v_cndmask_b32_e32 v50, v12, v50, vcc
	v_add_u32_e32 v12, 21, v3
	v_lshlrev_b64 v[12:13], v12, -1
	v_not_b32_e32 v13, v13
	v_not_b32_e32 v12, v12
	v_add_u32_e32 v15, 20, v3
	v_and_b32_e32 v13, 0, v13
	v_and_b32_e32 v12, v50, v12
	v_lshlrev_b64 v[16:17], v15, 1
	v_cmp_eq_u64_e32 vcc, v[12:13], v[16:17]
	v_lshrrev_b64 v[12:13], v3, v[50:51]
	v_lshrrev_b32_e32 v15, 23, v12
	v_add3_u32 v15, v3, v7, v15
	v_bfe_u32 v3, v12, 21, 1
	v_add_u32_e32 v3, -1, v3
	v_cndmask_b32_e32 v3, 0, v3, vcc
	v_add_u32_e32 v3, v3, v12
	v_and_b32_e32 v3, 0x1fffff, v3
	v_add_co_u32_e32 v12, vcc, v3, v12
	v_add_u32_e32 v7, 14, v15
	v_addc_co_u32_e32 v13, vcc, 0, v13, vcc
	v_cmp_ne_u32_e32 vcc, 0, v7
                                        ; implicit-def: $vgpr3
	s_and_saveexec_b64 s[30:31], vcc
	s_xor_b64 s[30:31], exec, s[30:31]
; %bb.9484:                             ;   in Loop: Header=BB6_9340 Depth=3
	v_add_u32_e32 v3, 15, v15
	v_cmp_lt_u64_e32 vcc, s[56:57], v[12:13]
	v_cndmask_b32_e32 v3, v7, v3, vcc
	v_cndmask_b32_e64 v7, 0, 1, vcc
	v_lshrrev_b64 v[12:13], v7, v[12:13]
; %bb.9485:                             ;   in Loop: Header=BB6_9340 Depth=3
	s_andn2_saveexec_b64 vcc, s[30:31]
; %bb.9486:                             ;   in Loop: Header=BB6_9340 Depth=3
	v_bfe_u32 v3, v12, 23, 1
; %bb.9487:                             ;   in Loop: Header=BB6_9340 Depth=3
	s_or_b64 exec, exec, vcc
	v_lshrrev_b64 v[12:13], 21, v[12:13]
	v_cmp_gt_i32_e32 vcc, 32, v3
	v_cndmask_b32_e32 v13, 0, v13, vcc
	v_cndmask_b32_e32 v12, 3, v12, vcc
	v_cmp_ne_u32_e32 vcc, 0, v3
	v_cmp_ne_u64_e64 s[30:31], 0, v[12:13]
	s_or_b64 vcc, vcc, s[30:31]
                                        ; implicit-def: $vgpr16
	s_and_saveexec_b64 s[30:31], vcc
	s_xor_b64 vcc, exec, s[30:31]
; %bb.9488:                             ;   in Loop: Header=BB6_9340 Depth=3
	v_min_i32_e32 v3, 31, v3
	v_lshl_or_b32 v1, v3, 2, v1
	v_and_or_b32 v16, v12, 3, v1
                                        ; implicit-def: $vgpr1
; %bb.9489:                             ;   in Loop: Header=BB6_9340 Depth=3
	s_andn2_saveexec_b64 vcc, vcc
; %bb.9490:                             ;   in Loop: Header=BB6_9340 Depth=3
	v_mov_b32_e32 v16, v1
; %bb.9491:                             ;   in Loop: Header=BB6_9340 Depth=3
	s_or_b64 exec, exec, vcc
.LBB6_9492:                             ;   in Loop: Header=BB6_9340 Depth=3
	s_or_b64 exec, exec, s[74:75]
.LBB6_9493:                             ;   in Loop: Header=BB6_9340 Depth=3
	s_andn2_saveexec_b64 vcc, s[72:73]
	s_or_b64 exec, exec, vcc
                                        ; implicit-def: $vgpr3
.LBB6_9494:                             ;   in Loop: Header=BB6_9340 Depth=3
	s_andn2_saveexec_b64 s[30:31], s[70:71]
; %bb.9495:                             ;   in Loop: Header=BB6_9340 Depth=3
	v_or_b32_sdwa v1, v3, s39 dst_sel:DWORD dst_unused:UNUSED_PAD src0_sel:BYTE_3 src1_sel:DWORD
	v_cmp_eq_u64_e32 vcc, 0, v[50:51]
	v_cndmask_b32_e32 v16, v1, v16, vcc
; %bb.9496:                             ;   in Loop: Header=BB6_9340 Depth=3
	s_or_b64 exec, exec, s[30:31]
	v_and_b32_e32 v1, 0xff, v52
	s_and_b64 vcc, exec, s[28:29]
	v_cmp_ne_u16_e64 s[30:31], 0, v52
	s_cbranch_vccnz .LBB6_9514
; %bb.9497:                             ;   in Loop: Header=BB6_9340 Depth=3
	v_mov_b32_e32 v7, 0
	v_mov_b32_e32 v3, 0
	s_and_saveexec_b64 s[70:71], s[30:31]
	s_cbranch_execz .LBB6_9505
; %bb.9498:                             ;   in Loop: Header=BB6_9340 Depth=3
	v_cmp_ne_u16_e32 vcc, s94, v52
	v_bfrev_b32_e32 v3, 1
	s_and_saveexec_b64 s[72:73], vcc
	s_cbranch_execz .LBB6_9504
; %bb.9499:                             ;   in Loop: Header=BB6_9340 Depth=3
	v_and_b32_e32 v3, 0x7c, v1
	v_and_b32_e32 v12, 3, v1
	v_cmp_ne_u32_e32 vcc, s95, v3
                                        ; implicit-def: $vgpr3
	s_and_saveexec_b64 s[74:75], vcc
	s_xor_b64 s[74:75], exec, s[74:75]
	s_cbranch_execz .LBB6_9501
; %bb.9500:                             ;   in Loop: Header=BB6_9340 Depth=3
	v_ffbh_u32_e32 v15, v12
	v_bfe_u32 v3, v1, 2, 5
	v_min_u32_e32 v15, 32, v15
	v_mov_b32_e32 v53, v51
	v_subrev_u32_e32 v17, 29, v15
	v_sub_u32_e32 v15, 30, v15
	v_cmp_eq_u32_e32 vcc, 0, v3
	v_lshlrev_b64 v[20:21], v17, v[52:53]
	v_cndmask_b32_e32 v3, v3, v15, vcc
	v_bfrev_b32_e32 v15, 28
	v_bfe_i32 v13, v52, 0, 16
	v_and_b32_e32 v17, 3, v20
	v_lshl_add_u32 v3, v3, 23, v15
	v_cndmask_b32_e32 v12, v12, v17, vcc
	v_and_or_b32 v3, v13, s96, v3
	v_lshl_or_b32 v3, v12, 21, v3
                                        ; implicit-def: $vgpr12
.LBB6_9501:                             ;   in Loop: Header=BB6_9340 Depth=3
	s_andn2_saveexec_b64 s[74:75], s[74:75]
; %bb.9502:                             ;   in Loop: Header=BB6_9340 Depth=3
	v_cmp_lt_i16_e32 vcc, -1, v52
	v_mov_b32_e32 v3, 0xc7600000
	v_mov_b32_e32 v13, 0x47600000
	v_cndmask_b32_e32 v3, v3, v13, vcc
	v_cmp_eq_u32_e32 vcc, 0, v12
	v_mov_b32_e32 v12, 0x7f800001
	v_cndmask_b32_e32 v3, v12, v3, vcc
; %bb.9503:                             ;   in Loop: Header=BB6_9340 Depth=3
	s_or_b64 exec, exec, s[74:75]
.LBB6_9504:                             ;   in Loop: Header=BB6_9340 Depth=3
	s_or_b64 exec, exec, s[72:73]
.LBB6_9505:                             ;   in Loop: Header=BB6_9340 Depth=3
	s_or_b64 exec, exec, s[70:71]
	v_cmp_ne_u16_e32 vcc, 0, v48
	s_and_saveexec_b64 s[70:71], vcc
	s_cbranch_execz .LBB6_9513
; %bb.9506:                             ;   in Loop: Header=BB6_9340 Depth=3
	v_cmp_ne_u16_e32 vcc, s94, v48
	v_bfrev_b32_e32 v7, 1
	s_and_saveexec_b64 s[72:73], vcc
	s_cbranch_execz .LBB6_9512
; %bb.9507:                             ;   in Loop: Header=BB6_9340 Depth=3
	v_and_b32_e32 v7, 0x7c, v48
	v_and_b32_e32 v12, 3, v48
	v_cmp_ne_u32_e32 vcc, s95, v7
                                        ; implicit-def: $vgpr7
	s_and_saveexec_b64 s[74:75], vcc
	s_xor_b64 s[74:75], exec, s[74:75]
	s_cbranch_execz .LBB6_9509
; %bb.9508:                             ;   in Loop: Header=BB6_9340 Depth=3
	v_and_b32_e32 v7, 0xff, v48
	v_ffbh_u32_e32 v15, v12
	v_bfe_u32 v7, v7, 2, 5
	v_min_u32_e32 v15, 32, v15
	v_mov_b32_e32 v49, v51
	v_subrev_u32_e32 v17, 29, v15
	v_sub_u32_e32 v15, 30, v15
	v_cmp_eq_u32_e32 vcc, 0, v7
	v_lshlrev_b64 v[20:21], v17, v[48:49]
	v_cndmask_b32_e32 v7, v7, v15, vcc
	v_bfrev_b32_e32 v15, 28
	v_bfe_i32 v13, v48, 0, 16
	v_and_b32_e32 v17, 3, v20
	v_lshl_add_u32 v7, v7, 23, v15
	v_cndmask_b32_e32 v12, v12, v17, vcc
	v_and_or_b32 v7, v13, s96, v7
	v_lshl_or_b32 v7, v12, 21, v7
                                        ; implicit-def: $vgpr12
.LBB6_9509:                             ;   in Loop: Header=BB6_9340 Depth=3
	s_andn2_saveexec_b64 s[74:75], s[74:75]
; %bb.9510:                             ;   in Loop: Header=BB6_9340 Depth=3
	v_cmp_lt_i16_e32 vcc, -1, v48
	v_mov_b32_e32 v7, 0xc7600000
	v_mov_b32_e32 v13, 0x47600000
	v_cndmask_b32_e32 v7, v7, v13, vcc
	v_cmp_eq_u32_e32 vcc, 0, v12
	v_mov_b32_e32 v12, 0x7f800001
	v_cndmask_b32_e32 v7, v12, v7, vcc
; %bb.9511:                             ;   in Loop: Header=BB6_9340 Depth=3
	s_or_b64 exec, exec, s[74:75]
.LBB6_9512:                             ;   in Loop: Header=BB6_9340 Depth=3
	s_or_b64 exec, exec, s[72:73]
.LBB6_9513:                             ;   in Loop: Header=BB6_9340 Depth=3
	s_or_b64 exec, exec, s[70:71]
	v_max_f32_e32 v7, v7, v7
	v_max_f32_e32 v3, v3, v3
	;; [unrolled: 1-line block ×3, first 2 shown]
	s_branch .LBB6_9532
.LBB6_9514:                             ;   in Loop: Header=BB6_9340 Depth=3
                                        ; implicit-def: $vgpr3
	s_cbranch_execz .LBB6_9532
; %bb.9515:                             ;   in Loop: Header=BB6_9340 Depth=3
	v_mov_b32_e32 v7, 0
	v_mov_b32_e32 v3, 0
	s_and_saveexec_b64 s[70:71], s[30:31]
	s_cbranch_execz .LBB6_9523
; %bb.9516:                             ;   in Loop: Header=BB6_9340 Depth=3
	v_cmp_ne_u16_e32 vcc, s94, v52
	v_bfrev_b32_e32 v3, 1
	s_and_saveexec_b64 s[30:31], vcc
	s_cbranch_execz .LBB6_9522
; %bb.9517:                             ;   in Loop: Header=BB6_9340 Depth=3
	v_and_b32_e32 v3, 0x7c, v1
	v_and_b32_e32 v12, 3, v1
	v_cmp_ne_u32_e32 vcc, s95, v3
                                        ; implicit-def: $vgpr3
	s_and_saveexec_b64 s[72:73], vcc
	s_xor_b64 s[72:73], exec, s[72:73]
	s_cbranch_execz .LBB6_9519
; %bb.9518:                             ;   in Loop: Header=BB6_9340 Depth=3
	v_ffbh_u32_e32 v13, v12
	v_bfe_u32 v1, v1, 2, 5
	v_min_u32_e32 v13, 32, v13
	v_mov_b32_e32 v53, v51
	v_subrev_u32_e32 v15, 29, v13
	v_sub_u32_e32 v13, 30, v13
	v_cmp_eq_u32_e32 vcc, 0, v1
	v_lshlrev_b64 v[20:21], v15, v[52:53]
	v_cndmask_b32_e32 v1, v1, v13, vcc
	v_bfrev_b32_e32 v13, 28
	v_bfe_i32 v3, v52, 0, 16
	v_and_b32_e32 v15, 3, v20
	v_lshl_add_u32 v1, v1, 23, v13
	v_cndmask_b32_e32 v12, v12, v15, vcc
	v_and_or_b32 v1, v3, s96, v1
	v_lshl_or_b32 v3, v12, 21, v1
                                        ; implicit-def: $vgpr12
                                        ; implicit-def: $vgpr52
.LBB6_9519:                             ;   in Loop: Header=BB6_9340 Depth=3
	s_andn2_saveexec_b64 s[72:73], s[72:73]
; %bb.9520:                             ;   in Loop: Header=BB6_9340 Depth=3
	v_cmp_lt_i16_e32 vcc, -1, v52
	v_mov_b32_e32 v1, 0xc7600000
	v_mov_b32_e32 v3, 0x47600000
	v_cndmask_b32_e32 v1, v1, v3, vcc
	v_cmp_eq_u32_e32 vcc, 0, v12
	v_mov_b32_e32 v3, 0x7f800001
	v_cndmask_b32_e32 v3, v3, v1, vcc
; %bb.9521:                             ;   in Loop: Header=BB6_9340 Depth=3
	s_or_b64 exec, exec, s[72:73]
.LBB6_9522:                             ;   in Loop: Header=BB6_9340 Depth=3
	s_or_b64 exec, exec, s[30:31]
.LBB6_9523:                             ;   in Loop: Header=BB6_9340 Depth=3
	s_or_b64 exec, exec, s[70:71]
	v_cmp_ne_u16_e32 vcc, 0, v48
	s_and_saveexec_b64 s[30:31], vcc
	s_cbranch_execz .LBB6_9531
; %bb.9524:                             ;   in Loop: Header=BB6_9340 Depth=3
	v_cmp_ne_u16_e32 vcc, s94, v48
	v_bfrev_b32_e32 v7, 1
	s_and_saveexec_b64 s[70:71], vcc
	s_cbranch_execz .LBB6_9530
; %bb.9525:                             ;   in Loop: Header=BB6_9340 Depth=3
	v_and_b32_e32 v7, 0x7c, v48
	v_and_b32_e32 v1, 3, v48
	v_cmp_ne_u32_e32 vcc, s95, v7
                                        ; implicit-def: $vgpr7
	s_and_saveexec_b64 s[72:73], vcc
	s_xor_b64 s[72:73], exec, s[72:73]
	s_cbranch_execz .LBB6_9527
; %bb.9526:                             ;   in Loop: Header=BB6_9340 Depth=3
	v_ffbh_u32_e32 v12, v1
	v_min_u32_e32 v17, 32, v12
	v_and_b32_e32 v7, 0xff, v48
	v_mov_b32_e32 v49, v51
	v_subrev_u32_e32 v12, 29, v17
	v_bfe_u32 v7, v7, 2, 5
	v_lshlrev_b64 v[12:13], v12, v[48:49]
	v_sub_u32_e32 v13, 30, v17
	v_and_b32_e32 v12, 3, v12
	v_cmp_eq_u32_e32 vcc, 0, v7
	v_cndmask_b32_e32 v7, v7, v13, vcc
	v_cndmask_b32_e32 v1, v1, v12, vcc
	v_bfrev_b32_e32 v12, 28
	v_bfe_i32 v15, v48, 0, 16
	v_lshl_add_u32 v7, v7, 23, v12
	v_and_or_b32 v7, v15, s96, v7
	v_lshl_or_b32 v7, v1, 21, v7
                                        ; implicit-def: $vgpr1
                                        ; implicit-def: $vgpr48
.LBB6_9527:                             ;   in Loop: Header=BB6_9340 Depth=3
	s_andn2_saveexec_b64 s[72:73], s[72:73]
; %bb.9528:                             ;   in Loop: Header=BB6_9340 Depth=3
	v_cmp_lt_i16_e32 vcc, -1, v48
	v_mov_b32_e32 v7, 0xc7600000
	v_mov_b32_e32 v12, 0x47600000
	v_cndmask_b32_e32 v7, v7, v12, vcc
	v_cmp_eq_u32_e32 vcc, 0, v1
	v_mov_b32_e32 v1, 0x7f800001
	v_cndmask_b32_e32 v7, v1, v7, vcc
; %bb.9529:                             ;   in Loop: Header=BB6_9340 Depth=3
	s_or_b64 exec, exec, s[72:73]
.LBB6_9530:                             ;   in Loop: Header=BB6_9340 Depth=3
	s_or_b64 exec, exec, s[70:71]
.LBB6_9531:                             ;   in Loop: Header=BB6_9340 Depth=3
	s_or_b64 exec, exec, s[30:31]
	v_max_f32_e32 v1, v7, v7
	v_max_f32_e32 v3, v3, v3
	v_min_f32_e32 v3, v3, v1
.LBB6_9532:                             ;   in Loop: Header=BB6_9340 Depth=3
	v_and_b32_sdwa v1, v3, s97 dst_sel:DWORD dst_unused:UNUSED_PAD src0_sel:BYTE_3 src1_sel:DWORD
	v_and_b32_e32 v50, 0x7fffff, v3
	v_or_b32_e32 v17, 0x7b, v1
	v_and_b32_e32 v12, 0x7f800000, v3
	v_mov_b32_e32 v13, v51
	v_cmp_ne_u64_e32 vcc, s[52:53], v[12:13]
	s_mov_b64 s[30:31], exec
	s_and_b64 vcc, s[30:31], vcc
	s_xor_b64 s[70:71], vcc, s[30:31]
	v_accvgpr_read_b32 v48, a58
	v_accvgpr_read_b32 v52, a0
	s_mov_b64 exec, vcc
	s_cbranch_execz .LBB6_9546
; %bb.9533:                             ;   in Loop: Header=BB6_9340 Depth=3
	v_and_b32_e32 v12, 0x7fffffff, v3
	v_mov_b32_e32 v13, v51
	v_cmp_gt_u64_e32 vcc, s[54:55], v[12:13]
	s_and_saveexec_b64 s[30:31], vcc
	s_xor_b64 s[72:73], exec, s[30:31]
	s_cbranch_execz .LBB6_9545
; %bb.9534:                             ;   in Loop: Header=BB6_9340 Depth=3
	v_cmp_ne_u32_e32 vcc, 0, v3
	v_mov_b32_e32 v17, 0
	s_and_saveexec_b64 s[74:75], vcc
	s_cbranch_execz .LBB6_9544
; %bb.9535:                             ;   in Loop: Header=BB6_9340 Depth=3
	v_bfe_u32 v3, v3, 23, 8
	v_cmp_eq_u32_e32 vcc, 0, v3
	v_add_u32_e32 v7, 0xffffff81, v3
	v_cmp_gt_u32_e64 s[30:31], s38, v3
	v_sub_u32_e32 v3, 0x71, v3
	v_mov_b32_e32 v13, 0xffffff82
	v_cndmask_b32_e64 v3, 0, v3, s[30:31]
	v_cndmask_b32_e32 v7, v7, v13, vcc
	v_mov_b32_e32 v13, 0x70
	v_or_b32_e32 v12, 0x800000, v50
	v_cndmask_b32_e32 v3, v3, v13, vcc
	v_cndmask_b32_e32 v50, v12, v50, vcc
	v_add_u32_e32 v12, 21, v3
	v_lshlrev_b64 v[12:13], v12, -1
	v_not_b32_e32 v13, v13
	v_not_b32_e32 v12, v12
	v_add_u32_e32 v15, 20, v3
	v_and_b32_e32 v13, 0, v13
	v_and_b32_e32 v12, v50, v12
	v_lshlrev_b64 v[20:21], v15, 1
	v_cmp_eq_u64_e32 vcc, v[12:13], v[20:21]
	v_lshrrev_b64 v[12:13], v3, v[50:51]
	v_lshrrev_b32_e32 v15, 23, v12
	v_add3_u32 v15, v3, v7, v15
	v_bfe_u32 v3, v12, 21, 1
	v_add_u32_e32 v3, -1, v3
	v_cndmask_b32_e32 v3, 0, v3, vcc
	v_add_u32_e32 v3, v3, v12
	v_and_b32_e32 v3, 0x1fffff, v3
	v_add_co_u32_e32 v12, vcc, v3, v12
	v_add_u32_e32 v7, 14, v15
	v_addc_co_u32_e32 v13, vcc, 0, v13, vcc
	v_cmp_ne_u32_e32 vcc, 0, v7
                                        ; implicit-def: $vgpr3
	s_and_saveexec_b64 s[30:31], vcc
	s_xor_b64 s[30:31], exec, s[30:31]
; %bb.9536:                             ;   in Loop: Header=BB6_9340 Depth=3
	v_add_u32_e32 v3, 15, v15
	v_cmp_lt_u64_e32 vcc, s[56:57], v[12:13]
	v_cndmask_b32_e32 v3, v7, v3, vcc
	v_cndmask_b32_e64 v7, 0, 1, vcc
	v_lshrrev_b64 v[12:13], v7, v[12:13]
; %bb.9537:                             ;   in Loop: Header=BB6_9340 Depth=3
	s_andn2_saveexec_b64 vcc, s[30:31]
; %bb.9538:                             ;   in Loop: Header=BB6_9340 Depth=3
	v_bfe_u32 v3, v12, 23, 1
; %bb.9539:                             ;   in Loop: Header=BB6_9340 Depth=3
	s_or_b64 exec, exec, vcc
	v_lshrrev_b64 v[12:13], 21, v[12:13]
	v_cmp_gt_i32_e32 vcc, 32, v3
	v_cndmask_b32_e32 v13, 0, v13, vcc
	v_cndmask_b32_e32 v12, 3, v12, vcc
	v_cmp_ne_u32_e32 vcc, 0, v3
	v_cmp_ne_u64_e64 s[30:31], 0, v[12:13]
	s_or_b64 vcc, vcc, s[30:31]
                                        ; implicit-def: $vgpr17
	s_and_saveexec_b64 s[30:31], vcc
	s_xor_b64 vcc, exec, s[30:31]
; %bb.9540:                             ;   in Loop: Header=BB6_9340 Depth=3
	v_min_i32_e32 v3, 31, v3
	v_lshl_or_b32 v1, v3, 2, v1
	v_and_or_b32 v17, v12, 3, v1
                                        ; implicit-def: $vgpr1
; %bb.9541:                             ;   in Loop: Header=BB6_9340 Depth=3
	s_andn2_saveexec_b64 vcc, vcc
; %bb.9542:                             ;   in Loop: Header=BB6_9340 Depth=3
	v_mov_b32_e32 v17, v1
; %bb.9543:                             ;   in Loop: Header=BB6_9340 Depth=3
	s_or_b64 exec, exec, vcc
.LBB6_9544:                             ;   in Loop: Header=BB6_9340 Depth=3
	s_or_b64 exec, exec, s[74:75]
.LBB6_9545:                             ;   in Loop: Header=BB6_9340 Depth=3
	s_andn2_saveexec_b64 vcc, s[72:73]
	s_or_b64 exec, exec, vcc
                                        ; implicit-def: $vgpr3
.LBB6_9546:                             ;   in Loop: Header=BB6_9340 Depth=3
	s_andn2_saveexec_b64 s[30:31], s[70:71]
; %bb.9547:                             ;   in Loop: Header=BB6_9340 Depth=3
	v_or_b32_sdwa v1, v3, s39 dst_sel:DWORD dst_unused:UNUSED_PAD src0_sel:BYTE_3 src1_sel:DWORD
	v_cmp_eq_u64_e32 vcc, 0, v[50:51]
	v_cndmask_b32_e32 v17, v1, v17, vcc
; %bb.9548:                             ;   in Loop: Header=BB6_9340 Depth=3
	s_or_b64 exec, exec, s[30:31]
	v_and_b32_e32 v1, 0xff, v58
	s_and_b64 vcc, exec, s[28:29]
	v_cmp_ne_u16_e64 s[30:31], 0, v58
	s_cbranch_vccnz .LBB6_9566
; %bb.9549:                             ;   in Loop: Header=BB6_9340 Depth=3
	v_mov_b32_e32 v7, 0
	v_mov_b32_e32 v3, 0
	s_and_saveexec_b64 s[70:71], s[30:31]
	s_cbranch_execz .LBB6_9557
; %bb.9550:                             ;   in Loop: Header=BB6_9340 Depth=3
	v_cmp_ne_u16_e32 vcc, s94, v58
	v_bfrev_b32_e32 v3, 1
	s_and_saveexec_b64 s[72:73], vcc
	s_cbranch_execz .LBB6_9556
; %bb.9551:                             ;   in Loop: Header=BB6_9340 Depth=3
	v_and_b32_e32 v3, 0x7c, v1
	v_and_b32_e32 v12, 3, v1
	v_cmp_ne_u32_e32 vcc, s95, v3
                                        ; implicit-def: $vgpr3
	s_and_saveexec_b64 s[74:75], vcc
	s_xor_b64 s[74:75], exec, s[74:75]
	s_cbranch_execz .LBB6_9553
; %bb.9552:                             ;   in Loop: Header=BB6_9340 Depth=3
	v_ffbh_u32_e32 v15, v12
	v_bfe_u32 v3, v1, 2, 5
	v_min_u32_e32 v15, 32, v15
	v_mov_b32_e32 v59, v51
	v_subrev_u32_e32 v18, 29, v15
	v_sub_u32_e32 v15, 30, v15
	v_cmp_eq_u32_e32 vcc, 0, v3
	v_lshlrev_b64 v[20:21], v18, v[58:59]
	v_cndmask_b32_e32 v3, v3, v15, vcc
	v_bfrev_b32_e32 v15, 28
	v_bfe_i32 v13, v58, 0, 16
	v_and_b32_e32 v18, 3, v20
	v_lshl_add_u32 v3, v3, 23, v15
	v_cndmask_b32_e32 v12, v12, v18, vcc
	v_and_or_b32 v3, v13, s96, v3
	v_lshl_or_b32 v3, v12, 21, v3
                                        ; implicit-def: $vgpr12
.LBB6_9553:                             ;   in Loop: Header=BB6_9340 Depth=3
	s_andn2_saveexec_b64 s[74:75], s[74:75]
; %bb.9554:                             ;   in Loop: Header=BB6_9340 Depth=3
	v_cmp_lt_i16_e32 vcc, -1, v58
	v_mov_b32_e32 v3, 0xc7600000
	v_mov_b32_e32 v13, 0x47600000
	v_cndmask_b32_e32 v3, v3, v13, vcc
	v_cmp_eq_u32_e32 vcc, 0, v12
	v_mov_b32_e32 v12, 0x7f800001
	v_cndmask_b32_e32 v3, v12, v3, vcc
; %bb.9555:                             ;   in Loop: Header=BB6_9340 Depth=3
	s_or_b64 exec, exec, s[74:75]
.LBB6_9556:                             ;   in Loop: Header=BB6_9340 Depth=3
	s_or_b64 exec, exec, s[72:73]
.LBB6_9557:                             ;   in Loop: Header=BB6_9340 Depth=3
	s_or_b64 exec, exec, s[70:71]
	v_cmp_ne_u16_e32 vcc, 0, v34
	s_and_saveexec_b64 s[70:71], vcc
	s_cbranch_execz .LBB6_9565
; %bb.9558:                             ;   in Loop: Header=BB6_9340 Depth=3
	v_cmp_ne_u16_e32 vcc, s94, v34
	v_bfrev_b32_e32 v7, 1
	s_and_saveexec_b64 s[72:73], vcc
	s_cbranch_execz .LBB6_9564
; %bb.9559:                             ;   in Loop: Header=BB6_9340 Depth=3
	v_and_b32_e32 v7, 0x7c, v34
	v_and_b32_e32 v12, 3, v34
	v_cmp_ne_u32_e32 vcc, s95, v7
                                        ; implicit-def: $vgpr7
	s_and_saveexec_b64 s[74:75], vcc
	s_xor_b64 s[74:75], exec, s[74:75]
	s_cbranch_execz .LBB6_9561
; %bb.9560:                             ;   in Loop: Header=BB6_9340 Depth=3
	v_and_b32_e32 v7, 0xff, v34
	v_ffbh_u32_e32 v15, v12
	v_bfe_u32 v7, v7, 2, 5
	v_min_u32_e32 v15, 32, v15
	v_mov_b32_e32 v35, v51
	v_subrev_u32_e32 v18, 29, v15
	v_sub_u32_e32 v15, 30, v15
	v_cmp_eq_u32_e32 vcc, 0, v7
	v_lshlrev_b64 v[20:21], v18, v[34:35]
	v_cndmask_b32_e32 v7, v7, v15, vcc
	v_bfrev_b32_e32 v15, 28
	v_bfe_i32 v13, v34, 0, 16
	v_and_b32_e32 v18, 3, v20
	v_lshl_add_u32 v7, v7, 23, v15
	v_cndmask_b32_e32 v12, v12, v18, vcc
	v_and_or_b32 v7, v13, s96, v7
	v_lshl_or_b32 v7, v12, 21, v7
                                        ; implicit-def: $vgpr12
.LBB6_9561:                             ;   in Loop: Header=BB6_9340 Depth=3
	s_andn2_saveexec_b64 s[74:75], s[74:75]
; %bb.9562:                             ;   in Loop: Header=BB6_9340 Depth=3
	v_cmp_lt_i16_e32 vcc, -1, v34
	v_mov_b32_e32 v7, 0xc7600000
	v_mov_b32_e32 v13, 0x47600000
	v_cndmask_b32_e32 v7, v7, v13, vcc
	v_cmp_eq_u32_e32 vcc, 0, v12
	v_mov_b32_e32 v12, 0x7f800001
	v_cndmask_b32_e32 v7, v12, v7, vcc
; %bb.9563:                             ;   in Loop: Header=BB6_9340 Depth=3
	s_or_b64 exec, exec, s[74:75]
.LBB6_9564:                             ;   in Loop: Header=BB6_9340 Depth=3
	s_or_b64 exec, exec, s[72:73]
.LBB6_9565:                             ;   in Loop: Header=BB6_9340 Depth=3
	s_or_b64 exec, exec, s[70:71]
	v_max_f32_e32 v7, v7, v7
	v_max_f32_e32 v3, v3, v3
	;; [unrolled: 1-line block ×3, first 2 shown]
	s_branch .LBB6_9584
.LBB6_9566:                             ;   in Loop: Header=BB6_9340 Depth=3
                                        ; implicit-def: $vgpr3
	s_cbranch_execz .LBB6_9584
; %bb.9567:                             ;   in Loop: Header=BB6_9340 Depth=3
	v_mov_b32_e32 v7, 0
	v_mov_b32_e32 v3, 0
	s_and_saveexec_b64 s[70:71], s[30:31]
	s_cbranch_execz .LBB6_9575
; %bb.9568:                             ;   in Loop: Header=BB6_9340 Depth=3
	v_cmp_ne_u16_e32 vcc, s94, v58
	v_bfrev_b32_e32 v3, 1
	s_and_saveexec_b64 s[30:31], vcc
	s_cbranch_execz .LBB6_9574
; %bb.9569:                             ;   in Loop: Header=BB6_9340 Depth=3
	v_and_b32_e32 v3, 0x7c, v1
	v_and_b32_e32 v12, 3, v1
	v_cmp_ne_u32_e32 vcc, s95, v3
                                        ; implicit-def: $vgpr3
	s_and_saveexec_b64 s[72:73], vcc
	s_xor_b64 s[72:73], exec, s[72:73]
	s_cbranch_execz .LBB6_9571
; %bb.9570:                             ;   in Loop: Header=BB6_9340 Depth=3
	v_ffbh_u32_e32 v13, v12
	v_bfe_u32 v1, v1, 2, 5
	v_min_u32_e32 v13, 32, v13
	v_mov_b32_e32 v59, v51
	v_subrev_u32_e32 v15, 29, v13
	v_sub_u32_e32 v13, 30, v13
	v_cmp_eq_u32_e32 vcc, 0, v1
	v_lshlrev_b64 v[20:21], v15, v[58:59]
	v_cndmask_b32_e32 v1, v1, v13, vcc
	v_bfrev_b32_e32 v13, 28
	v_bfe_i32 v3, v58, 0, 16
	v_and_b32_e32 v15, 3, v20
	v_lshl_add_u32 v1, v1, 23, v13
	v_cndmask_b32_e32 v12, v12, v15, vcc
	v_and_or_b32 v1, v3, s96, v1
	v_lshl_or_b32 v3, v12, 21, v1
                                        ; implicit-def: $vgpr12
                                        ; implicit-def: $vgpr58
.LBB6_9571:                             ;   in Loop: Header=BB6_9340 Depth=3
	s_andn2_saveexec_b64 s[72:73], s[72:73]
; %bb.9572:                             ;   in Loop: Header=BB6_9340 Depth=3
	v_cmp_lt_i16_e32 vcc, -1, v58
	v_mov_b32_e32 v1, 0xc7600000
	v_mov_b32_e32 v3, 0x47600000
	v_cndmask_b32_e32 v1, v1, v3, vcc
	v_cmp_eq_u32_e32 vcc, 0, v12
	v_mov_b32_e32 v3, 0x7f800001
	v_cndmask_b32_e32 v3, v3, v1, vcc
; %bb.9573:                             ;   in Loop: Header=BB6_9340 Depth=3
	s_or_b64 exec, exec, s[72:73]
.LBB6_9574:                             ;   in Loop: Header=BB6_9340 Depth=3
	s_or_b64 exec, exec, s[30:31]
.LBB6_9575:                             ;   in Loop: Header=BB6_9340 Depth=3
	s_or_b64 exec, exec, s[70:71]
	v_cmp_ne_u16_e32 vcc, 0, v34
	s_and_saveexec_b64 s[30:31], vcc
	s_cbranch_execz .LBB6_9583
; %bb.9576:                             ;   in Loop: Header=BB6_9340 Depth=3
	v_cmp_ne_u16_e32 vcc, s94, v34
	v_bfrev_b32_e32 v7, 1
	s_and_saveexec_b64 s[70:71], vcc
	s_cbranch_execz .LBB6_9582
; %bb.9577:                             ;   in Loop: Header=BB6_9340 Depth=3
	v_and_b32_e32 v7, 0x7c, v34
	v_and_b32_e32 v1, 3, v34
	v_cmp_ne_u32_e32 vcc, s95, v7
                                        ; implicit-def: $vgpr7
	s_and_saveexec_b64 s[72:73], vcc
	s_xor_b64 s[72:73], exec, s[72:73]
	s_cbranch_execz .LBB6_9579
; %bb.9578:                             ;   in Loop: Header=BB6_9340 Depth=3
	v_ffbh_u32_e32 v12, v1
	v_min_u32_e32 v18, 32, v12
	v_and_b32_e32 v7, 0xff, v34
	v_mov_b32_e32 v35, v51
	v_subrev_u32_e32 v12, 29, v18
	v_bfe_u32 v7, v7, 2, 5
	v_lshlrev_b64 v[12:13], v12, v[34:35]
	v_sub_u32_e32 v13, 30, v18
	v_and_b32_e32 v12, 3, v12
	v_cmp_eq_u32_e32 vcc, 0, v7
	v_cndmask_b32_e32 v7, v7, v13, vcc
	v_cndmask_b32_e32 v1, v1, v12, vcc
	v_bfrev_b32_e32 v12, 28
	v_bfe_i32 v15, v34, 0, 16
	v_lshl_add_u32 v7, v7, 23, v12
	v_and_or_b32 v7, v15, s96, v7
	v_lshl_or_b32 v7, v1, 21, v7
                                        ; implicit-def: $vgpr1
                                        ; implicit-def: $vgpr34
.LBB6_9579:                             ;   in Loop: Header=BB6_9340 Depth=3
	s_andn2_saveexec_b64 s[72:73], s[72:73]
; %bb.9580:                             ;   in Loop: Header=BB6_9340 Depth=3
	v_cmp_lt_i16_e32 vcc, -1, v34
	v_mov_b32_e32 v7, 0xc7600000
	v_mov_b32_e32 v12, 0x47600000
	v_cndmask_b32_e32 v7, v7, v12, vcc
	v_cmp_eq_u32_e32 vcc, 0, v1
	v_mov_b32_e32 v1, 0x7f800001
	v_cndmask_b32_e32 v7, v1, v7, vcc
; %bb.9581:                             ;   in Loop: Header=BB6_9340 Depth=3
	s_or_b64 exec, exec, s[72:73]
.LBB6_9582:                             ;   in Loop: Header=BB6_9340 Depth=3
	s_or_b64 exec, exec, s[70:71]
.LBB6_9583:                             ;   in Loop: Header=BB6_9340 Depth=3
	s_or_b64 exec, exec, s[30:31]
	v_max_f32_e32 v1, v7, v7
	v_max_f32_e32 v3, v3, v3
	v_min_f32_e32 v3, v3, v1
.LBB6_9584:                             ;   in Loop: Header=BB6_9340 Depth=3
	v_and_b32_sdwa v1, v3, s97 dst_sel:DWORD dst_unused:UNUSED_PAD src0_sel:BYTE_3 src1_sel:DWORD
	v_and_b32_e32 v12, 0x7f800000, v3
	v_mov_b32_e32 v13, v51
	v_and_b32_e32 v50, 0x7fffff, v3
	v_or_b32_e32 v18, 0x7b, v1
	v_cmp_ne_u64_e32 vcc, s[52:53], v[12:13]
	s_and_saveexec_b64 s[30:31], vcc
	s_xor_b64 s[70:71], exec, s[30:31]
	s_cbranch_execz .LBB6_9598
; %bb.9585:                             ;   in Loop: Header=BB6_9340 Depth=3
	v_and_b32_e32 v12, 0x7fffffff, v3
	v_mov_b32_e32 v13, v51
	v_cmp_gt_u64_e32 vcc, s[54:55], v[12:13]
	s_and_saveexec_b64 s[30:31], vcc
	s_xor_b64 s[72:73], exec, s[30:31]
	s_cbranch_execz .LBB6_9597
; %bb.9586:                             ;   in Loop: Header=BB6_9340 Depth=3
	v_cmp_ne_u32_e32 vcc, 0, v3
	v_mov_b32_e32 v18, 0
	s_and_saveexec_b64 s[74:75], vcc
	s_cbranch_execz .LBB6_9596
; %bb.9587:                             ;   in Loop: Header=BB6_9340 Depth=3
	v_bfe_u32 v3, v3, 23, 8
	v_cmp_eq_u32_e32 vcc, 0, v3
	v_add_u32_e32 v7, 0xffffff81, v3
	v_cmp_gt_u32_e64 s[30:31], s38, v3
	v_sub_u32_e32 v3, 0x71, v3
	v_mov_b32_e32 v13, 0xffffff82
	v_cndmask_b32_e64 v3, 0, v3, s[30:31]
	v_cndmask_b32_e32 v7, v7, v13, vcc
	v_mov_b32_e32 v13, 0x70
	v_or_b32_e32 v12, 0x800000, v50
	v_cndmask_b32_e32 v3, v3, v13, vcc
	v_cndmask_b32_e32 v50, v12, v50, vcc
	v_add_u32_e32 v12, 21, v3
	v_lshlrev_b64 v[12:13], v12, -1
	v_not_b32_e32 v13, v13
	v_not_b32_e32 v12, v12
	v_add_u32_e32 v15, 20, v3
	v_and_b32_e32 v13, 0, v13
	v_and_b32_e32 v12, v50, v12
	v_lshlrev_b64 v[20:21], v15, 1
	v_cmp_eq_u64_e32 vcc, v[12:13], v[20:21]
	v_lshrrev_b64 v[12:13], v3, v[50:51]
	v_lshrrev_b32_e32 v15, 23, v12
	v_add3_u32 v15, v3, v7, v15
	v_bfe_u32 v3, v12, 21, 1
	v_add_u32_e32 v3, -1, v3
	v_cndmask_b32_e32 v3, 0, v3, vcc
	v_add_u32_e32 v3, v3, v12
	v_and_b32_e32 v3, 0x1fffff, v3
	v_add_co_u32_e32 v12, vcc, v3, v12
	v_add_u32_e32 v7, 14, v15
	v_addc_co_u32_e32 v13, vcc, 0, v13, vcc
	v_cmp_ne_u32_e32 vcc, 0, v7
                                        ; implicit-def: $vgpr3
	s_and_saveexec_b64 s[30:31], vcc
	s_xor_b64 s[30:31], exec, s[30:31]
; %bb.9588:                             ;   in Loop: Header=BB6_9340 Depth=3
	v_add_u32_e32 v3, 15, v15
	v_cmp_lt_u64_e32 vcc, s[56:57], v[12:13]
	v_cndmask_b32_e32 v3, v7, v3, vcc
	v_cndmask_b32_e64 v7, 0, 1, vcc
	v_lshrrev_b64 v[12:13], v7, v[12:13]
; %bb.9589:                             ;   in Loop: Header=BB6_9340 Depth=3
	s_andn2_saveexec_b64 vcc, s[30:31]
; %bb.9590:                             ;   in Loop: Header=BB6_9340 Depth=3
	v_bfe_u32 v3, v12, 23, 1
; %bb.9591:                             ;   in Loop: Header=BB6_9340 Depth=3
	s_or_b64 exec, exec, vcc
	v_lshrrev_b64 v[12:13], 21, v[12:13]
	v_cmp_gt_i32_e32 vcc, 32, v3
	v_cndmask_b32_e32 v13, 0, v13, vcc
	v_cndmask_b32_e32 v12, 3, v12, vcc
	v_cmp_ne_u32_e32 vcc, 0, v3
	v_cmp_ne_u64_e64 s[30:31], 0, v[12:13]
	s_or_b64 vcc, vcc, s[30:31]
                                        ; implicit-def: $vgpr18
	s_and_saveexec_b64 s[30:31], vcc
	s_xor_b64 vcc, exec, s[30:31]
; %bb.9592:                             ;   in Loop: Header=BB6_9340 Depth=3
	v_min_i32_e32 v3, 31, v3
	v_lshl_or_b32 v1, v3, 2, v1
	v_and_or_b32 v18, v12, 3, v1
                                        ; implicit-def: $vgpr1
; %bb.9593:                             ;   in Loop: Header=BB6_9340 Depth=3
	s_andn2_saveexec_b64 vcc, vcc
; %bb.9594:                             ;   in Loop: Header=BB6_9340 Depth=3
	v_mov_b32_e32 v18, v1
; %bb.9595:                             ;   in Loop: Header=BB6_9340 Depth=3
	s_or_b64 exec, exec, vcc
.LBB6_9596:                             ;   in Loop: Header=BB6_9340 Depth=3
	s_or_b64 exec, exec, s[74:75]
.LBB6_9597:                             ;   in Loop: Header=BB6_9340 Depth=3
	s_andn2_saveexec_b64 vcc, s[72:73]
	s_or_b64 exec, exec, vcc
                                        ; implicit-def: $vgpr3
.LBB6_9598:                             ;   in Loop: Header=BB6_9340 Depth=3
	s_andn2_saveexec_b64 s[30:31], s[70:71]
; %bb.9599:                             ;   in Loop: Header=BB6_9340 Depth=3
	v_or_b32_sdwa v1, v3, s39 dst_sel:DWORD dst_unused:UNUSED_PAD src0_sel:BYTE_3 src1_sel:DWORD
	v_cmp_eq_u64_e32 vcc, 0, v[50:51]
	v_cndmask_b32_e32 v18, v1, v18, vcc
; %bb.9600:                             ;   in Loop: Header=BB6_9340 Depth=3
	s_or_b64 exec, exec, s[30:31]
	v_and_b32_e32 v1, 0xff, v14
	s_and_b64 vcc, exec, s[28:29]
	v_cmp_ne_u16_e64 s[30:31], 0, v14
	s_cbranch_vccnz .LBB6_9618
; %bb.9601:                             ;   in Loop: Header=BB6_9340 Depth=3
	v_mov_b32_e32 v7, 0
	v_mov_b32_e32 v3, 0
	s_and_saveexec_b64 s[70:71], s[30:31]
	s_cbranch_execz .LBB6_9609
; %bb.9602:                             ;   in Loop: Header=BB6_9340 Depth=3
	v_cmp_ne_u16_e32 vcc, s94, v14
	v_bfrev_b32_e32 v3, 1
	s_and_saveexec_b64 s[72:73], vcc
	s_cbranch_execz .LBB6_9608
; %bb.9603:                             ;   in Loop: Header=BB6_9340 Depth=3
	v_and_b32_e32 v3, 0x7c, v1
	v_and_b32_e32 v12, 3, v1
	v_cmp_ne_u32_e32 vcc, s95, v3
                                        ; implicit-def: $vgpr3
	s_and_saveexec_b64 s[74:75], vcc
	s_xor_b64 s[74:75], exec, s[74:75]
	s_cbranch_execz .LBB6_9605
; %bb.9604:                             ;   in Loop: Header=BB6_9340 Depth=3
	v_ffbh_u32_e32 v20, v12
	v_min_u32_e32 v22, 32, v20
	v_mov_b32_e32 v15, v51
	v_bfe_u32 v3, v1, 2, 5
	v_subrev_u32_e32 v20, 29, v22
	v_lshlrev_b64 v[20:21], v20, v[14:15]
	v_sub_u32_e32 v15, 30, v22
	v_cmp_eq_u32_e32 vcc, 0, v3
	v_cndmask_b32_e32 v3, v3, v15, vcc
	v_bfrev_b32_e32 v15, 28
	v_bfe_i32 v13, v14, 0, 16
	v_and_b32_e32 v20, 3, v20
	v_lshl_add_u32 v3, v3, 23, v15
	v_cndmask_b32_e32 v12, v12, v20, vcc
	v_and_or_b32 v3, v13, s96, v3
	v_lshl_or_b32 v3, v12, 21, v3
                                        ; implicit-def: $vgpr12
.LBB6_9605:                             ;   in Loop: Header=BB6_9340 Depth=3
	s_andn2_saveexec_b64 s[74:75], s[74:75]
; %bb.9606:                             ;   in Loop: Header=BB6_9340 Depth=3
	v_cmp_lt_i16_e32 vcc, -1, v14
	v_mov_b32_e32 v3, 0xc7600000
	v_mov_b32_e32 v13, 0x47600000
	v_cndmask_b32_e32 v3, v3, v13, vcc
	v_cmp_eq_u32_e32 vcc, 0, v12
	v_mov_b32_e32 v12, 0x7f800001
	v_cndmask_b32_e32 v3, v12, v3, vcc
; %bb.9607:                             ;   in Loop: Header=BB6_9340 Depth=3
	s_or_b64 exec, exec, s[74:75]
.LBB6_9608:                             ;   in Loop: Header=BB6_9340 Depth=3
	s_or_b64 exec, exec, s[72:73]
.LBB6_9609:                             ;   in Loop: Header=BB6_9340 Depth=3
	s_or_b64 exec, exec, s[70:71]
	v_cmp_ne_u16_e32 vcc, 0, v54
	s_and_saveexec_b64 s[70:71], vcc
	s_cbranch_execz .LBB6_9617
; %bb.9610:                             ;   in Loop: Header=BB6_9340 Depth=3
	v_cmp_ne_u16_e32 vcc, s94, v54
	v_bfrev_b32_e32 v7, 1
	s_and_saveexec_b64 s[72:73], vcc
	s_cbranch_execz .LBB6_9616
; %bb.9611:                             ;   in Loop: Header=BB6_9340 Depth=3
	v_and_b32_e32 v7, 0x7c, v54
	v_and_b32_e32 v12, 3, v54
	v_cmp_ne_u32_e32 vcc, s95, v7
                                        ; implicit-def: $vgpr7
	s_and_saveexec_b64 s[74:75], vcc
	s_xor_b64 s[74:75], exec, s[74:75]
	s_cbranch_execz .LBB6_9613
; %bb.9612:                             ;   in Loop: Header=BB6_9340 Depth=3
	v_and_b32_e32 v7, 0xff, v54
	v_ffbh_u32_e32 v15, v12
	v_bfe_u32 v7, v7, 2, 5
	v_min_u32_e32 v15, 32, v15
	v_mov_b32_e32 v55, v51
	v_subrev_u32_e32 v20, 29, v15
	v_sub_u32_e32 v15, 30, v15
	v_cmp_eq_u32_e32 vcc, 0, v7
	v_lshlrev_b64 v[20:21], v20, v[54:55]
	v_cndmask_b32_e32 v7, v7, v15, vcc
	v_bfrev_b32_e32 v15, 28
	v_bfe_i32 v13, v54, 0, 16
	v_and_b32_e32 v20, 3, v20
	v_lshl_add_u32 v7, v7, 23, v15
	v_cndmask_b32_e32 v12, v12, v20, vcc
	v_and_or_b32 v7, v13, s96, v7
	v_lshl_or_b32 v7, v12, 21, v7
                                        ; implicit-def: $vgpr12
.LBB6_9613:                             ;   in Loop: Header=BB6_9340 Depth=3
	s_andn2_saveexec_b64 s[74:75], s[74:75]
; %bb.9614:                             ;   in Loop: Header=BB6_9340 Depth=3
	v_cmp_lt_i16_e32 vcc, -1, v54
	v_mov_b32_e32 v7, 0xc7600000
	v_mov_b32_e32 v13, 0x47600000
	v_cndmask_b32_e32 v7, v7, v13, vcc
	v_cmp_eq_u32_e32 vcc, 0, v12
	v_mov_b32_e32 v12, 0x7f800001
	v_cndmask_b32_e32 v7, v12, v7, vcc
; %bb.9615:                             ;   in Loop: Header=BB6_9340 Depth=3
	s_or_b64 exec, exec, s[74:75]
.LBB6_9616:                             ;   in Loop: Header=BB6_9340 Depth=3
	s_or_b64 exec, exec, s[72:73]
.LBB6_9617:                             ;   in Loop: Header=BB6_9340 Depth=3
	s_or_b64 exec, exec, s[70:71]
	v_max_f32_e32 v7, v7, v7
	v_max_f32_e32 v3, v3, v3
	;; [unrolled: 1-line block ×3, first 2 shown]
	s_branch .LBB6_9636
.LBB6_9618:                             ;   in Loop: Header=BB6_9340 Depth=3
                                        ; implicit-def: $vgpr3
	s_cbranch_execz .LBB6_9636
; %bb.9619:                             ;   in Loop: Header=BB6_9340 Depth=3
	v_mov_b32_e32 v7, 0
	v_mov_b32_e32 v3, 0
	s_and_saveexec_b64 s[70:71], s[30:31]
	s_cbranch_execz .LBB6_9627
; %bb.9620:                             ;   in Loop: Header=BB6_9340 Depth=3
	v_cmp_ne_u16_e32 vcc, s94, v14
	v_bfrev_b32_e32 v3, 1
	s_and_saveexec_b64 s[30:31], vcc
	s_cbranch_execz .LBB6_9626
; %bb.9621:                             ;   in Loop: Header=BB6_9340 Depth=3
	v_and_b32_e32 v3, 0x7c, v1
	v_and_b32_e32 v12, 3, v1
	v_cmp_ne_u32_e32 vcc, s95, v3
                                        ; implicit-def: $vgpr3
	s_and_saveexec_b64 s[72:73], vcc
	s_xor_b64 s[72:73], exec, s[72:73]
	s_cbranch_execz .LBB6_9623
; %bb.9622:                             ;   in Loop: Header=BB6_9340 Depth=3
	v_ffbh_u32_e32 v13, v12
	v_bfe_u32 v1, v1, 2, 5
	v_min_u32_e32 v13, 32, v13
	v_mov_b32_e32 v15, v51
	v_subrev_u32_e32 v20, 29, v13
	v_sub_u32_e32 v13, 30, v13
	v_cmp_eq_u32_e32 vcc, 0, v1
	v_bfe_i32 v3, v14, 0, 16
	v_lshlrev_b64 v[14:15], v20, v[14:15]
	v_cndmask_b32_e32 v1, v1, v13, vcc
	v_bfrev_b32_e32 v13, 28
	v_and_b32_e32 v14, 3, v14
	v_lshl_add_u32 v1, v1, 23, v13
	v_cndmask_b32_e32 v12, v12, v14, vcc
	v_and_or_b32 v1, v3, s96, v1
	v_lshl_or_b32 v3, v12, 21, v1
                                        ; implicit-def: $vgpr12
                                        ; implicit-def: $vgpr14
.LBB6_9623:                             ;   in Loop: Header=BB6_9340 Depth=3
	s_andn2_saveexec_b64 s[72:73], s[72:73]
; %bb.9624:                             ;   in Loop: Header=BB6_9340 Depth=3
	v_cmp_lt_i16_e32 vcc, -1, v14
	v_mov_b32_e32 v1, 0xc7600000
	v_mov_b32_e32 v3, 0x47600000
	v_cndmask_b32_e32 v1, v1, v3, vcc
	v_cmp_eq_u32_e32 vcc, 0, v12
	v_mov_b32_e32 v3, 0x7f800001
	v_cndmask_b32_e32 v3, v3, v1, vcc
; %bb.9625:                             ;   in Loop: Header=BB6_9340 Depth=3
	s_or_b64 exec, exec, s[72:73]
.LBB6_9626:                             ;   in Loop: Header=BB6_9340 Depth=3
	s_or_b64 exec, exec, s[30:31]
.LBB6_9627:                             ;   in Loop: Header=BB6_9340 Depth=3
	s_or_b64 exec, exec, s[70:71]
	v_cmp_ne_u16_e32 vcc, 0, v54
	s_and_saveexec_b64 s[30:31], vcc
	s_cbranch_execz .LBB6_9635
; %bb.9628:                             ;   in Loop: Header=BB6_9340 Depth=3
	v_cmp_ne_u16_e32 vcc, s94, v54
	v_bfrev_b32_e32 v7, 1
	s_and_saveexec_b64 s[70:71], vcc
	s_cbranch_execz .LBB6_9634
; %bb.9629:                             ;   in Loop: Header=BB6_9340 Depth=3
	v_and_b32_e32 v7, 0x7c, v54
	v_and_b32_e32 v1, 3, v54
	v_cmp_ne_u32_e32 vcc, s95, v7
                                        ; implicit-def: $vgpr7
	s_and_saveexec_b64 s[72:73], vcc
	s_xor_b64 s[72:73], exec, s[72:73]
	s_cbranch_execz .LBB6_9631
; %bb.9630:                             ;   in Loop: Header=BB6_9340 Depth=3
	v_ffbh_u32_e32 v12, v1
	v_min_u32_e32 v15, 32, v12
	v_and_b32_e32 v7, 0xff, v54
	v_mov_b32_e32 v55, v51
	v_subrev_u32_e32 v12, 29, v15
	v_bfe_u32 v7, v7, 2, 5
	v_lshlrev_b64 v[12:13], v12, v[54:55]
	v_sub_u32_e32 v13, 30, v15
	v_and_b32_e32 v12, 3, v12
	v_cmp_eq_u32_e32 vcc, 0, v7
	v_cndmask_b32_e32 v7, v7, v13, vcc
	v_cndmask_b32_e32 v1, v1, v12, vcc
	v_bfrev_b32_e32 v12, 28
	v_bfe_i32 v14, v54, 0, 16
	v_lshl_add_u32 v7, v7, 23, v12
	v_and_or_b32 v7, v14, s96, v7
	v_lshl_or_b32 v7, v1, 21, v7
                                        ; implicit-def: $vgpr1
                                        ; implicit-def: $vgpr54
.LBB6_9631:                             ;   in Loop: Header=BB6_9340 Depth=3
	s_andn2_saveexec_b64 s[72:73], s[72:73]
; %bb.9632:                             ;   in Loop: Header=BB6_9340 Depth=3
	v_cmp_lt_i16_e32 vcc, -1, v54
	v_mov_b32_e32 v7, 0xc7600000
	v_mov_b32_e32 v12, 0x47600000
	v_cndmask_b32_e32 v7, v7, v12, vcc
	v_cmp_eq_u32_e32 vcc, 0, v1
	v_mov_b32_e32 v1, 0x7f800001
	v_cndmask_b32_e32 v7, v1, v7, vcc
; %bb.9633:                             ;   in Loop: Header=BB6_9340 Depth=3
	s_or_b64 exec, exec, s[72:73]
.LBB6_9634:                             ;   in Loop: Header=BB6_9340 Depth=3
	s_or_b64 exec, exec, s[70:71]
.LBB6_9635:                             ;   in Loop: Header=BB6_9340 Depth=3
	s_or_b64 exec, exec, s[30:31]
	v_max_f32_e32 v1, v7, v7
	v_max_f32_e32 v3, v3, v3
	v_min_f32_e32 v3, v3, v1
.LBB6_9636:                             ;   in Loop: Header=BB6_9340 Depth=3
	v_and_b32_sdwa v1, v3, s97 dst_sel:DWORD dst_unused:UNUSED_PAD src0_sel:BYTE_3 src1_sel:DWORD
	v_and_b32_e32 v14, 0x7f800000, v3
	v_mov_b32_e32 v15, v51
	v_and_b32_e32 v50, 0x7fffff, v3
	v_or_b32_e32 v13, 0x7b, v1
	v_cmp_ne_u64_e32 vcc, s[52:53], v[14:15]
	s_and_saveexec_b64 s[30:31], vcc
	s_xor_b64 s[70:71], exec, s[30:31]
	s_cbranch_execz .LBB6_9650
; %bb.9637:                             ;   in Loop: Header=BB6_9340 Depth=3
	v_and_b32_e32 v14, 0x7fffffff, v3
	v_mov_b32_e32 v15, v51
	v_cmp_gt_u64_e32 vcc, s[54:55], v[14:15]
	s_and_saveexec_b64 s[30:31], vcc
	s_xor_b64 s[72:73], exec, s[30:31]
	s_cbranch_execz .LBB6_9649
; %bb.9638:                             ;   in Loop: Header=BB6_9340 Depth=3
	v_cmp_ne_u32_e32 vcc, 0, v3
	v_mov_b32_e32 v13, 0
	s_and_saveexec_b64 s[74:75], vcc
	s_cbranch_execz .LBB6_9648
; %bb.9639:                             ;   in Loop: Header=BB6_9340 Depth=3
	v_bfe_u32 v3, v3, 23, 8
	v_cmp_eq_u32_e32 vcc, 0, v3
	v_add_u32_e32 v7, 0xffffff81, v3
	v_cmp_gt_u32_e64 s[30:31], s38, v3
	v_sub_u32_e32 v3, 0x71, v3
	v_mov_b32_e32 v13, 0xffffff82
	v_cndmask_b32_e64 v3, 0, v3, s[30:31]
	v_cndmask_b32_e32 v7, v7, v13, vcc
	v_mov_b32_e32 v13, 0x70
	v_or_b32_e32 v12, 0x800000, v50
	v_cndmask_b32_e32 v3, v3, v13, vcc
	v_cndmask_b32_e32 v50, v12, v50, vcc
	v_add_u32_e32 v12, 21, v3
	v_lshlrev_b64 v[12:13], v12, -1
	v_not_b32_e32 v13, v13
	v_not_b32_e32 v12, v12
	v_add_u32_e32 v14, 20, v3
	v_and_b32_e32 v13, 0, v13
	v_and_b32_e32 v12, v50, v12
	v_lshlrev_b64 v[14:15], v14, 1
	v_cmp_eq_u64_e32 vcc, v[12:13], v[14:15]
	v_lshrrev_b64 v[12:13], v3, v[50:51]
	v_lshrrev_b32_e32 v14, 23, v12
	v_add3_u32 v14, v3, v7, v14
	v_bfe_u32 v3, v12, 21, 1
	v_add_u32_e32 v3, -1, v3
	v_cndmask_b32_e32 v3, 0, v3, vcc
	v_add_u32_e32 v3, v3, v12
	v_and_b32_e32 v3, 0x1fffff, v3
	v_add_co_u32_e32 v12, vcc, v3, v12
	v_add_u32_e32 v7, 14, v14
	v_addc_co_u32_e32 v13, vcc, 0, v13, vcc
	v_cmp_ne_u32_e32 vcc, 0, v7
                                        ; implicit-def: $vgpr3
	s_and_saveexec_b64 s[30:31], vcc
	s_xor_b64 s[30:31], exec, s[30:31]
; %bb.9640:                             ;   in Loop: Header=BB6_9340 Depth=3
	v_add_u32_e32 v3, 15, v14
	v_cmp_lt_u64_e32 vcc, s[56:57], v[12:13]
	v_cndmask_b32_e32 v3, v7, v3, vcc
	v_cndmask_b32_e64 v7, 0, 1, vcc
	v_lshrrev_b64 v[12:13], v7, v[12:13]
; %bb.9641:                             ;   in Loop: Header=BB6_9340 Depth=3
	s_andn2_saveexec_b64 vcc, s[30:31]
; %bb.9642:                             ;   in Loop: Header=BB6_9340 Depth=3
	v_bfe_u32 v3, v12, 23, 1
; %bb.9643:                             ;   in Loop: Header=BB6_9340 Depth=3
	s_or_b64 exec, exec, vcc
	v_lshrrev_b64 v[12:13], 21, v[12:13]
	v_cmp_gt_i32_e32 vcc, 32, v3
	v_cndmask_b32_e32 v13, 0, v13, vcc
	v_cndmask_b32_e32 v12, 3, v12, vcc
	v_cmp_ne_u32_e32 vcc, 0, v3
	v_cmp_ne_u64_e64 s[30:31], 0, v[12:13]
	s_or_b64 vcc, vcc, s[30:31]
                                        ; implicit-def: $vgpr13
	s_and_saveexec_b64 s[30:31], vcc
	s_xor_b64 vcc, exec, s[30:31]
; %bb.9644:                             ;   in Loop: Header=BB6_9340 Depth=3
	v_min_i32_e32 v3, 31, v3
	v_lshl_or_b32 v1, v3, 2, v1
	v_and_or_b32 v13, v12, 3, v1
                                        ; implicit-def: $vgpr1
; %bb.9645:                             ;   in Loop: Header=BB6_9340 Depth=3
	s_andn2_saveexec_b64 vcc, vcc
; %bb.9646:                             ;   in Loop: Header=BB6_9340 Depth=3
	v_mov_b32_e32 v13, v1
; %bb.9647:                             ;   in Loop: Header=BB6_9340 Depth=3
	s_or_b64 exec, exec, vcc
.LBB6_9648:                             ;   in Loop: Header=BB6_9340 Depth=3
	s_or_b64 exec, exec, s[74:75]
.LBB6_9649:                             ;   in Loop: Header=BB6_9340 Depth=3
	s_andn2_saveexec_b64 vcc, s[72:73]
	s_or_b64 exec, exec, vcc
                                        ; implicit-def: $vgpr3
.LBB6_9650:                             ;   in Loop: Header=BB6_9340 Depth=3
	s_andn2_saveexec_b64 s[30:31], s[70:71]
; %bb.9651:                             ;   in Loop: Header=BB6_9340 Depth=3
	v_or_b32_sdwa v1, v3, s39 dst_sel:DWORD dst_unused:UNUSED_PAD src0_sel:BYTE_3 src1_sel:DWORD
	v_cmp_eq_u64_e32 vcc, 0, v[50:51]
	v_cndmask_b32_e32 v13, v1, v13, vcc
; %bb.9652:                             ;   in Loop: Header=BB6_9340 Depth=3
	s_or_b64 exec, exec, s[30:31]
	v_and_b32_e32 v1, 0xff, v36
	s_and_b64 vcc, exec, s[28:29]
	v_cmp_ne_u16_e64 s[30:31], 0, v36
	s_cbranch_vccnz .LBB6_9670
; %bb.9653:                             ;   in Loop: Header=BB6_9340 Depth=3
	v_mov_b32_e32 v3, 0
	v_mov_b32_e32 v7, 0
	s_and_saveexec_b64 s[70:71], s[30:31]
	s_cbranch_execz .LBB6_9661
; %bb.9654:                             ;   in Loop: Header=BB6_9340 Depth=3
	v_cmp_ne_u16_e32 vcc, s94, v36
	v_bfrev_b32_e32 v7, 1
	s_and_saveexec_b64 s[72:73], vcc
	s_cbranch_execz .LBB6_9660
; %bb.9655:                             ;   in Loop: Header=BB6_9340 Depth=3
	v_and_b32_e32 v7, 0x7c, v1
	v_and_b32_e32 v12, 3, v1
	v_cmp_ne_u32_e32 vcc, s95, v7
                                        ; implicit-def: $vgpr7
	s_and_saveexec_b64 s[74:75], vcc
	s_xor_b64 s[74:75], exec, s[74:75]
	s_cbranch_execz .LBB6_9657
; %bb.9656:                             ;   in Loop: Header=BB6_9340 Depth=3
	v_ffbh_u32_e32 v14, v12
	v_min_u32_e32 v21, 32, v14
	v_mov_b32_e32 v37, v51
	v_subrev_u32_e32 v14, 29, v21
	v_bfe_u32 v7, v1, 2, 5
	v_lshlrev_b64 v[14:15], v14, v[36:37]
	v_sub_u32_e32 v15, 30, v21
	v_and_b32_e32 v14, 3, v14
	v_cmp_eq_u32_e32 vcc, 0, v7
	v_cndmask_b32_e32 v7, v7, v15, vcc
	v_cndmask_b32_e32 v12, v12, v14, vcc
	v_bfrev_b32_e32 v14, 28
	v_bfe_i32 v20, v36, 0, 16
	v_lshl_add_u32 v7, v7, 23, v14
	v_and_or_b32 v7, v20, s96, v7
	v_lshl_or_b32 v7, v12, 21, v7
                                        ; implicit-def: $vgpr12
.LBB6_9657:                             ;   in Loop: Header=BB6_9340 Depth=3
	s_andn2_saveexec_b64 s[74:75], s[74:75]
; %bb.9658:                             ;   in Loop: Header=BB6_9340 Depth=3
	v_cmp_lt_i16_e32 vcc, -1, v36
	v_mov_b32_e32 v7, 0xc7600000
	v_mov_b32_e32 v14, 0x47600000
	v_cndmask_b32_e32 v7, v7, v14, vcc
	v_cmp_eq_u32_e32 vcc, 0, v12
	v_mov_b32_e32 v12, 0x7f800001
	v_cndmask_b32_e32 v7, v12, v7, vcc
; %bb.9659:                             ;   in Loop: Header=BB6_9340 Depth=3
	s_or_b64 exec, exec, s[74:75]
.LBB6_9660:                             ;   in Loop: Header=BB6_9340 Depth=3
	s_or_b64 exec, exec, s[72:73]
.LBB6_9661:                             ;   in Loop: Header=BB6_9340 Depth=3
	s_or_b64 exec, exec, s[70:71]
	v_cmp_ne_u16_e32 vcc, 0, v2
	s_and_saveexec_b64 s[70:71], vcc
	s_cbranch_execz .LBB6_9669
; %bb.9662:                             ;   in Loop: Header=BB6_9340 Depth=3
	v_cmp_ne_u16_e32 vcc, s94, v2
	v_bfrev_b32_e32 v3, 1
	s_and_saveexec_b64 s[72:73], vcc
	s_cbranch_execz .LBB6_9668
; %bb.9663:                             ;   in Loop: Header=BB6_9340 Depth=3
	v_and_b32_e32 v3, 0x7c, v2
	v_and_b32_e32 v12, 3, v2
	v_cmp_ne_u32_e32 vcc, s95, v3
                                        ; implicit-def: $vgpr3
	s_and_saveexec_b64 s[74:75], vcc
	s_xor_b64 s[74:75], exec, s[74:75]
	s_cbranch_execz .LBB6_9665
; %bb.9664:                             ;   in Loop: Header=BB6_9340 Depth=3
	v_and_b32_e32 v14, 0xff, v2
	v_bfe_u32 v20, v14, 2, 5
	v_ffbh_u32_e32 v14, v12
	v_min_u32_e32 v22, 32, v14
	v_mov_b32_e32 v3, v51
	v_subrev_u32_e32 v14, 29, v22
	v_lshlrev_b64 v[14:15], v14, v[2:3]
	v_sub_u32_e32 v3, 30, v22
	v_and_b32_e32 v14, 3, v14
	v_cmp_eq_u32_e32 vcc, 0, v20
	v_cndmask_b32_e32 v3, v20, v3, vcc
	v_cndmask_b32_e32 v12, v12, v14, vcc
	v_bfrev_b32_e32 v14, 28
	v_bfe_i32 v21, v2, 0, 16
	v_lshl_add_u32 v3, v3, 23, v14
	v_and_or_b32 v3, v21, s96, v3
	v_lshl_or_b32 v3, v12, 21, v3
                                        ; implicit-def: $vgpr12
.LBB6_9665:                             ;   in Loop: Header=BB6_9340 Depth=3
	s_andn2_saveexec_b64 s[74:75], s[74:75]
; %bb.9666:                             ;   in Loop: Header=BB6_9340 Depth=3
	v_cmp_lt_i16_e32 vcc, -1, v2
	v_mov_b32_e32 v3, 0xc7600000
	v_mov_b32_e32 v14, 0x47600000
	v_cndmask_b32_e32 v3, v3, v14, vcc
	v_cmp_eq_u32_e32 vcc, 0, v12
	v_mov_b32_e32 v12, 0x7f800001
	v_cndmask_b32_e32 v3, v12, v3, vcc
; %bb.9667:                             ;   in Loop: Header=BB6_9340 Depth=3
	s_or_b64 exec, exec, s[74:75]
.LBB6_9668:                             ;   in Loop: Header=BB6_9340 Depth=3
	s_or_b64 exec, exec, s[72:73]
.LBB6_9669:                             ;   in Loop: Header=BB6_9340 Depth=3
	s_or_b64 exec, exec, s[70:71]
	v_max_f32_e32 v3, v3, v3
	v_max_f32_e32 v7, v7, v7
	;; [unrolled: 1-line block ×3, first 2 shown]
	s_branch .LBB6_9688
.LBB6_9670:                             ;   in Loop: Header=BB6_9340 Depth=3
                                        ; implicit-def: $vgpr3
	s_cbranch_execz .LBB6_9688
; %bb.9671:                             ;   in Loop: Header=BB6_9340 Depth=3
	v_mov_b32_e32 v3, 0
	v_mov_b32_e32 v7, 0
	s_and_saveexec_b64 s[70:71], s[30:31]
	s_cbranch_execz .LBB6_9679
; %bb.9672:                             ;   in Loop: Header=BB6_9340 Depth=3
	v_cmp_ne_u16_e32 vcc, s94, v36
	v_bfrev_b32_e32 v7, 1
	s_and_saveexec_b64 s[30:31], vcc
	s_cbranch_execz .LBB6_9678
; %bb.9673:                             ;   in Loop: Header=BB6_9340 Depth=3
	v_and_b32_e32 v7, 0x7c, v1
	v_and_b32_e32 v12, 3, v1
	v_cmp_ne_u32_e32 vcc, s95, v7
                                        ; implicit-def: $vgpr7
	s_and_saveexec_b64 s[72:73], vcc
	s_xor_b64 s[72:73], exec, s[72:73]
	s_cbranch_execz .LBB6_9675
; %bb.9674:                             ;   in Loop: Header=BB6_9340 Depth=3
	v_ffbh_u32_e32 v14, v12
	v_min_u32_e32 v20, 32, v14
	v_mov_b32_e32 v37, v51
	v_subrev_u32_e32 v14, 29, v20
	v_bfe_u32 v1, v1, 2, 5
	v_lshlrev_b64 v[14:15], v14, v[36:37]
	v_sub_u32_e32 v15, 30, v20
	v_and_b32_e32 v14, 3, v14
	v_cmp_eq_u32_e32 vcc, 0, v1
	v_cndmask_b32_e32 v1, v1, v15, vcc
	v_cndmask_b32_e32 v12, v12, v14, vcc
	v_bfrev_b32_e32 v14, 28
	v_bfe_i32 v7, v36, 0, 16
	v_lshl_add_u32 v1, v1, 23, v14
	v_and_or_b32 v1, v7, s96, v1
	v_lshl_or_b32 v7, v12, 21, v1
                                        ; implicit-def: $vgpr12
                                        ; implicit-def: $vgpr36
.LBB6_9675:                             ;   in Loop: Header=BB6_9340 Depth=3
	s_andn2_saveexec_b64 s[72:73], s[72:73]
; %bb.9676:                             ;   in Loop: Header=BB6_9340 Depth=3
	v_cmp_lt_i16_e32 vcc, -1, v36
	v_mov_b32_e32 v1, 0xc7600000
	v_mov_b32_e32 v7, 0x47600000
	v_cndmask_b32_e32 v1, v1, v7, vcc
	v_cmp_eq_u32_e32 vcc, 0, v12
	v_mov_b32_e32 v7, 0x7f800001
	v_cndmask_b32_e32 v7, v7, v1, vcc
; %bb.9677:                             ;   in Loop: Header=BB6_9340 Depth=3
	s_or_b64 exec, exec, s[72:73]
.LBB6_9678:                             ;   in Loop: Header=BB6_9340 Depth=3
	s_or_b64 exec, exec, s[30:31]
.LBB6_9679:                             ;   in Loop: Header=BB6_9340 Depth=3
	s_or_b64 exec, exec, s[70:71]
	v_cmp_ne_u16_e32 vcc, 0, v2
	s_and_saveexec_b64 s[30:31], vcc
	s_cbranch_execz .LBB6_9687
; %bb.9680:                             ;   in Loop: Header=BB6_9340 Depth=3
	v_cmp_ne_u16_e32 vcc, s94, v2
	v_bfrev_b32_e32 v3, 1
	s_and_saveexec_b64 s[70:71], vcc
	s_cbranch_execz .LBB6_9686
; %bb.9681:                             ;   in Loop: Header=BB6_9340 Depth=3
	v_and_b32_e32 v3, 0x7c, v2
	v_and_b32_e32 v1, 3, v2
	v_cmp_ne_u32_e32 vcc, s95, v3
                                        ; implicit-def: $vgpr3
	s_and_saveexec_b64 s[72:73], vcc
	s_xor_b64 s[72:73], exec, s[72:73]
	s_cbranch_execz .LBB6_9683
; %bb.9682:                             ;   in Loop: Header=BB6_9340 Depth=3
	v_ffbh_u32_e32 v15, v1
	v_min_u32_e32 v15, 32, v15
	v_and_b32_e32 v12, 0xff, v2
	v_mov_b32_e32 v3, v51
	v_subrev_u32_e32 v20, 29, v15
	v_bfe_u32 v12, v12, 2, 5
	v_bfe_i32 v14, v2, 0, 16
	v_lshlrev_b64 v[2:3], v20, v[2:3]
	v_sub_u32_e32 v3, 30, v15
	v_and_b32_e32 v2, 3, v2
	v_cmp_eq_u32_e32 vcc, 0, v12
	v_cndmask_b32_e32 v3, v12, v3, vcc
	v_cndmask_b32_e32 v1, v1, v2, vcc
	v_bfrev_b32_e32 v2, 28
	v_lshl_add_u32 v2, v3, 23, v2
	v_and_or_b32 v2, v14, s96, v2
	v_lshl_or_b32 v3, v1, 21, v2
                                        ; implicit-def: $vgpr1
                                        ; implicit-def: $vgpr2
.LBB6_9683:                             ;   in Loop: Header=BB6_9340 Depth=3
	s_andn2_saveexec_b64 s[72:73], s[72:73]
; %bb.9684:                             ;   in Loop: Header=BB6_9340 Depth=3
	v_cmp_lt_i16_e32 vcc, -1, v2
	v_mov_b32_e32 v2, 0xc7600000
	v_mov_b32_e32 v3, 0x47600000
	v_cndmask_b32_e32 v2, v2, v3, vcc
	v_cmp_eq_u32_e32 vcc, 0, v1
	v_mov_b32_e32 v1, 0x7f800001
	v_cndmask_b32_e32 v3, v1, v2, vcc
; %bb.9685:                             ;   in Loop: Header=BB6_9340 Depth=3
	s_or_b64 exec, exec, s[72:73]
.LBB6_9686:                             ;   in Loop: Header=BB6_9340 Depth=3
	s_or_b64 exec, exec, s[70:71]
.LBB6_9687:                             ;   in Loop: Header=BB6_9340 Depth=3
	s_or_b64 exec, exec, s[30:31]
	v_max_f32_e32 v1, v3, v3
	v_max_f32_e32 v2, v7, v7
	v_min_f32_e32 v3, v2, v1
.LBB6_9688:                             ;   in Loop: Header=BB6_9340 Depth=3
	v_and_b32_sdwa v1, v3, s97 dst_sel:DWORD dst_unused:UNUSED_PAD src0_sel:BYTE_3 src1_sel:DWORD
	v_and_b32_e32 v50, 0x7fffff, v3
	v_or_b32_e32 v12, 0x7b, v1
	v_and_b32_e32 v14, 0x7f800000, v3
	v_mov_b32_e32 v15, v51
	v_cmp_ne_u64_e32 vcc, s[52:53], v[14:15]
	s_mov_b64 s[30:31], exec
	s_and_b64 vcc, s[30:31], vcc
	s_xor_b64 s[70:71], vcc, s[30:31]
	v_accvgpr_read_b32 v32, a32
	v_accvgpr_read_b32 v34, a50
	;; [unrolled: 1-line block ×3, first 2 shown]
	s_mov_b64 exec, vcc
	s_cbranch_execz .LBB6_9702
; %bb.9689:                             ;   in Loop: Header=BB6_9340 Depth=3
	v_and_b32_e32 v14, 0x7fffffff, v3
	v_mov_b32_e32 v15, v51
	v_cmp_gt_u64_e32 vcc, s[54:55], v[14:15]
	s_and_saveexec_b64 s[30:31], vcc
	s_xor_b64 s[72:73], exec, s[30:31]
	s_cbranch_execz .LBB6_9701
; %bb.9690:                             ;   in Loop: Header=BB6_9340 Depth=3
	v_cmp_ne_u32_e32 vcc, 0, v3
	v_mov_b32_e32 v12, 0
	s_and_saveexec_b64 s[74:75], vcc
	s_cbranch_execz .LBB6_9700
; %bb.9691:                             ;   in Loop: Header=BB6_9340 Depth=3
	v_bfe_u32 v2, v3, 23, 8
	v_cmp_eq_u32_e32 vcc, 0, v2
	v_add_u32_e32 v3, 0xffffff81, v2
	v_cmp_gt_u32_e64 s[30:31], s38, v2
	v_sub_u32_e32 v2, 0x71, v2
	v_mov_b32_e32 v12, 0xffffff82
	v_cndmask_b32_e64 v2, 0, v2, s[30:31]
	v_cndmask_b32_e32 v12, v3, v12, vcc
	v_mov_b32_e32 v3, 0x70
	v_cndmask_b32_e32 v20, v2, v3, vcc
	v_add_u32_e32 v2, 21, v20
	v_or_b32_e32 v7, 0x800000, v50
	v_lshlrev_b64 v[2:3], v2, -1
	v_cndmask_b32_e32 v50, v7, v50, vcc
	v_not_b32_e32 v3, v3
	v_not_b32_e32 v2, v2
	v_add_u32_e32 v7, 20, v20
	v_and_b32_e32 v3, 0, v3
	v_and_b32_e32 v2, v50, v2
	v_lshlrev_b64 v[14:15], v7, 1
	v_cmp_eq_u64_e32 vcc, v[2:3], v[14:15]
	v_lshrrev_b64 v[2:3], v20, v[50:51]
	v_lshrrev_b32_e32 v7, 23, v2
	v_add3_u32 v14, v20, v12, v7
	v_bfe_u32 v7, v2, 21, 1
	v_add_u32_e32 v7, -1, v7
	v_cndmask_b32_e32 v7, 0, v7, vcc
	v_add_u32_e32 v7, v7, v2
	v_and_b32_e32 v7, 0x1fffff, v7
	v_add_co_u32_e32 v2, vcc, v7, v2
	v_add_u32_e32 v12, 14, v14
	v_addc_co_u32_e32 v3, vcc, 0, v3, vcc
	v_cmp_ne_u32_e32 vcc, 0, v12
                                        ; implicit-def: $vgpr7
	s_and_saveexec_b64 s[30:31], vcc
	s_xor_b64 s[30:31], exec, s[30:31]
; %bb.9692:                             ;   in Loop: Header=BB6_9340 Depth=3
	v_add_u32_e32 v7, 15, v14
	v_cmp_lt_u64_e32 vcc, s[56:57], v[2:3]
	v_cndmask_b32_e32 v7, v12, v7, vcc
	v_cndmask_b32_e64 v12, 0, 1, vcc
	v_lshrrev_b64 v[2:3], v12, v[2:3]
; %bb.9693:                             ;   in Loop: Header=BB6_9340 Depth=3
	s_andn2_saveexec_b64 vcc, s[30:31]
; %bb.9694:                             ;   in Loop: Header=BB6_9340 Depth=3
	v_bfe_u32 v7, v2, 23, 1
; %bb.9695:                             ;   in Loop: Header=BB6_9340 Depth=3
	s_or_b64 exec, exec, vcc
	v_lshrrev_b64 v[2:3], 21, v[2:3]
	v_cmp_gt_i32_e32 vcc, 32, v7
	v_cndmask_b32_e32 v3, 0, v3, vcc
	v_cndmask_b32_e32 v2, 3, v2, vcc
	v_cmp_ne_u32_e32 vcc, 0, v7
	v_cmp_ne_u64_e64 s[30:31], 0, v[2:3]
	s_or_b64 vcc, vcc, s[30:31]
                                        ; implicit-def: $vgpr12
	s_and_saveexec_b64 s[30:31], vcc
	s_xor_b64 vcc, exec, s[30:31]
; %bb.9696:                             ;   in Loop: Header=BB6_9340 Depth=3
	v_min_i32_e32 v3, 31, v7
	v_lshl_or_b32 v1, v3, 2, v1
	v_and_or_b32 v12, v2, 3, v1
                                        ; implicit-def: $vgpr1
; %bb.9697:                             ;   in Loop: Header=BB6_9340 Depth=3
	s_andn2_saveexec_b64 vcc, vcc
; %bb.9698:                             ;   in Loop: Header=BB6_9340 Depth=3
	v_mov_b32_e32 v12, v1
; %bb.9699:                             ;   in Loop: Header=BB6_9340 Depth=3
	s_or_b64 exec, exec, vcc
.LBB6_9700:                             ;   in Loop: Header=BB6_9340 Depth=3
	s_or_b64 exec, exec, s[74:75]
.LBB6_9701:                             ;   in Loop: Header=BB6_9340 Depth=3
	s_andn2_saveexec_b64 vcc, s[72:73]
	s_or_b64 exec, exec, vcc
                                        ; implicit-def: $vgpr3
.LBB6_9702:                             ;   in Loop: Header=BB6_9340 Depth=3
	s_andn2_saveexec_b64 s[30:31], s[70:71]
; %bb.9703:                             ;   in Loop: Header=BB6_9340 Depth=3
	v_or_b32_sdwa v1, v3, s39 dst_sel:DWORD dst_unused:UNUSED_PAD src0_sel:BYTE_3 src1_sel:DWORD
	v_cmp_eq_u64_e32 vcc, 0, v[50:51]
	v_cndmask_b32_e32 v12, v1, v12, vcc
; %bb.9704:                             ;   in Loop: Header=BB6_9340 Depth=3
	s_or_b64 exec, exec, s[30:31]
	v_and_b32_e32 v1, 0xff, v30
	s_and_b64 vcc, exec, s[28:29]
	v_cmp_ne_u16_e64 s[30:31], 0, v30
	s_cbranch_vccnz .LBB6_9722
; %bb.9705:                             ;   in Loop: Header=BB6_9340 Depth=3
	v_mov_b32_e32 v3, 0
	v_mov_b32_e32 v2, 0
	s_and_saveexec_b64 s[70:71], s[30:31]
	s_cbranch_execz .LBB6_9713
; %bb.9706:                             ;   in Loop: Header=BB6_9340 Depth=3
	v_cmp_ne_u16_e32 vcc, s94, v30
	v_bfrev_b32_e32 v2, 1
	s_and_saveexec_b64 s[72:73], vcc
	s_cbranch_execz .LBB6_9712
; %bb.9707:                             ;   in Loop: Header=BB6_9340 Depth=3
	v_and_b32_e32 v2, 0x7c, v1
	v_and_b32_e32 v7, 3, v1
	v_cmp_ne_u32_e32 vcc, s95, v2
                                        ; implicit-def: $vgpr2
	s_and_saveexec_b64 s[74:75], vcc
	s_xor_b64 s[74:75], exec, s[74:75]
	s_cbranch_execz .LBB6_9709
; %bb.9708:                             ;   in Loop: Header=BB6_9340 Depth=3
	v_ffbh_u32_e32 v14, v7
	v_min_u32_e32 v21, 32, v14
	v_mov_b32_e32 v31, v51
	v_subrev_u32_e32 v14, 29, v21
	v_bfe_u32 v2, v1, 2, 5
	v_lshlrev_b64 v[14:15], v14, v[30:31]
	v_sub_u32_e32 v15, 30, v21
	v_and_b32_e32 v14, 3, v14
	v_cmp_eq_u32_e32 vcc, 0, v2
	v_cndmask_b32_e32 v2, v2, v15, vcc
	v_cndmask_b32_e32 v7, v7, v14, vcc
	v_bfrev_b32_e32 v14, 28
	v_bfe_i32 v20, v30, 0, 16
	v_lshl_add_u32 v2, v2, 23, v14
	v_and_or_b32 v2, v20, s96, v2
	v_lshl_or_b32 v2, v7, 21, v2
                                        ; implicit-def: $vgpr7
.LBB6_9709:                             ;   in Loop: Header=BB6_9340 Depth=3
	s_andn2_saveexec_b64 s[74:75], s[74:75]
; %bb.9710:                             ;   in Loop: Header=BB6_9340 Depth=3
	v_cmp_lt_i16_e32 vcc, -1, v30
	v_mov_b32_e32 v2, 0xc7600000
	v_mov_b32_e32 v14, 0x47600000
	v_cndmask_b32_e32 v2, v2, v14, vcc
	v_cmp_eq_u32_e32 vcc, 0, v7
	v_mov_b32_e32 v7, 0x7f800001
	v_cndmask_b32_e32 v2, v7, v2, vcc
; %bb.9711:                             ;   in Loop: Header=BB6_9340 Depth=3
	s_or_b64 exec, exec, s[74:75]
.LBB6_9712:                             ;   in Loop: Header=BB6_9340 Depth=3
	s_or_b64 exec, exec, s[72:73]
.LBB6_9713:                             ;   in Loop: Header=BB6_9340 Depth=3
	s_or_b64 exec, exec, s[70:71]
	v_cmp_ne_u16_e32 vcc, 0, v6
	s_and_saveexec_b64 s[70:71], vcc
	s_cbranch_execz .LBB6_9721
; %bb.9714:                             ;   in Loop: Header=BB6_9340 Depth=3
	v_cmp_ne_u16_e32 vcc, s94, v6
	v_bfrev_b32_e32 v3, 1
	s_and_saveexec_b64 s[72:73], vcc
	s_cbranch_execz .LBB6_9720
; %bb.9715:                             ;   in Loop: Header=BB6_9340 Depth=3
	v_and_b32_e32 v3, 0x7c, v6
	v_and_b32_e32 v14, 3, v6
	v_cmp_ne_u32_e32 vcc, s95, v3
                                        ; implicit-def: $vgpr3
	s_and_saveexec_b64 s[74:75], vcc
	s_xor_b64 s[74:75], exec, s[74:75]
	s_cbranch_execz .LBB6_9717
; %bb.9716:                             ;   in Loop: Header=BB6_9340 Depth=3
	v_ffbh_u32_e32 v20, v14
	v_min_u32_e32 v22, 32, v20
	v_and_b32_e32 v3, 0xff, v6
	v_mov_b32_e32 v7, v51
	v_subrev_u32_e32 v20, 29, v22
	v_bfe_u32 v3, v3, 2, 5
	v_lshlrev_b64 v[20:21], v20, v[6:7]
	v_sub_u32_e32 v7, 30, v22
	v_and_b32_e32 v20, 3, v20
	v_cmp_eq_u32_e32 vcc, 0, v3
	v_cndmask_b32_e32 v3, v3, v7, vcc
	v_cndmask_b32_e32 v7, v14, v20, vcc
	v_bfrev_b32_e32 v14, 28
	v_bfe_i32 v15, v6, 0, 16
	v_lshl_add_u32 v3, v3, 23, v14
	v_and_or_b32 v3, v15, s96, v3
	v_lshl_or_b32 v3, v7, 21, v3
                                        ; implicit-def: $vgpr14
.LBB6_9717:                             ;   in Loop: Header=BB6_9340 Depth=3
	s_andn2_saveexec_b64 s[74:75], s[74:75]
; %bb.9718:                             ;   in Loop: Header=BB6_9340 Depth=3
	v_cmp_lt_i16_e32 vcc, -1, v6
	v_mov_b32_e32 v3, 0xc7600000
	v_mov_b32_e32 v7, 0x47600000
	v_cndmask_b32_e32 v3, v3, v7, vcc
	v_cmp_eq_u32_e32 vcc, 0, v14
	v_mov_b32_e32 v7, 0x7f800001
	v_cndmask_b32_e32 v3, v7, v3, vcc
; %bb.9719:                             ;   in Loop: Header=BB6_9340 Depth=3
	s_or_b64 exec, exec, s[74:75]
.LBB6_9720:                             ;   in Loop: Header=BB6_9340 Depth=3
	s_or_b64 exec, exec, s[72:73]
.LBB6_9721:                             ;   in Loop: Header=BB6_9340 Depth=3
	s_or_b64 exec, exec, s[70:71]
	v_max_f32_e32 v3, v3, v3
	v_max_f32_e32 v2, v2, v2
	v_max_f32_e32 v2, v2, v3
	s_branch .LBB6_9740
.LBB6_9722:                             ;   in Loop: Header=BB6_9340 Depth=3
                                        ; implicit-def: $vgpr2
	s_cbranch_execz .LBB6_9740
; %bb.9723:                             ;   in Loop: Header=BB6_9340 Depth=3
	v_mov_b32_e32 v3, 0
	v_mov_b32_e32 v2, 0
	s_and_saveexec_b64 s[70:71], s[30:31]
	s_cbranch_execz .LBB6_9731
; %bb.9724:                             ;   in Loop: Header=BB6_9340 Depth=3
	v_cmp_ne_u16_e32 vcc, s94, v30
	v_bfrev_b32_e32 v2, 1
	s_and_saveexec_b64 s[30:31], vcc
	s_cbranch_execz .LBB6_9730
; %bb.9725:                             ;   in Loop: Header=BB6_9340 Depth=3
	v_and_b32_e32 v2, 0x7c, v1
	v_and_b32_e32 v7, 3, v1
	v_cmp_ne_u32_e32 vcc, s95, v2
                                        ; implicit-def: $vgpr2
	s_and_saveexec_b64 s[72:73], vcc
	s_xor_b64 s[72:73], exec, s[72:73]
	s_cbranch_execz .LBB6_9727
; %bb.9726:                             ;   in Loop: Header=BB6_9340 Depth=3
	v_ffbh_u32_e32 v14, v7
	v_min_u32_e32 v20, 32, v14
	v_mov_b32_e32 v31, v51
	v_subrev_u32_e32 v14, 29, v20
	v_bfe_u32 v1, v1, 2, 5
	v_lshlrev_b64 v[14:15], v14, v[30:31]
	v_sub_u32_e32 v15, 30, v20
	v_and_b32_e32 v14, 3, v14
	v_cmp_eq_u32_e32 vcc, 0, v1
	v_cndmask_b32_e32 v1, v1, v15, vcc
	v_cndmask_b32_e32 v7, v7, v14, vcc
	v_bfrev_b32_e32 v14, 28
	v_bfe_i32 v2, v30, 0, 16
	v_lshl_add_u32 v1, v1, 23, v14
	v_and_or_b32 v1, v2, s96, v1
	v_lshl_or_b32 v2, v7, 21, v1
                                        ; implicit-def: $vgpr7
                                        ; implicit-def: $vgpr30
.LBB6_9727:                             ;   in Loop: Header=BB6_9340 Depth=3
	s_andn2_saveexec_b64 s[72:73], s[72:73]
; %bb.9728:                             ;   in Loop: Header=BB6_9340 Depth=3
	v_cmp_lt_i16_e32 vcc, -1, v30
	v_mov_b32_e32 v1, 0xc7600000
	v_mov_b32_e32 v2, 0x47600000
	v_cndmask_b32_e32 v1, v1, v2, vcc
	v_cmp_eq_u32_e32 vcc, 0, v7
	v_mov_b32_e32 v2, 0x7f800001
	v_cndmask_b32_e32 v2, v2, v1, vcc
; %bb.9729:                             ;   in Loop: Header=BB6_9340 Depth=3
	s_or_b64 exec, exec, s[72:73]
.LBB6_9730:                             ;   in Loop: Header=BB6_9340 Depth=3
	s_or_b64 exec, exec, s[30:31]
.LBB6_9731:                             ;   in Loop: Header=BB6_9340 Depth=3
	s_or_b64 exec, exec, s[70:71]
	v_cmp_ne_u16_e32 vcc, 0, v6
	s_and_saveexec_b64 s[30:31], vcc
	s_cbranch_execz .LBB6_9739
; %bb.9732:                             ;   in Loop: Header=BB6_9340 Depth=3
	v_cmp_ne_u16_e32 vcc, s94, v6
	v_bfrev_b32_e32 v3, 1
	s_and_saveexec_b64 s[70:71], vcc
	s_cbranch_execz .LBB6_9738
; %bb.9733:                             ;   in Loop: Header=BB6_9340 Depth=3
	v_and_b32_e32 v3, 0x7c, v6
	v_and_b32_e32 v1, 3, v6
	v_cmp_ne_u32_e32 vcc, s95, v3
                                        ; implicit-def: $vgpr3
	s_and_saveexec_b64 s[72:73], vcc
	s_xor_b64 s[72:73], exec, s[72:73]
	s_cbranch_execz .LBB6_9735
; %bb.9734:                             ;   in Loop: Header=BB6_9340 Depth=3
	v_ffbh_u32_e32 v15, v1
	v_min_u32_e32 v15, 32, v15
	v_and_b32_e32 v3, 0xff, v6
	v_mov_b32_e32 v7, v51
	v_subrev_u32_e32 v20, 29, v15
	v_bfe_u32 v3, v3, 2, 5
	v_bfe_i32 v14, v6, 0, 16
	v_lshlrev_b64 v[6:7], v20, v[6:7]
	v_sub_u32_e32 v7, 30, v15
	v_and_b32_e32 v6, 3, v6
	v_cmp_eq_u32_e32 vcc, 0, v3
	v_cndmask_b32_e32 v3, v3, v7, vcc
	v_cndmask_b32_e32 v1, v1, v6, vcc
	v_bfrev_b32_e32 v6, 28
	v_lshl_add_u32 v3, v3, 23, v6
	v_and_or_b32 v3, v14, s96, v3
	v_lshl_or_b32 v3, v1, 21, v3
                                        ; implicit-def: $vgpr1
                                        ; implicit-def: $vgpr6
.LBB6_9735:                             ;   in Loop: Header=BB6_9340 Depth=3
	s_andn2_saveexec_b64 s[72:73], s[72:73]
; %bb.9736:                             ;   in Loop: Header=BB6_9340 Depth=3
	v_cmp_lt_i16_e32 vcc, -1, v6
	v_mov_b32_e32 v3, 0xc7600000
	v_mov_b32_e32 v6, 0x47600000
	v_cndmask_b32_e32 v3, v3, v6, vcc
	v_cmp_eq_u32_e32 vcc, 0, v1
	v_mov_b32_e32 v1, 0x7f800001
	v_cndmask_b32_e32 v3, v1, v3, vcc
; %bb.9737:                             ;   in Loop: Header=BB6_9340 Depth=3
	s_or_b64 exec, exec, s[72:73]
.LBB6_9738:                             ;   in Loop: Header=BB6_9340 Depth=3
	s_or_b64 exec, exec, s[70:71]
.LBB6_9739:                             ;   in Loop: Header=BB6_9340 Depth=3
	s_or_b64 exec, exec, s[30:31]
	v_max_f32_e32 v1, v3, v3
	v_max_f32_e32 v2, v2, v2
	v_min_f32_e32 v2, v2, v1
.LBB6_9740:                             ;   in Loop: Header=BB6_9340 Depth=3
	v_and_b32_sdwa v1, v2, s97 dst_sel:DWORD dst_unused:UNUSED_PAD src0_sel:BYTE_3 src1_sel:DWORD
	v_and_b32_e32 v50, 0x7fffff, v2
	v_or_b32_e32 v3, 0x7b, v1
	v_and_b32_e32 v6, 0x7f800000, v2
	v_mov_b32_e32 v7, v51
	v_cmp_ne_u64_e32 vcc, s[52:53], v[6:7]
	s_mov_b64 s[30:31], exec
	s_and_b64 vcc, s[30:31], vcc
	s_xor_b64 s[70:71], vcc, s[30:31]
	v_accvgpr_read_b32 v30, a12
	s_mov_b64 exec, vcc
	s_cbranch_execz .LBB6_9754
; %bb.9741:                             ;   in Loop: Header=BB6_9340 Depth=3
	v_and_b32_e32 v6, 0x7fffffff, v2
	v_mov_b32_e32 v7, v51
	v_cmp_gt_u64_e32 vcc, s[54:55], v[6:7]
	s_and_saveexec_b64 s[30:31], vcc
	s_xor_b64 s[72:73], exec, s[30:31]
	s_cbranch_execz .LBB6_9753
; %bb.9742:                             ;   in Loop: Header=BB6_9340 Depth=3
	v_cmp_ne_u32_e32 vcc, 0, v2
	v_mov_b32_e32 v3, 0
	s_and_saveexec_b64 s[74:75], vcc
	s_cbranch_execz .LBB6_9752
; %bb.9743:                             ;   in Loop: Header=BB6_9340 Depth=3
	v_bfe_u32 v2, v2, 23, 8
	v_cmp_eq_u32_e32 vcc, 0, v2
	v_add_u32_e32 v3, 0xffffff81, v2
	v_cmp_gt_u32_e64 s[30:31], s38, v2
	v_sub_u32_e32 v2, 0x71, v2
	v_mov_b32_e32 v7, 0xffffff82
	v_cndmask_b32_e64 v2, 0, v2, s[30:31]
	v_cndmask_b32_e32 v14, v3, v7, vcc
	v_mov_b32_e32 v3, 0x70
	v_cndmask_b32_e32 v15, v2, v3, vcc
	v_add_u32_e32 v2, 21, v15
	v_or_b32_e32 v6, 0x800000, v50
	v_lshlrev_b64 v[2:3], v2, -1
	v_cndmask_b32_e32 v50, v6, v50, vcc
	v_not_b32_e32 v3, v3
	v_not_b32_e32 v2, v2
	v_add_u32_e32 v6, 20, v15
	v_and_b32_e32 v3, 0, v3
	v_and_b32_e32 v2, v50, v2
	v_lshlrev_b64 v[6:7], v6, 1
	v_cmp_eq_u64_e32 vcc, v[2:3], v[6:7]
	v_lshrrev_b64 v[2:3], v15, v[50:51]
	v_lshrrev_b32_e32 v6, 23, v2
	v_add3_u32 v14, v15, v14, v6
	v_bfe_u32 v6, v2, 21, 1
	v_add_u32_e32 v6, -1, v6
	v_cndmask_b32_e32 v6, 0, v6, vcc
	v_add_u32_e32 v6, v6, v2
	v_and_b32_e32 v6, 0x1fffff, v6
	v_add_co_u32_e32 v2, vcc, v6, v2
	v_add_u32_e32 v7, 14, v14
	v_addc_co_u32_e32 v3, vcc, 0, v3, vcc
	v_cmp_ne_u32_e32 vcc, 0, v7
                                        ; implicit-def: $vgpr6
	s_and_saveexec_b64 s[30:31], vcc
	s_xor_b64 s[30:31], exec, s[30:31]
; %bb.9744:                             ;   in Loop: Header=BB6_9340 Depth=3
	v_add_u32_e32 v6, 15, v14
	v_cmp_lt_u64_e32 vcc, s[56:57], v[2:3]
	v_cndmask_b32_e32 v6, v7, v6, vcc
	v_cndmask_b32_e64 v7, 0, 1, vcc
	v_lshrrev_b64 v[2:3], v7, v[2:3]
; %bb.9745:                             ;   in Loop: Header=BB6_9340 Depth=3
	s_andn2_saveexec_b64 vcc, s[30:31]
; %bb.9746:                             ;   in Loop: Header=BB6_9340 Depth=3
	v_bfe_u32 v6, v2, 23, 1
; %bb.9747:                             ;   in Loop: Header=BB6_9340 Depth=3
	s_or_b64 exec, exec, vcc
	v_lshrrev_b64 v[2:3], 21, v[2:3]
	v_cmp_gt_i32_e32 vcc, 32, v6
	v_cndmask_b32_e32 v3, 0, v3, vcc
	v_cndmask_b32_e32 v2, 3, v2, vcc
	v_cmp_ne_u32_e32 vcc, 0, v6
	v_cmp_ne_u64_e64 s[30:31], 0, v[2:3]
	s_or_b64 vcc, vcc, s[30:31]
                                        ; implicit-def: $vgpr3
	s_and_saveexec_b64 s[30:31], vcc
	s_xor_b64 vcc, exec, s[30:31]
; %bb.9748:                             ;   in Loop: Header=BB6_9340 Depth=3
	v_min_i32_e32 v3, 31, v6
	v_lshl_or_b32 v1, v3, 2, v1
	v_and_or_b32 v3, v2, 3, v1
                                        ; implicit-def: $vgpr1
; %bb.9749:                             ;   in Loop: Header=BB6_9340 Depth=3
	s_andn2_saveexec_b64 vcc, vcc
; %bb.9750:                             ;   in Loop: Header=BB6_9340 Depth=3
	v_mov_b32_e32 v3, v1
; %bb.9751:                             ;   in Loop: Header=BB6_9340 Depth=3
	s_or_b64 exec, exec, vcc
.LBB6_9752:                             ;   in Loop: Header=BB6_9340 Depth=3
	s_or_b64 exec, exec, s[74:75]
.LBB6_9753:                             ;   in Loop: Header=BB6_9340 Depth=3
	s_andn2_saveexec_b64 vcc, s[72:73]
	s_or_b64 exec, exec, vcc
                                        ; implicit-def: $vgpr2
.LBB6_9754:                             ;   in Loop: Header=BB6_9340 Depth=3
	s_andn2_saveexec_b64 s[30:31], s[70:71]
; %bb.9755:                             ;   in Loop: Header=BB6_9340 Depth=3
	v_or_b32_sdwa v1, v2, s39 dst_sel:DWORD dst_unused:UNUSED_PAD src0_sel:BYTE_3 src1_sel:DWORD
	v_cmp_eq_u64_e32 vcc, 0, v[50:51]
	v_cndmask_b32_e32 v3, v1, v3, vcc
; %bb.9756:                             ;   in Loop: Header=BB6_9340 Depth=3
	s_or_b64 exec, exec, s[30:31]
	v_and_b32_e32 v2, 0xff, v0
	s_and_b64 vcc, exec, s[28:29]
	v_cmp_ne_u16_e64 s[30:31], 0, v0
	s_cbranch_vccnz .LBB6_9774
; %bb.9757:                             ;   in Loop: Header=BB6_9340 Depth=3
	v_mov_b32_e32 v6, 0
	v_mov_b32_e32 v1, 0
	s_and_saveexec_b64 s[70:71], s[30:31]
	s_cbranch_execz .LBB6_9765
; %bb.9758:                             ;   in Loop: Header=BB6_9340 Depth=3
	v_cmp_ne_u16_e32 vcc, s94, v0
	v_bfrev_b32_e32 v1, 1
	s_and_saveexec_b64 s[72:73], vcc
	s_cbranch_execz .LBB6_9764
; %bb.9759:                             ;   in Loop: Header=BB6_9340 Depth=3
	v_and_b32_e32 v1, 0x7c, v2
	v_and_b32_e32 v7, 3, v2
	v_cmp_ne_u32_e32 vcc, s95, v1
                                        ; implicit-def: $vgpr1
	s_and_saveexec_b64 s[74:75], vcc
	s_xor_b64 s[74:75], exec, s[74:75]
	s_cbranch_execz .LBB6_9761
; %bb.9760:                             ;   in Loop: Header=BB6_9340 Depth=3
	v_ffbh_u32_e32 v14, v7
	v_min_u32_e32 v22, 32, v14
	v_mov_b32_e32 v1, v51
	v_subrev_u32_e32 v14, 29, v22
	v_bfe_u32 v20, v2, 2, 5
	v_lshlrev_b64 v[14:15], v14, v[0:1]
	v_sub_u32_e32 v1, 30, v22
	v_and_b32_e32 v14, 3, v14
	v_cmp_eq_u32_e32 vcc, 0, v20
	v_cndmask_b32_e32 v1, v20, v1, vcc
	v_cndmask_b32_e32 v7, v7, v14, vcc
	v_bfrev_b32_e32 v14, 28
	v_bfe_i32 v21, v0, 0, 16
	v_lshl_add_u32 v1, v1, 23, v14
	v_and_or_b32 v1, v21, s96, v1
	v_lshl_or_b32 v1, v7, 21, v1
                                        ; implicit-def: $vgpr7
.LBB6_9761:                             ;   in Loop: Header=BB6_9340 Depth=3
	s_andn2_saveexec_b64 s[74:75], s[74:75]
; %bb.9762:                             ;   in Loop: Header=BB6_9340 Depth=3
	v_cmp_lt_i16_e32 vcc, -1, v0
	v_mov_b32_e32 v1, 0xc7600000
	v_mov_b32_e32 v14, 0x47600000
	v_cndmask_b32_e32 v1, v1, v14, vcc
	v_cmp_eq_u32_e32 vcc, 0, v7
	v_mov_b32_e32 v7, 0x7f800001
	v_cndmask_b32_e32 v1, v7, v1, vcc
; %bb.9763:                             ;   in Loop: Header=BB6_9340 Depth=3
	s_or_b64 exec, exec, s[74:75]
.LBB6_9764:                             ;   in Loop: Header=BB6_9340 Depth=3
	s_or_b64 exec, exec, s[72:73]
.LBB6_9765:                             ;   in Loop: Header=BB6_9340 Depth=3
	s_or_b64 exec, exec, s[70:71]
	v_cmp_ne_u16_e32 vcc, 0, v38
	s_and_saveexec_b64 s[70:71], vcc
	s_cbranch_execz .LBB6_9773
; %bb.9766:                             ;   in Loop: Header=BB6_9340 Depth=3
	v_cmp_ne_u16_e32 vcc, s94, v38
	v_bfrev_b32_e32 v6, 1
	s_and_saveexec_b64 s[72:73], vcc
	s_cbranch_execz .LBB6_9772
; %bb.9767:                             ;   in Loop: Header=BB6_9340 Depth=3
	v_and_b32_e32 v6, 0x7c, v38
	v_and_b32_e32 v7, 3, v38
	v_cmp_ne_u32_e32 vcc, s95, v6
                                        ; implicit-def: $vgpr6
	s_and_saveexec_b64 s[74:75], vcc
	s_xor_b64 s[74:75], exec, s[74:75]
	s_cbranch_execz .LBB6_9769
; %bb.9768:                             ;   in Loop: Header=BB6_9340 Depth=3
	v_ffbh_u32_e32 v14, v7
	v_min_u32_e32 v21, 32, v14
	v_and_b32_e32 v6, 0xff, v38
	v_mov_b32_e32 v39, v51
	v_subrev_u32_e32 v14, 29, v21
	v_bfe_u32 v6, v6, 2, 5
	v_lshlrev_b64 v[14:15], v14, v[38:39]
	v_sub_u32_e32 v15, 30, v21
	v_and_b32_e32 v14, 3, v14
	v_cmp_eq_u32_e32 vcc, 0, v6
	v_cndmask_b32_e32 v6, v6, v15, vcc
	v_cndmask_b32_e32 v7, v7, v14, vcc
	v_bfrev_b32_e32 v14, 28
	v_bfe_i32 v20, v38, 0, 16
	v_lshl_add_u32 v6, v6, 23, v14
	v_and_or_b32 v6, v20, s96, v6
	v_lshl_or_b32 v6, v7, 21, v6
                                        ; implicit-def: $vgpr7
.LBB6_9769:                             ;   in Loop: Header=BB6_9340 Depth=3
	s_andn2_saveexec_b64 s[74:75], s[74:75]
; %bb.9770:                             ;   in Loop: Header=BB6_9340 Depth=3
	v_cmp_lt_i16_e32 vcc, -1, v38
	v_mov_b32_e32 v6, 0xc7600000
	v_mov_b32_e32 v14, 0x47600000
	v_cndmask_b32_e32 v6, v6, v14, vcc
	v_cmp_eq_u32_e32 vcc, 0, v7
	v_mov_b32_e32 v7, 0x7f800001
	v_cndmask_b32_e32 v6, v7, v6, vcc
; %bb.9771:                             ;   in Loop: Header=BB6_9340 Depth=3
	s_or_b64 exec, exec, s[74:75]
.LBB6_9772:                             ;   in Loop: Header=BB6_9340 Depth=3
	s_or_b64 exec, exec, s[72:73]
.LBB6_9773:                             ;   in Loop: Header=BB6_9340 Depth=3
	s_or_b64 exec, exec, s[70:71]
	v_max_f32_e32 v6, v6, v6
	v_max_f32_e32 v1, v1, v1
	;; [unrolled: 1-line block ×3, first 2 shown]
	s_branch .LBB6_9792
.LBB6_9774:                             ;   in Loop: Header=BB6_9340 Depth=3
                                        ; implicit-def: $vgpr1
	s_cbranch_execz .LBB6_9792
; %bb.9775:                             ;   in Loop: Header=BB6_9340 Depth=3
	v_mov_b32_e32 v6, 0
	v_mov_b32_e32 v1, 0
	s_and_saveexec_b64 s[70:71], s[30:31]
	s_cbranch_execz .LBB6_9783
; %bb.9776:                             ;   in Loop: Header=BB6_9340 Depth=3
	v_cmp_ne_u16_e32 vcc, s94, v0
	v_bfrev_b32_e32 v1, 1
	s_and_saveexec_b64 s[30:31], vcc
	s_cbranch_execz .LBB6_9782
; %bb.9777:                             ;   in Loop: Header=BB6_9340 Depth=3
	v_and_b32_e32 v1, 0x7c, v2
	v_and_b32_e32 v7, 3, v2
	v_cmp_ne_u32_e32 vcc, s95, v1
                                        ; implicit-def: $vgpr1
	s_and_saveexec_b64 s[72:73], vcc
	s_xor_b64 s[72:73], exec, s[72:73]
	s_cbranch_execz .LBB6_9779
; %bb.9778:                             ;   in Loop: Header=BB6_9340 Depth=3
	v_ffbh_u32_e32 v15, v7
	v_min_u32_e32 v15, 32, v15
	v_mov_b32_e32 v1, v51
	v_subrev_u32_e32 v20, 29, v15
	v_bfe_u32 v2, v2, 2, 5
	v_bfe_i32 v14, v0, 0, 16
	v_lshlrev_b64 v[0:1], v20, v[0:1]
	v_sub_u32_e32 v1, 30, v15
	v_cmp_eq_u32_e32 vcc, 0, v2
	v_cndmask_b32_e32 v1, v2, v1, vcc
	v_bfrev_b32_e32 v2, 28
	v_and_b32_e32 v0, 3, v0
	v_lshl_add_u32 v1, v1, 23, v2
	v_cndmask_b32_e32 v0, v7, v0, vcc
	v_and_or_b32 v1, v14, s96, v1
	v_lshl_or_b32 v1, v0, 21, v1
                                        ; implicit-def: $vgpr7
                                        ; implicit-def: $vgpr0
.LBB6_9779:                             ;   in Loop: Header=BB6_9340 Depth=3
	s_andn2_saveexec_b64 s[72:73], s[72:73]
; %bb.9780:                             ;   in Loop: Header=BB6_9340 Depth=3
	v_cmp_lt_i16_e32 vcc, -1, v0
	v_mov_b32_e32 v0, 0xc7600000
	v_mov_b32_e32 v1, 0x47600000
	v_cndmask_b32_e32 v0, v0, v1, vcc
	v_cmp_eq_u32_e32 vcc, 0, v7
	v_mov_b32_e32 v1, 0x7f800001
	v_cndmask_b32_e32 v1, v1, v0, vcc
; %bb.9781:                             ;   in Loop: Header=BB6_9340 Depth=3
	s_or_b64 exec, exec, s[72:73]
.LBB6_9782:                             ;   in Loop: Header=BB6_9340 Depth=3
	s_or_b64 exec, exec, s[30:31]
.LBB6_9783:                             ;   in Loop: Header=BB6_9340 Depth=3
	s_or_b64 exec, exec, s[70:71]
	v_cmp_ne_u16_e32 vcc, 0, v38
	s_and_saveexec_b64 s[30:31], vcc
	s_cbranch_execz .LBB6_9791
; %bb.9784:                             ;   in Loop: Header=BB6_9340 Depth=3
	v_cmp_ne_u16_e32 vcc, s94, v38
	v_bfrev_b32_e32 v6, 1
	s_and_saveexec_b64 s[70:71], vcc
	s_cbranch_execz .LBB6_9790
; %bb.9785:                             ;   in Loop: Header=BB6_9340 Depth=3
	v_and_b32_e32 v2, 0x7c, v38
	v_and_b32_e32 v0, 3, v38
	v_cmp_ne_u32_e32 vcc, s95, v2
                                        ; implicit-def: $vgpr6
	s_and_saveexec_b64 s[72:73], vcc
	s_xor_b64 s[72:73], exec, s[72:73]
	s_cbranch_execz .LBB6_9787
; %bb.9786:                             ;   in Loop: Header=BB6_9340 Depth=3
	v_ffbh_u32_e32 v6, v0
	v_min_u32_e32 v15, 32, v6
	v_and_b32_e32 v2, 0xff, v38
	v_mov_b32_e32 v39, v51
	v_subrev_u32_e32 v6, 29, v15
	v_bfe_u32 v2, v2, 2, 5
	v_lshlrev_b64 v[6:7], v6, v[38:39]
	v_sub_u32_e32 v7, 30, v15
	v_and_b32_e32 v6, 3, v6
	v_cmp_eq_u32_e32 vcc, 0, v2
	v_cndmask_b32_e32 v2, v2, v7, vcc
	v_cndmask_b32_e32 v0, v0, v6, vcc
	v_bfrev_b32_e32 v6, 28
	v_bfe_i32 v14, v38, 0, 16
	v_lshl_add_u32 v2, v2, 23, v6
	v_and_or_b32 v2, v14, s96, v2
	v_lshl_or_b32 v6, v0, 21, v2
                                        ; implicit-def: $vgpr0
                                        ; implicit-def: $vgpr38
.LBB6_9787:                             ;   in Loop: Header=BB6_9340 Depth=3
	s_andn2_saveexec_b64 s[72:73], s[72:73]
; %bb.9788:                             ;   in Loop: Header=BB6_9340 Depth=3
	v_cmp_lt_i16_e32 vcc, -1, v38
	v_mov_b32_e32 v2, 0xc7600000
	v_mov_b32_e32 v6, 0x47600000
	v_cndmask_b32_e32 v2, v2, v6, vcc
	v_cmp_eq_u32_e32 vcc, 0, v0
	v_mov_b32_e32 v0, 0x7f800001
	v_cndmask_b32_e32 v6, v0, v2, vcc
; %bb.9789:                             ;   in Loop: Header=BB6_9340 Depth=3
	s_or_b64 exec, exec, s[72:73]
.LBB6_9790:                             ;   in Loop: Header=BB6_9340 Depth=3
	s_or_b64 exec, exec, s[70:71]
.LBB6_9791:                             ;   in Loop: Header=BB6_9340 Depth=3
	s_or_b64 exec, exec, s[30:31]
	v_max_f32_e32 v0, v6, v6
	v_max_f32_e32 v1, v1, v1
	v_min_f32_e32 v1, v1, v0
.LBB6_9792:                             ;   in Loop: Header=BB6_9340 Depth=3
	v_and_b32_sdwa v6, v1, s97 dst_sel:DWORD dst_unused:UNUSED_PAD src0_sel:BYTE_3 src1_sel:DWORD
	v_and_b32_e32 v14, 0x7f800000, v1
	v_mov_b32_e32 v15, v51
	v_and_b32_e32 v50, 0x7fffff, v1
	v_or_b32_e32 v2, 0x7b, v6
	v_cmp_ne_u64_e32 vcc, s[52:53], v[14:15]
	s_and_saveexec_b64 s[30:31], vcc
	s_xor_b64 s[70:71], exec, s[30:31]
	s_cbranch_execz .LBB6_9806
; %bb.9793:                             ;   in Loop: Header=BB6_9340 Depth=3
	v_and_b32_e32 v14, 0x7fffffff, v1
	v_mov_b32_e32 v15, v51
	v_cmp_gt_u64_e32 vcc, s[54:55], v[14:15]
	s_and_saveexec_b64 s[30:31], vcc
	s_xor_b64 s[72:73], exec, s[30:31]
	s_cbranch_execz .LBB6_9805
; %bb.9794:                             ;   in Loop: Header=BB6_9340 Depth=3
	v_cmp_ne_u32_e32 vcc, 0, v1
	v_mov_b32_e32 v2, 0
	s_and_saveexec_b64 s[74:75], vcc
	s_cbranch_execz .LBB6_9804
; %bb.9795:                             ;   in Loop: Header=BB6_9340 Depth=3
	v_bfe_u32 v0, v1, 23, 8
	v_cmp_eq_u32_e32 vcc, 0, v0
	v_add_u32_e32 v1, 0xffffff81, v0
	v_cmp_gt_u32_e64 s[30:31], s38, v0
	v_sub_u32_e32 v0, 0x71, v0
	v_mov_b32_e32 v7, 0xffffff82
	v_cndmask_b32_e64 v0, 0, v0, s[30:31]
	v_cndmask_b32_e32 v7, v1, v7, vcc
	v_mov_b32_e32 v1, 0x70
	v_cndmask_b32_e32 v20, v0, v1, vcc
	v_add_u32_e32 v0, 21, v20
	v_or_b32_e32 v2, 0x800000, v50
	v_lshlrev_b64 v[0:1], v0, -1
	v_cndmask_b32_e32 v50, v2, v50, vcc
	v_not_b32_e32 v1, v1
	v_not_b32_e32 v0, v0
	v_add_u32_e32 v2, 20, v20
	v_and_b32_e32 v1, 0, v1
	v_and_b32_e32 v0, v50, v0
	v_lshlrev_b64 v[14:15], v2, 1
	v_cmp_eq_u64_e32 vcc, v[0:1], v[14:15]
	v_lshrrev_b64 v[0:1], v20, v[50:51]
	v_lshrrev_b32_e32 v2, 23, v0
	v_add3_u32 v14, v20, v7, v2
	v_bfe_u32 v7, v0, 21, 1
	v_add_u32_e32 v7, -1, v7
	v_cndmask_b32_e32 v7, 0, v7, vcc
	v_add_u32_e32 v7, v7, v0
	v_and_b32_e32 v7, 0x1fffff, v7
	v_add_co_u32_e32 v0, vcc, v7, v0
	v_add_u32_e32 v2, 14, v14
	v_addc_co_u32_e32 v1, vcc, 0, v1, vcc
	v_cmp_ne_u32_e32 vcc, 0, v2
                                        ; implicit-def: $vgpr7
	s_and_saveexec_b64 s[30:31], vcc
	s_xor_b64 s[30:31], exec, s[30:31]
; %bb.9796:                             ;   in Loop: Header=BB6_9340 Depth=3
	v_add_u32_e32 v7, 15, v14
	v_cmp_lt_u64_e32 vcc, s[56:57], v[0:1]
	v_cndmask_b32_e32 v7, v2, v7, vcc
	v_cndmask_b32_e64 v2, 0, 1, vcc
	v_lshrrev_b64 v[0:1], v2, v[0:1]
; %bb.9797:                             ;   in Loop: Header=BB6_9340 Depth=3
	s_andn2_saveexec_b64 vcc, s[30:31]
; %bb.9798:                             ;   in Loop: Header=BB6_9340 Depth=3
	v_bfe_u32 v7, v0, 23, 1
; %bb.9799:                             ;   in Loop: Header=BB6_9340 Depth=3
	s_or_b64 exec, exec, vcc
	v_lshrrev_b64 v[0:1], 21, v[0:1]
	v_cmp_gt_i32_e32 vcc, 32, v7
	v_cndmask_b32_e32 v1, 0, v1, vcc
	v_cndmask_b32_e32 v0, 3, v0, vcc
	v_cmp_ne_u32_e32 vcc, 0, v7
	v_cmp_ne_u64_e64 s[30:31], 0, v[0:1]
	s_or_b64 vcc, vcc, s[30:31]
                                        ; implicit-def: $vgpr2
	s_and_saveexec_b64 s[30:31], vcc
	s_xor_b64 vcc, exec, s[30:31]
; %bb.9800:                             ;   in Loop: Header=BB6_9340 Depth=3
	v_min_i32_e32 v1, 31, v7
	v_lshl_or_b32 v1, v1, 2, v6
	v_and_or_b32 v2, v0, 3, v1
                                        ; implicit-def: $vgpr6
; %bb.9801:                             ;   in Loop: Header=BB6_9340 Depth=3
	s_andn2_saveexec_b64 vcc, vcc
; %bb.9802:                             ;   in Loop: Header=BB6_9340 Depth=3
	v_mov_b32_e32 v2, v6
; %bb.9803:                             ;   in Loop: Header=BB6_9340 Depth=3
	s_or_b64 exec, exec, vcc
.LBB6_9804:                             ;   in Loop: Header=BB6_9340 Depth=3
	s_or_b64 exec, exec, s[74:75]
.LBB6_9805:                             ;   in Loop: Header=BB6_9340 Depth=3
	s_andn2_saveexec_b64 vcc, s[72:73]
	s_or_b64 exec, exec, vcc
                                        ; implicit-def: $vgpr1
.LBB6_9806:                             ;   in Loop: Header=BB6_9340 Depth=3
	s_andn2_saveexec_b64 s[30:31], s[70:71]
; %bb.9807:                             ;   in Loop: Header=BB6_9340 Depth=3
	v_or_b32_sdwa v0, v1, s39 dst_sel:DWORD dst_unused:UNUSED_PAD src0_sel:BYTE_3 src1_sel:DWORD
	v_cmp_eq_u64_e32 vcc, 0, v[50:51]
	v_cndmask_b32_e32 v2, v0, v2, vcc
; %bb.9808:                             ;   in Loop: Header=BB6_9340 Depth=3
	s_or_b64 exec, exec, s[30:31]
	v_and_b32_e32 v0, 0xff, v46
	s_and_b64 vcc, exec, s[28:29]
	v_cmp_ne_u16_e64 s[30:31], 0, v46
	s_cbranch_vccnz .LBB6_9826
; %bb.9809:                             ;   in Loop: Header=BB6_9340 Depth=3
	v_mov_b32_e32 v6, 0
	v_mov_b32_e32 v1, 0
	s_and_saveexec_b64 s[70:71], s[30:31]
	s_cbranch_execz .LBB6_9817
; %bb.9810:                             ;   in Loop: Header=BB6_9340 Depth=3
	v_cmp_ne_u16_e32 vcc, s94, v46
	v_bfrev_b32_e32 v1, 1
	s_and_saveexec_b64 s[72:73], vcc
	s_cbranch_execz .LBB6_9816
; %bb.9811:                             ;   in Loop: Header=BB6_9340 Depth=3
	v_and_b32_e32 v1, 0x7c, v0
	v_and_b32_e32 v7, 3, v0
	v_cmp_ne_u32_e32 vcc, s95, v1
                                        ; implicit-def: $vgpr1
	s_and_saveexec_b64 s[74:75], vcc
	s_xor_b64 s[74:75], exec, s[74:75]
	s_cbranch_execz .LBB6_9813
; %bb.9812:                             ;   in Loop: Header=BB6_9340 Depth=3
	v_ffbh_u32_e32 v14, v7
	v_min_u32_e32 v21, 32, v14
	v_mov_b32_e32 v47, v51
	v_subrev_u32_e32 v14, 29, v21
	v_bfe_u32 v1, v0, 2, 5
	v_lshlrev_b64 v[14:15], v14, v[46:47]
	v_sub_u32_e32 v15, 30, v21
	v_and_b32_e32 v14, 3, v14
	v_cmp_eq_u32_e32 vcc, 0, v1
	v_cndmask_b32_e32 v1, v1, v15, vcc
	v_cndmask_b32_e32 v7, v7, v14, vcc
	v_bfrev_b32_e32 v14, 28
	v_bfe_i32 v20, v46, 0, 16
	v_lshl_add_u32 v1, v1, 23, v14
	v_and_or_b32 v1, v20, s96, v1
	v_lshl_or_b32 v1, v7, 21, v1
                                        ; implicit-def: $vgpr7
.LBB6_9813:                             ;   in Loop: Header=BB6_9340 Depth=3
	s_andn2_saveexec_b64 s[74:75], s[74:75]
; %bb.9814:                             ;   in Loop: Header=BB6_9340 Depth=3
	v_cmp_lt_i16_e32 vcc, -1, v46
	v_mov_b32_e32 v1, 0xc7600000
	v_mov_b32_e32 v14, 0x47600000
	v_cndmask_b32_e32 v1, v1, v14, vcc
	v_cmp_eq_u32_e32 vcc, 0, v7
	v_mov_b32_e32 v7, 0x7f800001
	v_cndmask_b32_e32 v1, v7, v1, vcc
; %bb.9815:                             ;   in Loop: Header=BB6_9340 Depth=3
	s_or_b64 exec, exec, s[74:75]
.LBB6_9816:                             ;   in Loop: Header=BB6_9340 Depth=3
	s_or_b64 exec, exec, s[72:73]
.LBB6_9817:                             ;   in Loop: Header=BB6_9340 Depth=3
	s_or_b64 exec, exec, s[70:71]
	v_cmp_ne_u16_e32 vcc, 0, v42
	s_and_saveexec_b64 s[70:71], vcc
	s_cbranch_execz .LBB6_9825
; %bb.9818:                             ;   in Loop: Header=BB6_9340 Depth=3
	v_cmp_ne_u16_e32 vcc, s94, v42
	v_bfrev_b32_e32 v6, 1
	s_and_saveexec_b64 s[72:73], vcc
	s_cbranch_execz .LBB6_9824
; %bb.9819:                             ;   in Loop: Header=BB6_9340 Depth=3
	v_and_b32_e32 v6, 0x7c, v42
	v_and_b32_e32 v7, 3, v42
	v_cmp_ne_u32_e32 vcc, s95, v6
                                        ; implicit-def: $vgpr6
	s_and_saveexec_b64 s[74:75], vcc
	s_xor_b64 s[74:75], exec, s[74:75]
	s_cbranch_execz .LBB6_9821
; %bb.9820:                             ;   in Loop: Header=BB6_9340 Depth=3
	v_ffbh_u32_e32 v14, v7
	v_min_u32_e32 v21, 32, v14
	v_and_b32_e32 v6, 0xff, v42
	v_mov_b32_e32 v43, v51
	v_subrev_u32_e32 v14, 29, v21
	v_bfe_u32 v6, v6, 2, 5
	v_lshlrev_b64 v[14:15], v14, v[42:43]
	v_sub_u32_e32 v15, 30, v21
	v_and_b32_e32 v14, 3, v14
	v_cmp_eq_u32_e32 vcc, 0, v6
	v_cndmask_b32_e32 v6, v6, v15, vcc
	v_cndmask_b32_e32 v7, v7, v14, vcc
	v_bfrev_b32_e32 v14, 28
	v_bfe_i32 v20, v42, 0, 16
	v_lshl_add_u32 v6, v6, 23, v14
	v_and_or_b32 v6, v20, s96, v6
	v_lshl_or_b32 v6, v7, 21, v6
                                        ; implicit-def: $vgpr7
.LBB6_9821:                             ;   in Loop: Header=BB6_9340 Depth=3
	s_andn2_saveexec_b64 s[74:75], s[74:75]
; %bb.9822:                             ;   in Loop: Header=BB6_9340 Depth=3
	v_cmp_lt_i16_e32 vcc, -1, v42
	v_mov_b32_e32 v6, 0xc7600000
	v_mov_b32_e32 v14, 0x47600000
	v_cndmask_b32_e32 v6, v6, v14, vcc
	v_cmp_eq_u32_e32 vcc, 0, v7
	v_mov_b32_e32 v7, 0x7f800001
	v_cndmask_b32_e32 v6, v7, v6, vcc
; %bb.9823:                             ;   in Loop: Header=BB6_9340 Depth=3
	s_or_b64 exec, exec, s[74:75]
.LBB6_9824:                             ;   in Loop: Header=BB6_9340 Depth=3
	s_or_b64 exec, exec, s[72:73]
.LBB6_9825:                             ;   in Loop: Header=BB6_9340 Depth=3
	s_or_b64 exec, exec, s[70:71]
	v_max_f32_e32 v6, v6, v6
	v_max_f32_e32 v1, v1, v1
	;; [unrolled: 1-line block ×3, first 2 shown]
	s_branch .LBB6_9844
.LBB6_9826:                             ;   in Loop: Header=BB6_9340 Depth=3
                                        ; implicit-def: $vgpr1
	s_cbranch_execz .LBB6_9844
; %bb.9827:                             ;   in Loop: Header=BB6_9340 Depth=3
	v_mov_b32_e32 v6, 0
	v_mov_b32_e32 v1, 0
	s_and_saveexec_b64 s[70:71], s[30:31]
	s_cbranch_execz .LBB6_9835
; %bb.9828:                             ;   in Loop: Header=BB6_9340 Depth=3
	v_cmp_ne_u16_e32 vcc, s94, v46
	v_bfrev_b32_e32 v1, 1
	s_and_saveexec_b64 s[30:31], vcc
	s_cbranch_execz .LBB6_9834
; %bb.9829:                             ;   in Loop: Header=BB6_9340 Depth=3
	v_and_b32_e32 v1, 0x7c, v0
	v_and_b32_e32 v7, 3, v0
	v_cmp_ne_u32_e32 vcc, s95, v1
                                        ; implicit-def: $vgpr1
	s_and_saveexec_b64 s[72:73], vcc
	s_xor_b64 s[72:73], exec, s[72:73]
	s_cbranch_execz .LBB6_9831
; %bb.9830:                             ;   in Loop: Header=BB6_9340 Depth=3
	v_bfe_u32 v14, v0, 2, 5
	v_ffbh_u32_e32 v0, v7
	v_min_u32_e32 v20, 32, v0
	v_mov_b32_e32 v47, v51
	v_subrev_u32_e32 v0, 29, v20
	v_lshlrev_b64 v[0:1], v0, v[46:47]
	v_sub_u32_e32 v1, 30, v20
	v_and_b32_e32 v0, 3, v0
	v_cmp_eq_u32_e32 vcc, 0, v14
	v_cndmask_b32_e32 v1, v14, v1, vcc
	v_cndmask_b32_e32 v0, v7, v0, vcc
	v_bfrev_b32_e32 v7, 28
	v_bfe_i32 v15, v46, 0, 16
	v_lshl_add_u32 v1, v1, 23, v7
	v_and_or_b32 v1, v15, s96, v1
	v_lshl_or_b32 v1, v0, 21, v1
                                        ; implicit-def: $vgpr7
                                        ; implicit-def: $vgpr46
.LBB6_9831:                             ;   in Loop: Header=BB6_9340 Depth=3
	s_andn2_saveexec_b64 s[72:73], s[72:73]
; %bb.9832:                             ;   in Loop: Header=BB6_9340 Depth=3
	v_cmp_lt_i16_e32 vcc, -1, v46
	v_mov_b32_e32 v0, 0xc7600000
	v_mov_b32_e32 v1, 0x47600000
	v_cndmask_b32_e32 v0, v0, v1, vcc
	v_cmp_eq_u32_e32 vcc, 0, v7
	v_mov_b32_e32 v1, 0x7f800001
	v_cndmask_b32_e32 v1, v1, v0, vcc
; %bb.9833:                             ;   in Loop: Header=BB6_9340 Depth=3
	s_or_b64 exec, exec, s[72:73]
.LBB6_9834:                             ;   in Loop: Header=BB6_9340 Depth=3
	s_or_b64 exec, exec, s[30:31]
.LBB6_9835:                             ;   in Loop: Header=BB6_9340 Depth=3
	s_or_b64 exec, exec, s[70:71]
	v_cmp_ne_u16_e32 vcc, 0, v42
	s_and_saveexec_b64 s[30:31], vcc
	s_cbranch_execz .LBB6_9843
; %bb.9836:                             ;   in Loop: Header=BB6_9340 Depth=3
	v_cmp_ne_u16_e32 vcc, s94, v42
	v_bfrev_b32_e32 v6, 1
	s_and_saveexec_b64 s[70:71], vcc
	s_cbranch_execz .LBB6_9842
; %bb.9837:                             ;   in Loop: Header=BB6_9340 Depth=3
	v_and_b32_e32 v6, 0x7c, v42
	v_and_b32_e32 v0, 3, v42
	v_cmp_ne_u32_e32 vcc, s95, v6
                                        ; implicit-def: $vgpr6
	s_and_saveexec_b64 s[72:73], vcc
	s_xor_b64 s[72:73], exec, s[72:73]
	s_cbranch_execz .LBB6_9839
; %bb.9838:                             ;   in Loop: Header=BB6_9340 Depth=3
	v_and_b32_e32 v6, 0xff, v42
	v_bfe_u32 v14, v6, 2, 5
	v_ffbh_u32_e32 v6, v0
	v_min_u32_e32 v20, 32, v6
	v_mov_b32_e32 v43, v51
	v_subrev_u32_e32 v6, 29, v20
	v_lshlrev_b64 v[6:7], v6, v[42:43]
	v_sub_u32_e32 v7, 30, v20
	v_and_b32_e32 v6, 3, v6
	v_cmp_eq_u32_e32 vcc, 0, v14
	v_cndmask_b32_e32 v7, v14, v7, vcc
	v_cndmask_b32_e32 v0, v0, v6, vcc
	v_bfrev_b32_e32 v6, 28
	v_bfe_i32 v15, v42, 0, 16
	v_lshl_add_u32 v6, v7, 23, v6
	v_and_or_b32 v6, v15, s96, v6
	v_lshl_or_b32 v6, v0, 21, v6
                                        ; implicit-def: $vgpr0
                                        ; implicit-def: $vgpr42
.LBB6_9839:                             ;   in Loop: Header=BB6_9340 Depth=3
	s_andn2_saveexec_b64 s[72:73], s[72:73]
; %bb.9840:                             ;   in Loop: Header=BB6_9340 Depth=3
	v_cmp_lt_i16_e32 vcc, -1, v42
	v_mov_b32_e32 v6, 0xc7600000
	v_mov_b32_e32 v7, 0x47600000
	v_cndmask_b32_e32 v6, v6, v7, vcc
	v_cmp_eq_u32_e32 vcc, 0, v0
	v_mov_b32_e32 v0, 0x7f800001
	v_cndmask_b32_e32 v6, v0, v6, vcc
; %bb.9841:                             ;   in Loop: Header=BB6_9340 Depth=3
	s_or_b64 exec, exec, s[72:73]
.LBB6_9842:                             ;   in Loop: Header=BB6_9340 Depth=3
	s_or_b64 exec, exec, s[70:71]
.LBB6_9843:                             ;   in Loop: Header=BB6_9340 Depth=3
	s_or_b64 exec, exec, s[30:31]
	v_max_f32_e32 v0, v6, v6
	v_max_f32_e32 v1, v1, v1
	v_min_f32_e32 v1, v1, v0
.LBB6_9844:                             ;   in Loop: Header=BB6_9340 Depth=3
	v_and_b32_sdwa v7, v1, s97 dst_sel:DWORD dst_unused:UNUSED_PAD src0_sel:BYTE_3 src1_sel:DWORD
	v_and_b32_e32 v14, 0x7f800000, v1
	v_mov_b32_e32 v15, v51
	v_and_b32_e32 v50, 0x7fffff, v1
	v_or_b32_e32 v6, 0x7b, v7
	v_cmp_ne_u64_e32 vcc, s[52:53], v[14:15]
	s_and_saveexec_b64 s[30:31], vcc
	s_xor_b64 s[70:71], exec, s[30:31]
	s_cbranch_execz .LBB6_9858
; %bb.9845:                             ;   in Loop: Header=BB6_9340 Depth=3
	v_and_b32_e32 v14, 0x7fffffff, v1
	v_mov_b32_e32 v15, v51
	v_cmp_gt_u64_e32 vcc, s[54:55], v[14:15]
	s_and_saveexec_b64 s[30:31], vcc
	s_xor_b64 s[72:73], exec, s[30:31]
	s_cbranch_execz .LBB6_9857
; %bb.9846:                             ;   in Loop: Header=BB6_9340 Depth=3
	v_cmp_ne_u32_e32 vcc, 0, v1
	v_mov_b32_e32 v6, 0
	s_and_saveexec_b64 s[74:75], vcc
	s_cbranch_execz .LBB6_9856
; %bb.9847:                             ;   in Loop: Header=BB6_9340 Depth=3
	v_bfe_u32 v0, v1, 23, 8
	v_cmp_eq_u32_e32 vcc, 0, v0
	v_add_u32_e32 v1, 0xffffff81, v0
	v_cmp_gt_u32_e64 s[30:31], s38, v0
	v_sub_u32_e32 v0, 0x71, v0
	v_mov_b32_e32 v14, 0xffffff82
	v_cndmask_b32_e64 v0, 0, v0, s[30:31]
	v_cndmask_b32_e32 v20, v1, v14, vcc
	v_mov_b32_e32 v1, 0x70
	v_cndmask_b32_e32 v21, v0, v1, vcc
	v_add_u32_e32 v0, 21, v21
	v_or_b32_e32 v6, 0x800000, v50
	v_lshlrev_b64 v[0:1], v0, -1
	v_cndmask_b32_e32 v50, v6, v50, vcc
	v_not_b32_e32 v1, v1
	v_not_b32_e32 v0, v0
	v_add_u32_e32 v6, 20, v21
	v_and_b32_e32 v1, 0, v1
	v_and_b32_e32 v0, v50, v0
	v_lshlrev_b64 v[14:15], v6, 1
	v_cmp_eq_u64_e32 vcc, v[0:1], v[14:15]
	v_lshrrev_b64 v[0:1], v21, v[50:51]
	v_bfe_u32 v14, v0, 21, 1
	v_add_u32_e32 v14, -1, v14
	v_cndmask_b32_e32 v14, 0, v14, vcc
	v_add_u32_e32 v14, v14, v0
	v_lshrrev_b32_e32 v6, 23, v0
	v_and_b32_e32 v14, 0x1fffff, v14
	v_add3_u32 v15, v21, v20, v6
	v_add_co_u32_e32 v0, vcc, v14, v0
	v_add_u32_e32 v6, 14, v15
	v_addc_co_u32_e32 v1, vcc, 0, v1, vcc
	v_cmp_ne_u32_e32 vcc, 0, v6
                                        ; implicit-def: $vgpr14
	s_and_saveexec_b64 s[30:31], vcc
	s_xor_b64 s[30:31], exec, s[30:31]
; %bb.9848:                             ;   in Loop: Header=BB6_9340 Depth=3
	v_add_u32_e32 v14, 15, v15
	v_cmp_lt_u64_e32 vcc, s[56:57], v[0:1]
	v_cndmask_b32_e32 v14, v6, v14, vcc
	v_cndmask_b32_e64 v6, 0, 1, vcc
	v_lshrrev_b64 v[0:1], v6, v[0:1]
; %bb.9849:                             ;   in Loop: Header=BB6_9340 Depth=3
	s_andn2_saveexec_b64 vcc, s[30:31]
; %bb.9850:                             ;   in Loop: Header=BB6_9340 Depth=3
	v_bfe_u32 v14, v0, 23, 1
; %bb.9851:                             ;   in Loop: Header=BB6_9340 Depth=3
	s_or_b64 exec, exec, vcc
	v_lshrrev_b64 v[0:1], 21, v[0:1]
	v_cmp_gt_i32_e32 vcc, 32, v14
	v_cndmask_b32_e32 v1, 0, v1, vcc
	v_cndmask_b32_e32 v0, 3, v0, vcc
	v_cmp_ne_u32_e32 vcc, 0, v14
	v_cmp_ne_u64_e64 s[30:31], 0, v[0:1]
	s_or_b64 vcc, vcc, s[30:31]
                                        ; implicit-def: $vgpr6
	s_and_saveexec_b64 s[30:31], vcc
	s_xor_b64 vcc, exec, s[30:31]
; %bb.9852:                             ;   in Loop: Header=BB6_9340 Depth=3
	v_min_i32_e32 v1, 31, v14
	v_lshl_or_b32 v1, v1, 2, v7
	v_and_or_b32 v6, v0, 3, v1
                                        ; implicit-def: $vgpr7
; %bb.9853:                             ;   in Loop: Header=BB6_9340 Depth=3
	s_andn2_saveexec_b64 vcc, vcc
; %bb.9854:                             ;   in Loop: Header=BB6_9340 Depth=3
	v_mov_b32_e32 v6, v7
; %bb.9855:                             ;   in Loop: Header=BB6_9340 Depth=3
	s_or_b64 exec, exec, vcc
.LBB6_9856:                             ;   in Loop: Header=BB6_9340 Depth=3
	s_or_b64 exec, exec, s[74:75]
.LBB6_9857:                             ;   in Loop: Header=BB6_9340 Depth=3
	s_andn2_saveexec_b64 vcc, s[72:73]
	s_or_b64 exec, exec, vcc
                                        ; implicit-def: $vgpr1
.LBB6_9858:                             ;   in Loop: Header=BB6_9340 Depth=3
	s_andn2_saveexec_b64 s[30:31], s[70:71]
; %bb.9859:                             ;   in Loop: Header=BB6_9340 Depth=3
	v_or_b32_sdwa v0, v1, s39 dst_sel:DWORD dst_unused:UNUSED_PAD src0_sel:BYTE_3 src1_sel:DWORD
	v_cmp_eq_u64_e32 vcc, 0, v[50:51]
	v_cndmask_b32_e32 v6, v0, v6, vcc
; %bb.9860:                             ;   in Loop: Header=BB6_9340 Depth=3
	s_or_b64 exec, exec, s[30:31]
	v_and_b32_e32 v0, 0xff, v44
	s_and_b64 vcc, exec, s[28:29]
	v_cmp_ne_u16_e64 s[30:31], 0, v44
	s_cbranch_vccnz .LBB6_9878
; %bb.9861:                             ;   in Loop: Header=BB6_9340 Depth=3
	v_mov_b32_e32 v7, 0
	v_mov_b32_e32 v1, 0
	s_and_saveexec_b64 s[70:71], s[30:31]
	s_cbranch_execz .LBB6_9869
; %bb.9862:                             ;   in Loop: Header=BB6_9340 Depth=3
	v_cmp_ne_u16_e32 vcc, s94, v44
	v_bfrev_b32_e32 v1, 1
	s_and_saveexec_b64 s[72:73], vcc
	s_cbranch_execz .LBB6_9868
; %bb.9863:                             ;   in Loop: Header=BB6_9340 Depth=3
	v_and_b32_e32 v1, 0x7c, v0
	v_and_b32_e32 v14, 3, v0
	v_cmp_ne_u32_e32 vcc, s95, v1
                                        ; implicit-def: $vgpr1
	s_and_saveexec_b64 s[74:75], vcc
	s_xor_b64 s[74:75], exec, s[74:75]
	s_cbranch_execz .LBB6_9865
; %bb.9864:                             ;   in Loop: Header=BB6_9340 Depth=3
	v_ffbh_u32_e32 v20, v14
	v_min_u32_e32 v22, 32, v20
	v_mov_b32_e32 v45, v51
	v_subrev_u32_e32 v20, 29, v22
	v_bfe_u32 v1, v0, 2, 5
	v_lshlrev_b64 v[20:21], v20, v[44:45]
	v_sub_u32_e32 v21, 30, v22
	v_and_b32_e32 v20, 3, v20
	v_cmp_eq_u32_e32 vcc, 0, v1
	v_cndmask_b32_e32 v1, v1, v21, vcc
	v_cndmask_b32_e32 v14, v14, v20, vcc
	v_bfrev_b32_e32 v20, 28
	v_bfe_i32 v15, v44, 0, 16
	v_lshl_add_u32 v1, v1, 23, v20
	v_and_or_b32 v1, v15, s96, v1
	v_lshl_or_b32 v1, v14, 21, v1
                                        ; implicit-def: $vgpr14
.LBB6_9865:                             ;   in Loop: Header=BB6_9340 Depth=3
	s_andn2_saveexec_b64 s[74:75], s[74:75]
; %bb.9866:                             ;   in Loop: Header=BB6_9340 Depth=3
	v_cmp_lt_i16_e32 vcc, -1, v44
	v_mov_b32_e32 v1, 0xc7600000
	v_mov_b32_e32 v15, 0x47600000
	v_cndmask_b32_e32 v1, v1, v15, vcc
	v_cmp_eq_u32_e32 vcc, 0, v14
	v_mov_b32_e32 v14, 0x7f800001
	v_cndmask_b32_e32 v1, v14, v1, vcc
; %bb.9867:                             ;   in Loop: Header=BB6_9340 Depth=3
	s_or_b64 exec, exec, s[74:75]
.LBB6_9868:                             ;   in Loop: Header=BB6_9340 Depth=3
	s_or_b64 exec, exec, s[72:73]
.LBB6_9869:                             ;   in Loop: Header=BB6_9340 Depth=3
	s_or_b64 exec, exec, s[70:71]
	v_cmp_ne_u16_e32 vcc, 0, v26
	s_and_saveexec_b64 s[70:71], vcc
	s_cbranch_execz .LBB6_9877
; %bb.9870:                             ;   in Loop: Header=BB6_9340 Depth=3
	v_cmp_ne_u16_e32 vcc, s94, v26
	v_bfrev_b32_e32 v7, 1
	s_and_saveexec_b64 s[72:73], vcc
	s_cbranch_execz .LBB6_9876
; %bb.9871:                             ;   in Loop: Header=BB6_9340 Depth=3
	v_and_b32_e32 v7, 0x7c, v26
	v_and_b32_e32 v14, 3, v26
	v_cmp_ne_u32_e32 vcc, s95, v7
                                        ; implicit-def: $vgpr7
	s_and_saveexec_b64 s[74:75], vcc
	s_xor_b64 s[74:75], exec, s[74:75]
	s_cbranch_execz .LBB6_9873
; %bb.9872:                             ;   in Loop: Header=BB6_9340 Depth=3
	v_ffbh_u32_e32 v20, v14
	v_min_u32_e32 v22, 32, v20
	v_and_b32_e32 v7, 0xff, v26
	v_mov_b32_e32 v27, v51
	v_subrev_u32_e32 v20, 29, v22
	v_bfe_u32 v7, v7, 2, 5
	v_lshlrev_b64 v[20:21], v20, v[26:27]
	v_sub_u32_e32 v21, 30, v22
	v_and_b32_e32 v20, 3, v20
	v_cmp_eq_u32_e32 vcc, 0, v7
	v_cndmask_b32_e32 v7, v7, v21, vcc
	v_cndmask_b32_e32 v14, v14, v20, vcc
	v_bfrev_b32_e32 v20, 28
	v_bfe_i32 v15, v26, 0, 16
	v_lshl_add_u32 v7, v7, 23, v20
	v_and_or_b32 v7, v15, s96, v7
	v_lshl_or_b32 v7, v14, 21, v7
                                        ; implicit-def: $vgpr14
.LBB6_9873:                             ;   in Loop: Header=BB6_9340 Depth=3
	s_andn2_saveexec_b64 s[74:75], s[74:75]
; %bb.9874:                             ;   in Loop: Header=BB6_9340 Depth=3
	v_cmp_lt_i16_e32 vcc, -1, v26
	v_mov_b32_e32 v7, 0xc7600000
	v_mov_b32_e32 v15, 0x47600000
	v_cndmask_b32_e32 v7, v7, v15, vcc
	v_cmp_eq_u32_e32 vcc, 0, v14
	v_mov_b32_e32 v14, 0x7f800001
	v_cndmask_b32_e32 v7, v14, v7, vcc
; %bb.9875:                             ;   in Loop: Header=BB6_9340 Depth=3
	s_or_b64 exec, exec, s[74:75]
.LBB6_9876:                             ;   in Loop: Header=BB6_9340 Depth=3
	s_or_b64 exec, exec, s[72:73]
.LBB6_9877:                             ;   in Loop: Header=BB6_9340 Depth=3
	s_or_b64 exec, exec, s[70:71]
	v_max_f32_e32 v7, v7, v7
	v_max_f32_e32 v1, v1, v1
	;; [unrolled: 1-line block ×3, first 2 shown]
	s_branch .LBB6_9896
.LBB6_9878:                             ;   in Loop: Header=BB6_9340 Depth=3
                                        ; implicit-def: $vgpr1
	s_cbranch_execz .LBB6_9896
; %bb.9879:                             ;   in Loop: Header=BB6_9340 Depth=3
	v_mov_b32_e32 v7, 0
	v_mov_b32_e32 v1, 0
	s_and_saveexec_b64 s[70:71], s[30:31]
	s_cbranch_execz .LBB6_9887
; %bb.9880:                             ;   in Loop: Header=BB6_9340 Depth=3
	v_cmp_ne_u16_e32 vcc, s94, v44
	v_bfrev_b32_e32 v1, 1
	s_and_saveexec_b64 s[30:31], vcc
	s_cbranch_execz .LBB6_9886
; %bb.9881:                             ;   in Loop: Header=BB6_9340 Depth=3
	v_and_b32_e32 v1, 0x7c, v0
	v_and_b32_e32 v14, 3, v0
	v_cmp_ne_u32_e32 vcc, s95, v1
                                        ; implicit-def: $vgpr1
	s_and_saveexec_b64 s[72:73], vcc
	s_xor_b64 s[72:73], exec, s[72:73]
	s_cbranch_execz .LBB6_9883
; %bb.9882:                             ;   in Loop: Header=BB6_9340 Depth=3
	v_bfe_u32 v15, v0, 2, 5
	v_ffbh_u32_e32 v0, v14
	v_min_u32_e32 v21, 32, v0
	v_mov_b32_e32 v45, v51
	v_subrev_u32_e32 v0, 29, v21
	v_lshlrev_b64 v[0:1], v0, v[44:45]
	v_sub_u32_e32 v1, 30, v21
	v_and_b32_e32 v0, 3, v0
	v_cmp_eq_u32_e32 vcc, 0, v15
	v_cndmask_b32_e32 v1, v15, v1, vcc
	v_cndmask_b32_e32 v0, v14, v0, vcc
	v_bfrev_b32_e32 v14, 28
	v_bfe_i32 v20, v44, 0, 16
	v_lshl_add_u32 v1, v1, 23, v14
	v_and_or_b32 v1, v20, s96, v1
	v_lshl_or_b32 v1, v0, 21, v1
                                        ; implicit-def: $vgpr14
                                        ; implicit-def: $vgpr44
.LBB6_9883:                             ;   in Loop: Header=BB6_9340 Depth=3
	s_andn2_saveexec_b64 s[72:73], s[72:73]
; %bb.9884:                             ;   in Loop: Header=BB6_9340 Depth=3
	v_cmp_lt_i16_e32 vcc, -1, v44
	v_mov_b32_e32 v0, 0xc7600000
	v_mov_b32_e32 v1, 0x47600000
	v_cndmask_b32_e32 v0, v0, v1, vcc
	v_cmp_eq_u32_e32 vcc, 0, v14
	v_mov_b32_e32 v1, 0x7f800001
	v_cndmask_b32_e32 v1, v1, v0, vcc
; %bb.9885:                             ;   in Loop: Header=BB6_9340 Depth=3
	s_or_b64 exec, exec, s[72:73]
.LBB6_9886:                             ;   in Loop: Header=BB6_9340 Depth=3
	s_or_b64 exec, exec, s[30:31]
.LBB6_9887:                             ;   in Loop: Header=BB6_9340 Depth=3
	s_or_b64 exec, exec, s[70:71]
	v_cmp_ne_u16_e32 vcc, 0, v26
	s_and_saveexec_b64 s[30:31], vcc
	s_cbranch_execz .LBB6_9895
; %bb.9888:                             ;   in Loop: Header=BB6_9340 Depth=3
	v_cmp_ne_u16_e32 vcc, s94, v26
	v_bfrev_b32_e32 v7, 1
	s_and_saveexec_b64 s[70:71], vcc
	s_cbranch_execz .LBB6_9894
; %bb.9889:                             ;   in Loop: Header=BB6_9340 Depth=3
	v_and_b32_e32 v7, 0x7c, v26
	v_and_b32_e32 v0, 3, v26
	v_cmp_ne_u32_e32 vcc, s95, v7
                                        ; implicit-def: $vgpr7
	s_and_saveexec_b64 s[72:73], vcc
	s_xor_b64 s[72:73], exec, s[72:73]
	s_cbranch_execz .LBB6_9891
; %bb.9890:                             ;   in Loop: Header=BB6_9340 Depth=3
	v_ffbh_u32_e32 v14, v0
	v_min_u32_e32 v21, 32, v14
	v_and_b32_e32 v7, 0xff, v26
	v_mov_b32_e32 v27, v51
	v_subrev_u32_e32 v14, 29, v21
	v_bfe_u32 v7, v7, 2, 5
	v_lshlrev_b64 v[14:15], v14, v[26:27]
	v_sub_u32_e32 v15, 30, v21
	v_and_b32_e32 v14, 3, v14
	v_cmp_eq_u32_e32 vcc, 0, v7
	v_cndmask_b32_e32 v7, v7, v15, vcc
	v_cndmask_b32_e32 v0, v0, v14, vcc
	v_bfrev_b32_e32 v14, 28
	v_bfe_i32 v20, v26, 0, 16
	v_lshl_add_u32 v7, v7, 23, v14
	v_and_or_b32 v7, v20, s96, v7
	v_lshl_or_b32 v7, v0, 21, v7
                                        ; implicit-def: $vgpr0
                                        ; implicit-def: $vgpr26
.LBB6_9891:                             ;   in Loop: Header=BB6_9340 Depth=3
	s_andn2_saveexec_b64 s[72:73], s[72:73]
; %bb.9892:                             ;   in Loop: Header=BB6_9340 Depth=3
	v_cmp_lt_i16_e32 vcc, -1, v26
	v_mov_b32_e32 v7, 0xc7600000
	v_mov_b32_e32 v14, 0x47600000
	v_cndmask_b32_e32 v7, v7, v14, vcc
	v_cmp_eq_u32_e32 vcc, 0, v0
	v_mov_b32_e32 v0, 0x7f800001
	v_cndmask_b32_e32 v7, v0, v7, vcc
; %bb.9893:                             ;   in Loop: Header=BB6_9340 Depth=3
	s_or_b64 exec, exec, s[72:73]
.LBB6_9894:                             ;   in Loop: Header=BB6_9340 Depth=3
	s_or_b64 exec, exec, s[70:71]
.LBB6_9895:                             ;   in Loop: Header=BB6_9340 Depth=3
	s_or_b64 exec, exec, s[30:31]
	v_max_f32_e32 v0, v7, v7
	v_max_f32_e32 v1, v1, v1
	v_min_f32_e32 v1, v1, v0
.LBB6_9896:                             ;   in Loop: Header=BB6_9340 Depth=3
	v_and_b32_sdwa v14, v1, s97 dst_sel:DWORD dst_unused:UNUSED_PAD src0_sel:BYTE_3 src1_sel:DWORD
	v_and_b32_e32 v20, 0x7f800000, v1
	v_mov_b32_e32 v21, v51
	v_and_b32_e32 v50, 0x7fffff, v1
	v_or_b32_e32 v7, 0x7b, v14
	v_cmp_ne_u64_e32 vcc, s[52:53], v[20:21]
	s_and_saveexec_b64 s[30:31], vcc
	s_xor_b64 s[70:71], exec, s[30:31]
	s_cbranch_execz .LBB6_9910
; %bb.9897:                             ;   in Loop: Header=BB6_9340 Depth=3
	v_and_b32_e32 v20, 0x7fffffff, v1
	v_mov_b32_e32 v21, v51
	v_cmp_gt_u64_e32 vcc, s[54:55], v[20:21]
	s_and_saveexec_b64 s[30:31], vcc
	s_xor_b64 s[72:73], exec, s[30:31]
	s_cbranch_execz .LBB6_9909
; %bb.9898:                             ;   in Loop: Header=BB6_9340 Depth=3
	v_cmp_ne_u32_e32 vcc, 0, v1
	v_mov_b32_e32 v7, 0
	s_and_saveexec_b64 s[74:75], vcc
	s_cbranch_execz .LBB6_9908
; %bb.9899:                             ;   in Loop: Header=BB6_9340 Depth=3
	v_bfe_u32 v0, v1, 23, 8
	v_cmp_eq_u32_e32 vcc, 0, v0
	v_add_u32_e32 v1, 0xffffff81, v0
	v_cmp_gt_u32_e64 s[30:31], s38, v0
	v_sub_u32_e32 v0, 0x71, v0
	v_mov_b32_e32 v15, 0xffffff82
	v_cndmask_b32_e64 v0, 0, v0, s[30:31]
	v_cndmask_b32_e32 v15, v1, v15, vcc
	v_mov_b32_e32 v1, 0x70
	v_cndmask_b32_e32 v22, v0, v1, vcc
	v_add_u32_e32 v0, 21, v22
	v_or_b32_e32 v7, 0x800000, v50
	v_lshlrev_b64 v[0:1], v0, -1
	v_cndmask_b32_e32 v50, v7, v50, vcc
	v_not_b32_e32 v1, v1
	v_not_b32_e32 v0, v0
	v_add_u32_e32 v7, 20, v22
	v_and_b32_e32 v1, 0, v1
	v_and_b32_e32 v0, v50, v0
	v_lshlrev_b64 v[20:21], v7, 1
	v_cmp_eq_u64_e32 vcc, v[0:1], v[20:21]
	v_lshrrev_b64 v[0:1], v22, v[50:51]
	v_lshrrev_b32_e32 v7, 23, v0
	v_add3_u32 v20, v22, v15, v7
	v_bfe_u32 v15, v0, 21, 1
	v_add_u32_e32 v15, -1, v15
	v_cndmask_b32_e32 v15, 0, v15, vcc
	v_add_u32_e32 v15, v15, v0
	v_and_b32_e32 v15, 0x1fffff, v15
	v_add_co_u32_e32 v0, vcc, v15, v0
	v_add_u32_e32 v7, 14, v20
	v_addc_co_u32_e32 v1, vcc, 0, v1, vcc
	v_cmp_ne_u32_e32 vcc, 0, v7
                                        ; implicit-def: $vgpr15
	s_and_saveexec_b64 s[30:31], vcc
	s_xor_b64 s[30:31], exec, s[30:31]
; %bb.9900:                             ;   in Loop: Header=BB6_9340 Depth=3
	v_add_u32_e32 v15, 15, v20
	v_cmp_lt_u64_e32 vcc, s[56:57], v[0:1]
	v_cndmask_b32_e32 v15, v7, v15, vcc
	v_cndmask_b32_e64 v7, 0, 1, vcc
	v_lshrrev_b64 v[0:1], v7, v[0:1]
; %bb.9901:                             ;   in Loop: Header=BB6_9340 Depth=3
	s_andn2_saveexec_b64 vcc, s[30:31]
; %bb.9902:                             ;   in Loop: Header=BB6_9340 Depth=3
	v_bfe_u32 v15, v0, 23, 1
; %bb.9903:                             ;   in Loop: Header=BB6_9340 Depth=3
	s_or_b64 exec, exec, vcc
	v_lshrrev_b64 v[0:1], 21, v[0:1]
	v_cmp_gt_i32_e32 vcc, 32, v15
	v_cndmask_b32_e32 v1, 0, v1, vcc
	v_cndmask_b32_e32 v0, 3, v0, vcc
	v_cmp_ne_u32_e32 vcc, 0, v15
	v_cmp_ne_u64_e64 s[30:31], 0, v[0:1]
	s_or_b64 vcc, vcc, s[30:31]
                                        ; implicit-def: $vgpr7
	s_and_saveexec_b64 s[30:31], vcc
	s_xor_b64 vcc, exec, s[30:31]
; %bb.9904:                             ;   in Loop: Header=BB6_9340 Depth=3
	v_min_i32_e32 v1, 31, v15
	v_lshl_or_b32 v1, v1, 2, v14
	v_and_or_b32 v7, v0, 3, v1
                                        ; implicit-def: $vgpr14
; %bb.9905:                             ;   in Loop: Header=BB6_9340 Depth=3
	s_andn2_saveexec_b64 vcc, vcc
; %bb.9906:                             ;   in Loop: Header=BB6_9340 Depth=3
	v_mov_b32_e32 v7, v14
; %bb.9907:                             ;   in Loop: Header=BB6_9340 Depth=3
	s_or_b64 exec, exec, vcc
.LBB6_9908:                             ;   in Loop: Header=BB6_9340 Depth=3
	s_or_b64 exec, exec, s[74:75]
.LBB6_9909:                             ;   in Loop: Header=BB6_9340 Depth=3
	s_andn2_saveexec_b64 vcc, s[72:73]
	s_or_b64 exec, exec, vcc
                                        ; implicit-def: $vgpr1
.LBB6_9910:                             ;   in Loop: Header=BB6_9340 Depth=3
	s_andn2_saveexec_b64 s[30:31], s[70:71]
; %bb.9911:                             ;   in Loop: Header=BB6_9340 Depth=3
	v_or_b32_sdwa v0, v1, s39 dst_sel:DWORD dst_unused:UNUSED_PAD src0_sel:BYTE_3 src1_sel:DWORD
	v_cmp_eq_u64_e32 vcc, 0, v[50:51]
	v_cndmask_b32_e32 v7, v0, v7, vcc
; %bb.9912:                             ;   in Loop: Header=BB6_9340 Depth=3
	s_or_b64 exec, exec, s[30:31]
	v_and_b32_e32 v0, 0xff, v28
	s_and_b64 vcc, exec, s[28:29]
	v_cmp_ne_u16_e64 s[30:31], 0, v28
	s_cbranch_vccnz .LBB6_9930
; %bb.9913:                             ;   in Loop: Header=BB6_9340 Depth=3
	v_mov_b32_e32 v14, 0
	v_mov_b32_e32 v1, 0
	s_and_saveexec_b64 s[70:71], s[30:31]
	s_cbranch_execz .LBB6_9921
; %bb.9914:                             ;   in Loop: Header=BB6_9340 Depth=3
	v_cmp_ne_u16_e32 vcc, s94, v28
	v_bfrev_b32_e32 v1, 1
	s_and_saveexec_b64 s[72:73], vcc
	s_cbranch_execz .LBB6_9920
; %bb.9915:                             ;   in Loop: Header=BB6_9340 Depth=3
	v_and_b32_e32 v1, 0x7c, v0
	v_and_b32_e32 v15, 3, v0
	v_cmp_ne_u32_e32 vcc, s95, v1
                                        ; implicit-def: $vgpr1
	s_and_saveexec_b64 s[74:75], vcc
	s_xor_b64 s[74:75], exec, s[74:75]
	s_cbranch_execz .LBB6_9917
; %bb.9916:                             ;   in Loop: Header=BB6_9340 Depth=3
	v_ffbh_u32_e32 v20, v15
	v_min_u32_e32 v23, 32, v20
	v_mov_b32_e32 v29, v51
	v_subrev_u32_e32 v20, 29, v23
	v_bfe_u32 v1, v0, 2, 5
	v_lshlrev_b64 v[20:21], v20, v[28:29]
	v_sub_u32_e32 v21, 30, v23
	v_and_b32_e32 v20, 3, v20
	v_cmp_eq_u32_e32 vcc, 0, v1
	v_cndmask_b32_e32 v1, v1, v21, vcc
	v_cndmask_b32_e32 v15, v15, v20, vcc
	v_bfrev_b32_e32 v20, 28
	v_bfe_i32 v22, v28, 0, 16
	v_lshl_add_u32 v1, v1, 23, v20
	v_and_or_b32 v1, v22, s96, v1
	v_lshl_or_b32 v1, v15, 21, v1
                                        ; implicit-def: $vgpr15
.LBB6_9917:                             ;   in Loop: Header=BB6_9340 Depth=3
	s_andn2_saveexec_b64 s[74:75], s[74:75]
; %bb.9918:                             ;   in Loop: Header=BB6_9340 Depth=3
	v_cmp_lt_i16_e32 vcc, -1, v28
	v_mov_b32_e32 v1, 0xc7600000
	v_mov_b32_e32 v20, 0x47600000
	v_cndmask_b32_e32 v1, v1, v20, vcc
	v_cmp_eq_u32_e32 vcc, 0, v15
	v_mov_b32_e32 v15, 0x7f800001
	v_cndmask_b32_e32 v1, v15, v1, vcc
; %bb.9919:                             ;   in Loop: Header=BB6_9340 Depth=3
	s_or_b64 exec, exec, s[74:75]
.LBB6_9920:                             ;   in Loop: Header=BB6_9340 Depth=3
	s_or_b64 exec, exec, s[72:73]
.LBB6_9921:                             ;   in Loop: Header=BB6_9340 Depth=3
	s_or_b64 exec, exec, s[70:71]
	v_cmp_ne_u16_e32 vcc, 0, v56
	s_and_saveexec_b64 s[70:71], vcc
	s_cbranch_execz .LBB6_9929
; %bb.9922:                             ;   in Loop: Header=BB6_9340 Depth=3
	v_cmp_ne_u16_e32 vcc, s94, v56
	v_bfrev_b32_e32 v14, 1
	s_and_saveexec_b64 s[72:73], vcc
	s_cbranch_execz .LBB6_9928
; %bb.9923:                             ;   in Loop: Header=BB6_9340 Depth=3
	v_and_b32_e32 v14, 0x7c, v56
	v_and_b32_e32 v15, 3, v56
	v_cmp_ne_u32_e32 vcc, s95, v14
                                        ; implicit-def: $vgpr14
	s_and_saveexec_b64 s[74:75], vcc
	s_xor_b64 s[74:75], exec, s[74:75]
	s_cbranch_execz .LBB6_9925
; %bb.9924:                             ;   in Loop: Header=BB6_9340 Depth=3
	v_ffbh_u32_e32 v20, v15
	v_min_u32_e32 v23, 32, v20
	v_and_b32_e32 v14, 0xff, v56
	v_mov_b32_e32 v57, v51
	v_subrev_u32_e32 v20, 29, v23
	v_bfe_u32 v14, v14, 2, 5
	v_lshlrev_b64 v[20:21], v20, v[56:57]
	v_sub_u32_e32 v21, 30, v23
	v_and_b32_e32 v20, 3, v20
	v_cmp_eq_u32_e32 vcc, 0, v14
	v_cndmask_b32_e32 v14, v14, v21, vcc
	v_cndmask_b32_e32 v15, v15, v20, vcc
	v_bfrev_b32_e32 v20, 28
	v_bfe_i32 v22, v56, 0, 16
	v_lshl_add_u32 v14, v14, 23, v20
	v_and_or_b32 v14, v22, s96, v14
	v_lshl_or_b32 v14, v15, 21, v14
                                        ; implicit-def: $vgpr15
.LBB6_9925:                             ;   in Loop: Header=BB6_9340 Depth=3
	s_andn2_saveexec_b64 s[74:75], s[74:75]
; %bb.9926:                             ;   in Loop: Header=BB6_9340 Depth=3
	v_cmp_lt_i16_e32 vcc, -1, v56
	v_mov_b32_e32 v14, 0xc7600000
	v_mov_b32_e32 v20, 0x47600000
	v_cndmask_b32_e32 v14, v14, v20, vcc
	v_cmp_eq_u32_e32 vcc, 0, v15
	v_mov_b32_e32 v15, 0x7f800001
	v_cndmask_b32_e32 v14, v15, v14, vcc
; %bb.9927:                             ;   in Loop: Header=BB6_9340 Depth=3
	s_or_b64 exec, exec, s[74:75]
.LBB6_9928:                             ;   in Loop: Header=BB6_9340 Depth=3
	s_or_b64 exec, exec, s[72:73]
.LBB6_9929:                             ;   in Loop: Header=BB6_9340 Depth=3
	s_or_b64 exec, exec, s[70:71]
	v_max_f32_e32 v14, v14, v14
	v_max_f32_e32 v1, v1, v1
	;; [unrolled: 1-line block ×3, first 2 shown]
	s_branch .LBB6_9948
.LBB6_9930:                             ;   in Loop: Header=BB6_9340 Depth=3
                                        ; implicit-def: $vgpr1
	s_cbranch_execz .LBB6_9948
; %bb.9931:                             ;   in Loop: Header=BB6_9340 Depth=3
	v_mov_b32_e32 v14, 0
	v_mov_b32_e32 v1, 0
	s_and_saveexec_b64 s[70:71], s[30:31]
	s_cbranch_execz .LBB6_9939
; %bb.9932:                             ;   in Loop: Header=BB6_9340 Depth=3
	v_cmp_ne_u16_e32 vcc, s94, v28
	v_bfrev_b32_e32 v1, 1
	s_and_saveexec_b64 s[30:31], vcc
	s_cbranch_execz .LBB6_9938
; %bb.9933:                             ;   in Loop: Header=BB6_9340 Depth=3
	v_and_b32_e32 v1, 0x7c, v0
	v_and_b32_e32 v15, 3, v0
	v_cmp_ne_u32_e32 vcc, s95, v1
                                        ; implicit-def: $vgpr1
	s_and_saveexec_b64 s[72:73], vcc
	s_xor_b64 s[72:73], exec, s[72:73]
	s_cbranch_execz .LBB6_9935
; %bb.9934:                             ;   in Loop: Header=BB6_9340 Depth=3
	v_bfe_u32 v20, v0, 2, 5
	v_ffbh_u32_e32 v0, v15
	v_min_u32_e32 v22, 32, v0
	v_mov_b32_e32 v29, v51
	v_subrev_u32_e32 v0, 29, v22
	v_lshlrev_b64 v[0:1], v0, v[28:29]
	v_sub_u32_e32 v1, 30, v22
	v_and_b32_e32 v0, 3, v0
	v_cmp_eq_u32_e32 vcc, 0, v20
	v_cndmask_b32_e32 v1, v20, v1, vcc
	v_cndmask_b32_e32 v0, v15, v0, vcc
	v_bfrev_b32_e32 v15, 28
	v_bfe_i32 v21, v28, 0, 16
	v_lshl_add_u32 v1, v1, 23, v15
	v_and_or_b32 v1, v21, s96, v1
	v_lshl_or_b32 v1, v0, 21, v1
                                        ; implicit-def: $vgpr15
                                        ; implicit-def: $vgpr28
.LBB6_9935:                             ;   in Loop: Header=BB6_9340 Depth=3
	s_andn2_saveexec_b64 s[72:73], s[72:73]
; %bb.9936:                             ;   in Loop: Header=BB6_9340 Depth=3
	v_cmp_lt_i16_e32 vcc, -1, v28
	v_mov_b32_e32 v0, 0xc7600000
	v_mov_b32_e32 v1, 0x47600000
	v_cndmask_b32_e32 v0, v0, v1, vcc
	v_cmp_eq_u32_e32 vcc, 0, v15
	v_mov_b32_e32 v1, 0x7f800001
	v_cndmask_b32_e32 v1, v1, v0, vcc
; %bb.9937:                             ;   in Loop: Header=BB6_9340 Depth=3
	s_or_b64 exec, exec, s[72:73]
.LBB6_9938:                             ;   in Loop: Header=BB6_9340 Depth=3
	s_or_b64 exec, exec, s[30:31]
.LBB6_9939:                             ;   in Loop: Header=BB6_9340 Depth=3
	s_or_b64 exec, exec, s[70:71]
	v_cmp_ne_u16_e32 vcc, 0, v56
	s_and_saveexec_b64 s[30:31], vcc
	s_cbranch_execz .LBB6_9947
; %bb.9940:                             ;   in Loop: Header=BB6_9340 Depth=3
	v_cmp_ne_u16_e32 vcc, s94, v56
	v_bfrev_b32_e32 v14, 1
	s_and_saveexec_b64 s[70:71], vcc
	s_cbranch_execz .LBB6_9946
; %bb.9941:                             ;   in Loop: Header=BB6_9340 Depth=3
	v_and_b32_e32 v14, 0x7c, v56
	v_and_b32_e32 v0, 3, v56
	v_cmp_ne_u32_e32 vcc, s95, v14
                                        ; implicit-def: $vgpr14
	s_and_saveexec_b64 s[72:73], vcc
	s_xor_b64 s[72:73], exec, s[72:73]
	s_cbranch_execz .LBB6_9943
; %bb.9942:                             ;   in Loop: Header=BB6_9340 Depth=3
	v_and_b32_e32 v14, 0xff, v56
	v_bfe_u32 v20, v14, 2, 5
	v_ffbh_u32_e32 v14, v0
	v_min_u32_e32 v22, 32, v14
	v_mov_b32_e32 v57, v51
	v_subrev_u32_e32 v14, 29, v22
	v_lshlrev_b64 v[14:15], v14, v[56:57]
	v_sub_u32_e32 v15, 30, v22
	v_and_b32_e32 v14, 3, v14
	v_cmp_eq_u32_e32 vcc, 0, v20
	v_cndmask_b32_e32 v15, v20, v15, vcc
	v_cndmask_b32_e32 v0, v0, v14, vcc
	v_bfrev_b32_e32 v14, 28
	v_bfe_i32 v21, v56, 0, 16
	v_lshl_add_u32 v14, v15, 23, v14
	v_and_or_b32 v14, v21, s96, v14
	v_lshl_or_b32 v14, v0, 21, v14
                                        ; implicit-def: $vgpr0
                                        ; implicit-def: $vgpr56
.LBB6_9943:                             ;   in Loop: Header=BB6_9340 Depth=3
	s_andn2_saveexec_b64 s[72:73], s[72:73]
; %bb.9944:                             ;   in Loop: Header=BB6_9340 Depth=3
	v_cmp_lt_i16_e32 vcc, -1, v56
	v_mov_b32_e32 v14, 0xc7600000
	v_mov_b32_e32 v15, 0x47600000
	v_cndmask_b32_e32 v14, v14, v15, vcc
	v_cmp_eq_u32_e32 vcc, 0, v0
	v_mov_b32_e32 v0, 0x7f800001
	v_cndmask_b32_e32 v14, v0, v14, vcc
; %bb.9945:                             ;   in Loop: Header=BB6_9340 Depth=3
	s_or_b64 exec, exec, s[72:73]
.LBB6_9946:                             ;   in Loop: Header=BB6_9340 Depth=3
	s_or_b64 exec, exec, s[70:71]
.LBB6_9947:                             ;   in Loop: Header=BB6_9340 Depth=3
	s_or_b64 exec, exec, s[30:31]
	v_max_f32_e32 v0, v14, v14
	v_max_f32_e32 v1, v1, v1
	v_min_f32_e32 v1, v1, v0
.LBB6_9948:                             ;   in Loop: Header=BB6_9340 Depth=3
	v_and_b32_sdwa v15, v1, s97 dst_sel:DWORD dst_unused:UNUSED_PAD src0_sel:BYTE_3 src1_sel:DWORD
	v_and_b32_e32 v50, 0x7fffff, v1
	v_or_b32_e32 v14, 0x7b, v15
	v_and_b32_e32 v20, 0x7f800000, v1
	v_mov_b32_e32 v21, v51
	v_cmp_ne_u64_e32 vcc, s[52:53], v[20:21]
	s_mov_b64 s[30:31], exec
	s_and_b64 vcc, s[30:31], vcc
	s_xor_b64 s[70:71], vcc, s[30:31]
	v_accvgpr_read_b32 v28, a56
	s_mov_b64 exec, vcc
	s_cbranch_execz .LBB6_9962
; %bb.9949:                             ;   in Loop: Header=BB6_9340 Depth=3
	v_and_b32_e32 v20, 0x7fffffff, v1
	v_mov_b32_e32 v21, v51
	v_cmp_gt_u64_e32 vcc, s[54:55], v[20:21]
	s_and_saveexec_b64 s[30:31], vcc
	s_xor_b64 s[72:73], exec, s[30:31]
	s_cbranch_execz .LBB6_9961
; %bb.9950:                             ;   in Loop: Header=BB6_9340 Depth=3
	v_cmp_ne_u32_e32 vcc, 0, v1
	v_mov_b32_e32 v14, 0
	s_and_saveexec_b64 s[74:75], vcc
	s_cbranch_execz .LBB6_9960
; %bb.9951:                             ;   in Loop: Header=BB6_9340 Depth=3
	v_bfe_u32 v0, v1, 23, 8
	v_cmp_eq_u32_e32 vcc, 0, v0
	v_add_u32_e32 v1, 0xffffff81, v0
	v_cmp_gt_u32_e64 s[30:31], s38, v0
	v_sub_u32_e32 v0, 0x71, v0
	v_mov_b32_e32 v20, 0xffffff82
	v_cndmask_b32_e64 v0, 0, v0, s[30:31]
	v_cndmask_b32_e32 v22, v1, v20, vcc
	v_mov_b32_e32 v1, 0x70
	v_cndmask_b32_e32 v23, v0, v1, vcc
	v_add_u32_e32 v0, 21, v23
	v_or_b32_e32 v14, 0x800000, v50
	v_lshlrev_b64 v[0:1], v0, -1
	v_cndmask_b32_e32 v50, v14, v50, vcc
	v_not_b32_e32 v1, v1
	v_not_b32_e32 v0, v0
	v_add_u32_e32 v14, 20, v23
	v_and_b32_e32 v1, 0, v1
	v_and_b32_e32 v0, v50, v0
	v_lshlrev_b64 v[20:21], v14, 1
	v_cmp_eq_u64_e32 vcc, v[0:1], v[20:21]
	v_lshrrev_b64 v[0:1], v23, v[50:51]
	v_bfe_u32 v20, v0, 21, 1
	v_add_u32_e32 v20, -1, v20
	v_cndmask_b32_e32 v20, 0, v20, vcc
	v_add_u32_e32 v20, v20, v0
	v_lshrrev_b32_e32 v14, 23, v0
	v_and_b32_e32 v20, 0x1fffff, v20
	v_add3_u32 v21, v23, v22, v14
	v_add_co_u32_e32 v0, vcc, v20, v0
	v_add_u32_e32 v14, 14, v21
	v_addc_co_u32_e32 v1, vcc, 0, v1, vcc
	v_cmp_ne_u32_e32 vcc, 0, v14
                                        ; implicit-def: $vgpr20
	s_and_saveexec_b64 s[30:31], vcc
	s_xor_b64 s[30:31], exec, s[30:31]
; %bb.9952:                             ;   in Loop: Header=BB6_9340 Depth=3
	v_add_u32_e32 v20, 15, v21
	v_cmp_lt_u64_e32 vcc, s[56:57], v[0:1]
	v_cndmask_b32_e32 v20, v14, v20, vcc
	v_cndmask_b32_e64 v14, 0, 1, vcc
	v_lshrrev_b64 v[0:1], v14, v[0:1]
; %bb.9953:                             ;   in Loop: Header=BB6_9340 Depth=3
	s_andn2_saveexec_b64 vcc, s[30:31]
; %bb.9954:                             ;   in Loop: Header=BB6_9340 Depth=3
	v_bfe_u32 v20, v0, 23, 1
; %bb.9955:                             ;   in Loop: Header=BB6_9340 Depth=3
	s_or_b64 exec, exec, vcc
	v_lshrrev_b64 v[0:1], 21, v[0:1]
	v_cmp_gt_i32_e32 vcc, 32, v20
	v_cndmask_b32_e32 v1, 0, v1, vcc
	v_cndmask_b32_e32 v0, 3, v0, vcc
	v_cmp_ne_u32_e32 vcc, 0, v20
	v_cmp_ne_u64_e64 s[30:31], 0, v[0:1]
	s_or_b64 vcc, vcc, s[30:31]
                                        ; implicit-def: $vgpr14
	s_and_saveexec_b64 s[30:31], vcc
	s_xor_b64 vcc, exec, s[30:31]
; %bb.9956:                             ;   in Loop: Header=BB6_9340 Depth=3
	v_min_i32_e32 v1, 31, v20
	v_lshl_or_b32 v1, v1, 2, v15
	v_and_or_b32 v14, v0, 3, v1
                                        ; implicit-def: $vgpr15
; %bb.9957:                             ;   in Loop: Header=BB6_9340 Depth=3
	s_andn2_saveexec_b64 vcc, vcc
; %bb.9958:                             ;   in Loop: Header=BB6_9340 Depth=3
	v_mov_b32_e32 v14, v15
; %bb.9959:                             ;   in Loop: Header=BB6_9340 Depth=3
	s_or_b64 exec, exec, vcc
.LBB6_9960:                             ;   in Loop: Header=BB6_9340 Depth=3
	s_or_b64 exec, exec, s[74:75]
.LBB6_9961:                             ;   in Loop: Header=BB6_9340 Depth=3
	s_andn2_saveexec_b64 vcc, s[72:73]
	s_or_b64 exec, exec, vcc
                                        ; implicit-def: $vgpr1
.LBB6_9962:                             ;   in Loop: Header=BB6_9340 Depth=3
	s_andn2_saveexec_b64 s[30:31], s[70:71]
; %bb.9963:                             ;   in Loop: Header=BB6_9340 Depth=3
	v_or_b32_sdwa v0, v1, s39 dst_sel:DWORD dst_unused:UNUSED_PAD src0_sel:BYTE_3 src1_sel:DWORD
	v_cmp_eq_u64_e32 vcc, 0, v[50:51]
	v_cndmask_b32_e32 v14, v0, v14, vcc
; %bb.9964:                             ;   in Loop: Header=BB6_9340 Depth=3
	s_or_b64 exec, exec, s[30:31]
	v_and_b32_e32 v0, 0xff, v40
	s_and_b64 vcc, exec, s[28:29]
	v_cmp_ne_u16_e64 s[30:31], 0, v40
	s_cbranch_vccnz .LBB6_9982
; %bb.9965:                             ;   in Loop: Header=BB6_9340 Depth=3
	v_mov_b32_e32 v15, 0
	v_mov_b32_e32 v1, 0
	s_and_saveexec_b64 s[70:71], s[30:31]
	s_cbranch_execz .LBB6_9973
; %bb.9966:                             ;   in Loop: Header=BB6_9340 Depth=3
	v_cmp_ne_u16_e32 vcc, s94, v40
	v_bfrev_b32_e32 v1, 1
	s_and_saveexec_b64 s[72:73], vcc
	s_cbranch_execz .LBB6_9972
; %bb.9967:                             ;   in Loop: Header=BB6_9340 Depth=3
	v_and_b32_e32 v1, 0x7c, v0
	v_and_b32_e32 v20, 3, v0
	v_cmp_ne_u32_e32 vcc, s95, v1
                                        ; implicit-def: $vgpr1
	s_and_saveexec_b64 s[74:75], vcc
	s_xor_b64 s[74:75], exec, s[74:75]
	s_cbranch_execz .LBB6_9969
; %bb.9968:                             ;   in Loop: Header=BB6_9340 Depth=3
	v_ffbh_u32_e32 v22, v20
	v_min_u32_e32 v26, 32, v22
	v_mov_b32_e32 v41, v51
	v_subrev_u32_e32 v22, 29, v26
	v_bfe_u32 v1, v0, 2, 5
	v_lshlrev_b64 v[22:23], v22, v[40:41]
	v_sub_u32_e32 v23, 30, v26
	v_and_b32_e32 v22, 3, v22
	v_cmp_eq_u32_e32 vcc, 0, v1
	v_cndmask_b32_e32 v1, v1, v23, vcc
	v_cndmask_b32_e32 v20, v20, v22, vcc
	v_bfrev_b32_e32 v22, 28
	v_bfe_i32 v21, v40, 0, 16
	v_lshl_add_u32 v1, v1, 23, v22
	v_and_or_b32 v1, v21, s96, v1
	v_lshl_or_b32 v1, v20, 21, v1
                                        ; implicit-def: $vgpr20
.LBB6_9969:                             ;   in Loop: Header=BB6_9340 Depth=3
	s_andn2_saveexec_b64 s[74:75], s[74:75]
; %bb.9970:                             ;   in Loop: Header=BB6_9340 Depth=3
	v_cmp_lt_i16_e32 vcc, -1, v40
	v_mov_b32_e32 v1, 0xc7600000
	v_mov_b32_e32 v21, 0x47600000
	v_cndmask_b32_e32 v1, v1, v21, vcc
	v_cmp_eq_u32_e32 vcc, 0, v20
	v_mov_b32_e32 v20, 0x7f800001
	v_cndmask_b32_e32 v1, v20, v1, vcc
; %bb.9971:                             ;   in Loop: Header=BB6_9340 Depth=3
	s_or_b64 exec, exec, s[74:75]
.LBB6_9972:                             ;   in Loop: Header=BB6_9340 Depth=3
	s_or_b64 exec, exec, s[72:73]
.LBB6_9973:                             ;   in Loop: Header=BB6_9340 Depth=3
	s_or_b64 exec, exec, s[70:71]
	v_cmp_ne_u16_e32 vcc, 0, v52
	s_and_saveexec_b64 s[70:71], vcc
	s_cbranch_execz .LBB6_9981
; %bb.9974:                             ;   in Loop: Header=BB6_9340 Depth=3
	v_cmp_ne_u16_e32 vcc, s94, v52
	v_bfrev_b32_e32 v15, 1
	s_and_saveexec_b64 s[72:73], vcc
	s_cbranch_execz .LBB6_9980
; %bb.9975:                             ;   in Loop: Header=BB6_9340 Depth=3
	v_and_b32_e32 v15, 0x7c, v52
	v_and_b32_e32 v20, 3, v52
	v_cmp_ne_u32_e32 vcc, s95, v15
                                        ; implicit-def: $vgpr15
	s_and_saveexec_b64 s[74:75], vcc
	s_xor_b64 s[74:75], exec, s[74:75]
	s_cbranch_execz .LBB6_9977
; %bb.9976:                             ;   in Loop: Header=BB6_9340 Depth=3
	v_ffbh_u32_e32 v22, v20
	v_min_u32_e32 v26, 32, v22
	v_and_b32_e32 v15, 0xff, v52
	v_mov_b32_e32 v53, v51
	v_subrev_u32_e32 v22, 29, v26
	v_bfe_u32 v15, v15, 2, 5
	v_lshlrev_b64 v[22:23], v22, v[52:53]
	v_sub_u32_e32 v23, 30, v26
	v_and_b32_e32 v22, 3, v22
	v_cmp_eq_u32_e32 vcc, 0, v15
	v_cndmask_b32_e32 v15, v15, v23, vcc
	v_cndmask_b32_e32 v20, v20, v22, vcc
	v_bfrev_b32_e32 v22, 28
	v_bfe_i32 v21, v52, 0, 16
	v_lshl_add_u32 v15, v15, 23, v22
	v_and_or_b32 v15, v21, s96, v15
	v_lshl_or_b32 v15, v20, 21, v15
                                        ; implicit-def: $vgpr20
.LBB6_9977:                             ;   in Loop: Header=BB6_9340 Depth=3
	s_andn2_saveexec_b64 s[74:75], s[74:75]
; %bb.9978:                             ;   in Loop: Header=BB6_9340 Depth=3
	v_cmp_lt_i16_e32 vcc, -1, v52
	v_mov_b32_e32 v15, 0xc7600000
	v_mov_b32_e32 v21, 0x47600000
	v_cndmask_b32_e32 v15, v15, v21, vcc
	v_cmp_eq_u32_e32 vcc, 0, v20
	v_mov_b32_e32 v20, 0x7f800001
	v_cndmask_b32_e32 v15, v20, v15, vcc
; %bb.9979:                             ;   in Loop: Header=BB6_9340 Depth=3
	s_or_b64 exec, exec, s[74:75]
.LBB6_9980:                             ;   in Loop: Header=BB6_9340 Depth=3
	s_or_b64 exec, exec, s[72:73]
.LBB6_9981:                             ;   in Loop: Header=BB6_9340 Depth=3
	s_or_b64 exec, exec, s[70:71]
	v_max_f32_e32 v15, v15, v15
	v_max_f32_e32 v1, v1, v1
	;; [unrolled: 1-line block ×3, first 2 shown]
	s_branch .LBB6_10000
.LBB6_9982:                             ;   in Loop: Header=BB6_9340 Depth=3
                                        ; implicit-def: $vgpr1
	s_cbranch_execz .LBB6_10000
; %bb.9983:                             ;   in Loop: Header=BB6_9340 Depth=3
	v_mov_b32_e32 v15, 0
	v_mov_b32_e32 v1, 0
	s_and_saveexec_b64 s[70:71], s[30:31]
	s_cbranch_execz .LBB6_9991
; %bb.9984:                             ;   in Loop: Header=BB6_9340 Depth=3
	v_cmp_ne_u16_e32 vcc, s94, v40
	v_bfrev_b32_e32 v1, 1
	s_and_saveexec_b64 s[30:31], vcc
	s_cbranch_execz .LBB6_9990
; %bb.9985:                             ;   in Loop: Header=BB6_9340 Depth=3
	v_and_b32_e32 v1, 0x7c, v0
	v_and_b32_e32 v20, 3, v0
	v_cmp_ne_u32_e32 vcc, s95, v1
                                        ; implicit-def: $vgpr1
	s_and_saveexec_b64 s[72:73], vcc
	s_xor_b64 s[72:73], exec, s[72:73]
	s_cbranch_execz .LBB6_9987
; %bb.9986:                             ;   in Loop: Header=BB6_9340 Depth=3
	v_bfe_u32 v21, v0, 2, 5
	v_ffbh_u32_e32 v0, v20
	v_min_u32_e32 v23, 32, v0
	v_mov_b32_e32 v41, v51
	v_subrev_u32_e32 v0, 29, v23
	v_lshlrev_b64 v[0:1], v0, v[40:41]
	v_sub_u32_e32 v1, 30, v23
	v_and_b32_e32 v0, 3, v0
	v_cmp_eq_u32_e32 vcc, 0, v21
	v_cndmask_b32_e32 v1, v21, v1, vcc
	v_cndmask_b32_e32 v0, v20, v0, vcc
	v_bfrev_b32_e32 v20, 28
	v_bfe_i32 v22, v40, 0, 16
	v_lshl_add_u32 v1, v1, 23, v20
	v_and_or_b32 v1, v22, s96, v1
	v_lshl_or_b32 v1, v0, 21, v1
                                        ; implicit-def: $vgpr20
                                        ; implicit-def: $vgpr40
.LBB6_9987:                             ;   in Loop: Header=BB6_9340 Depth=3
	s_andn2_saveexec_b64 s[72:73], s[72:73]
; %bb.9988:                             ;   in Loop: Header=BB6_9340 Depth=3
	v_cmp_lt_i16_e32 vcc, -1, v40
	v_mov_b32_e32 v0, 0xc7600000
	v_mov_b32_e32 v1, 0x47600000
	v_cndmask_b32_e32 v0, v0, v1, vcc
	v_cmp_eq_u32_e32 vcc, 0, v20
	v_mov_b32_e32 v1, 0x7f800001
	v_cndmask_b32_e32 v1, v1, v0, vcc
; %bb.9989:                             ;   in Loop: Header=BB6_9340 Depth=3
	s_or_b64 exec, exec, s[72:73]
.LBB6_9990:                             ;   in Loop: Header=BB6_9340 Depth=3
	s_or_b64 exec, exec, s[30:31]
.LBB6_9991:                             ;   in Loop: Header=BB6_9340 Depth=3
	s_or_b64 exec, exec, s[70:71]
	v_cmp_ne_u16_e32 vcc, 0, v52
	s_and_saveexec_b64 s[30:31], vcc
	s_cbranch_execz .LBB6_9999
; %bb.9992:                             ;   in Loop: Header=BB6_9340 Depth=3
	v_cmp_ne_u16_e32 vcc, s94, v52
	v_bfrev_b32_e32 v15, 1
	s_and_saveexec_b64 s[70:71], vcc
	s_cbranch_execz .LBB6_9998
; %bb.9993:                             ;   in Loop: Header=BB6_9340 Depth=3
	v_and_b32_e32 v15, 0x7c, v52
	v_and_b32_e32 v0, 3, v52
	v_cmp_ne_u32_e32 vcc, s95, v15
                                        ; implicit-def: $vgpr15
	s_and_saveexec_b64 s[72:73], vcc
	s_xor_b64 s[72:73], exec, s[72:73]
	s_cbranch_execz .LBB6_9995
; %bb.9994:                             ;   in Loop: Header=BB6_9340 Depth=3
	v_ffbh_u32_e32 v20, v0
	v_min_u32_e32 v23, 32, v20
	v_and_b32_e32 v15, 0xff, v52
	v_mov_b32_e32 v53, v51
	v_subrev_u32_e32 v20, 29, v23
	v_bfe_u32 v15, v15, 2, 5
	v_lshlrev_b64 v[20:21], v20, v[52:53]
	v_sub_u32_e32 v21, 30, v23
	v_and_b32_e32 v20, 3, v20
	v_cmp_eq_u32_e32 vcc, 0, v15
	v_cndmask_b32_e32 v15, v15, v21, vcc
	v_cndmask_b32_e32 v0, v0, v20, vcc
	v_bfrev_b32_e32 v20, 28
	v_bfe_i32 v22, v52, 0, 16
	v_lshl_add_u32 v15, v15, 23, v20
	v_and_or_b32 v15, v22, s96, v15
	v_lshl_or_b32 v15, v0, 21, v15
                                        ; implicit-def: $vgpr0
                                        ; implicit-def: $vgpr52
.LBB6_9995:                             ;   in Loop: Header=BB6_9340 Depth=3
	s_andn2_saveexec_b64 s[72:73], s[72:73]
; %bb.9996:                             ;   in Loop: Header=BB6_9340 Depth=3
	v_cmp_lt_i16_e32 vcc, -1, v52
	v_mov_b32_e32 v15, 0xc7600000
	v_mov_b32_e32 v20, 0x47600000
	v_cndmask_b32_e32 v15, v15, v20, vcc
	v_cmp_eq_u32_e32 vcc, 0, v0
	v_mov_b32_e32 v0, 0x7f800001
	v_cndmask_b32_e32 v15, v0, v15, vcc
; %bb.9997:                             ;   in Loop: Header=BB6_9340 Depth=3
	s_or_b64 exec, exec, s[72:73]
.LBB6_9998:                             ;   in Loop: Header=BB6_9340 Depth=3
	s_or_b64 exec, exec, s[70:71]
.LBB6_9999:                             ;   in Loop: Header=BB6_9340 Depth=3
	s_or_b64 exec, exec, s[30:31]
	v_max_f32_e32 v0, v15, v15
	v_max_f32_e32 v1, v1, v1
	v_min_f32_e32 v1, v1, v0
.LBB6_10000:                            ;   in Loop: Header=BB6_9340 Depth=3
	v_and_b32_sdwa v20, v1, s97 dst_sel:DWORD dst_unused:UNUSED_PAD src0_sel:BYTE_3 src1_sel:DWORD
	v_and_b32_e32 v50, 0x7fffff, v1
	v_or_b32_e32 v15, 0x7b, v20
	v_and_b32_e32 v22, 0x7f800000, v1
	v_mov_b32_e32 v23, v51
	v_cmp_ne_u64_e32 vcc, s[52:53], v[22:23]
	s_mov_b64 s[30:31], exec
	s_and_b64 vcc, s[30:31], vcc
	s_xor_b64 s[70:71], vcc, s[30:31]
	v_accvgpr_read_b32 v40, a30
	s_mov_b64 exec, vcc
	s_cbranch_execz .LBB6_10014
; %bb.10001:                            ;   in Loop: Header=BB6_9340 Depth=3
	v_and_b32_e32 v22, 0x7fffffff, v1
	v_mov_b32_e32 v23, v51
	v_cmp_gt_u64_e32 vcc, s[54:55], v[22:23]
	s_and_saveexec_b64 s[30:31], vcc
	s_xor_b64 s[72:73], exec, s[30:31]
	s_cbranch_execz .LBB6_10013
; %bb.10002:                            ;   in Loop: Header=BB6_9340 Depth=3
	v_cmp_ne_u32_e32 vcc, 0, v1
	v_mov_b32_e32 v15, 0
	s_and_saveexec_b64 s[74:75], vcc
	s_cbranch_execz .LBB6_10012
; %bb.10003:                            ;   in Loop: Header=BB6_9340 Depth=3
	v_bfe_u32 v0, v1, 23, 8
	v_cmp_eq_u32_e32 vcc, 0, v0
	v_add_u32_e32 v1, 0xffffff81, v0
	v_cmp_gt_u32_e64 s[30:31], s38, v0
	v_sub_u32_e32 v0, 0x71, v0
	v_mov_b32_e32 v21, 0xffffff82
	v_cndmask_b32_e64 v0, 0, v0, s[30:31]
	v_cndmask_b32_e32 v21, v1, v21, vcc
	v_mov_b32_e32 v1, 0x70
	v_cndmask_b32_e32 v26, v0, v1, vcc
	v_add_u32_e32 v0, 21, v26
	v_or_b32_e32 v15, 0x800000, v50
	v_lshlrev_b64 v[0:1], v0, -1
	v_cndmask_b32_e32 v50, v15, v50, vcc
	v_not_b32_e32 v1, v1
	v_not_b32_e32 v0, v0
	v_add_u32_e32 v15, 20, v26
	v_and_b32_e32 v1, 0, v1
	v_and_b32_e32 v0, v50, v0
	v_lshlrev_b64 v[22:23], v15, 1
	v_cmp_eq_u64_e32 vcc, v[0:1], v[22:23]
	v_lshrrev_b64 v[0:1], v26, v[50:51]
	v_lshrrev_b32_e32 v15, 23, v0
	v_add3_u32 v23, v26, v21, v15
	v_bfe_u32 v21, v0, 21, 1
	v_add_u32_e32 v21, -1, v21
	v_cndmask_b32_e32 v21, 0, v21, vcc
	v_add_u32_e32 v21, v21, v0
	v_and_b32_e32 v21, 0x1fffff, v21
	v_add_co_u32_e32 v0, vcc, v21, v0
	v_add_u32_e32 v15, 14, v23
	v_addc_co_u32_e32 v1, vcc, 0, v1, vcc
	v_cmp_ne_u32_e32 vcc, 0, v15
                                        ; implicit-def: $vgpr21
	s_and_saveexec_b64 s[30:31], vcc
	s_xor_b64 s[30:31], exec, s[30:31]
; %bb.10004:                            ;   in Loop: Header=BB6_9340 Depth=3
	v_add_u32_e32 v21, 15, v23
	v_cmp_lt_u64_e32 vcc, s[56:57], v[0:1]
	v_cndmask_b32_e32 v21, v15, v21, vcc
	v_cndmask_b32_e64 v15, 0, 1, vcc
	v_lshrrev_b64 v[0:1], v15, v[0:1]
; %bb.10005:                            ;   in Loop: Header=BB6_9340 Depth=3
	s_andn2_saveexec_b64 vcc, s[30:31]
; %bb.10006:                            ;   in Loop: Header=BB6_9340 Depth=3
	v_bfe_u32 v21, v0, 23, 1
; %bb.10007:                            ;   in Loop: Header=BB6_9340 Depth=3
	s_or_b64 exec, exec, vcc
	v_lshrrev_b64 v[0:1], 21, v[0:1]
	v_cmp_gt_i32_e32 vcc, 32, v21
	v_cndmask_b32_e32 v1, 0, v1, vcc
	v_cndmask_b32_e32 v0, 3, v0, vcc
	v_cmp_ne_u32_e32 vcc, 0, v21
	v_cmp_ne_u64_e64 s[30:31], 0, v[0:1]
	s_or_b64 vcc, vcc, s[30:31]
                                        ; implicit-def: $vgpr15
	s_and_saveexec_b64 s[30:31], vcc
	s_xor_b64 vcc, exec, s[30:31]
; %bb.10008:                            ;   in Loop: Header=BB6_9340 Depth=3
	v_min_i32_e32 v1, 31, v21
	v_lshl_or_b32 v1, v1, 2, v20
	v_and_or_b32 v15, v0, 3, v1
                                        ; implicit-def: $vgpr20
; %bb.10009:                            ;   in Loop: Header=BB6_9340 Depth=3
	s_andn2_saveexec_b64 vcc, vcc
; %bb.10010:                            ;   in Loop: Header=BB6_9340 Depth=3
	v_mov_b32_e32 v15, v20
; %bb.10011:                            ;   in Loop: Header=BB6_9340 Depth=3
	s_or_b64 exec, exec, vcc
.LBB6_10012:                            ;   in Loop: Header=BB6_9340 Depth=3
	s_or_b64 exec, exec, s[74:75]
.LBB6_10013:                            ;   in Loop: Header=BB6_9340 Depth=3
	s_andn2_saveexec_b64 vcc, s[72:73]
	s_or_b64 exec, exec, vcc
                                        ; implicit-def: $vgpr1
.LBB6_10014:                            ;   in Loop: Header=BB6_9340 Depth=3
	s_andn2_saveexec_b64 s[30:31], s[70:71]
; %bb.10015:                            ;   in Loop: Header=BB6_9340 Depth=3
	v_or_b32_sdwa v0, v1, s39 dst_sel:DWORD dst_unused:UNUSED_PAD src0_sel:BYTE_3 src1_sel:DWORD
	v_cmp_eq_u64_e32 vcc, 0, v[50:51]
	v_cndmask_b32_e32 v15, v0, v15, vcc
; %bb.10016:                            ;   in Loop: Header=BB6_9340 Depth=3
	s_or_b64 exec, exec, s[30:31]
	v_and_b32_e32 v0, 0xff, v48
	s_and_b64 vcc, exec, s[28:29]
	v_cmp_ne_u16_e64 s[30:31], 0, v48
	s_cbranch_vccnz .LBB6_10034
; %bb.10017:                            ;   in Loop: Header=BB6_9340 Depth=3
	v_mov_b32_e32 v20, 0
	v_mov_b32_e32 v1, 0
	s_and_saveexec_b64 s[70:71], s[30:31]
	s_cbranch_execz .LBB6_10025
; %bb.10018:                            ;   in Loop: Header=BB6_9340 Depth=3
	v_cmp_ne_u16_e32 vcc, s94, v48
	v_bfrev_b32_e32 v1, 1
	s_and_saveexec_b64 s[72:73], vcc
	s_cbranch_execz .LBB6_10024
; %bb.10019:                            ;   in Loop: Header=BB6_9340 Depth=3
	v_and_b32_e32 v1, 0x7c, v0
	v_and_b32_e32 v21, 3, v0
	v_cmp_ne_u32_e32 vcc, s95, v1
                                        ; implicit-def: $vgpr1
	s_and_saveexec_b64 s[74:75], vcc
	s_xor_b64 s[74:75], exec, s[74:75]
	s_cbranch_execz .LBB6_10021
; %bb.10020:                            ;   in Loop: Header=BB6_9340 Depth=3
	v_ffbh_u32_e32 v22, v21
	v_min_u32_e32 v27, 32, v22
	v_mov_b32_e32 v49, v51
	v_subrev_u32_e32 v22, 29, v27
	v_bfe_u32 v1, v0, 2, 5
	v_lshlrev_b64 v[22:23], v22, v[48:49]
	v_sub_u32_e32 v23, 30, v27
	v_and_b32_e32 v22, 3, v22
	v_cmp_eq_u32_e32 vcc, 0, v1
	v_cndmask_b32_e32 v1, v1, v23, vcc
	v_cndmask_b32_e32 v21, v21, v22, vcc
	v_bfrev_b32_e32 v22, 28
	v_bfe_i32 v26, v48, 0, 16
	v_lshl_add_u32 v1, v1, 23, v22
	v_and_or_b32 v1, v26, s96, v1
	v_lshl_or_b32 v1, v21, 21, v1
                                        ; implicit-def: $vgpr21
.LBB6_10021:                            ;   in Loop: Header=BB6_9340 Depth=3
	s_andn2_saveexec_b64 s[74:75], s[74:75]
; %bb.10022:                            ;   in Loop: Header=BB6_9340 Depth=3
	v_cmp_lt_i16_e32 vcc, -1, v48
	v_mov_b32_e32 v1, 0xc7600000
	v_mov_b32_e32 v22, 0x47600000
	v_cndmask_b32_e32 v1, v1, v22, vcc
	v_cmp_eq_u32_e32 vcc, 0, v21
	v_mov_b32_e32 v21, 0x7f800001
	v_cndmask_b32_e32 v1, v21, v1, vcc
; %bb.10023:                            ;   in Loop: Header=BB6_9340 Depth=3
	s_or_b64 exec, exec, s[74:75]
.LBB6_10024:                            ;   in Loop: Header=BB6_9340 Depth=3
	s_or_b64 exec, exec, s[72:73]
.LBB6_10025:                            ;   in Loop: Header=BB6_9340 Depth=3
	s_or_b64 exec, exec, s[70:71]
	v_cmp_ne_u16_e32 vcc, 0, v28
	s_and_saveexec_b64 s[70:71], vcc
	s_cbranch_execz .LBB6_10033
; %bb.10026:                            ;   in Loop: Header=BB6_9340 Depth=3
	v_cmp_ne_u16_e32 vcc, s94, v28
	v_bfrev_b32_e32 v20, 1
	s_and_saveexec_b64 s[72:73], vcc
	s_cbranch_execz .LBB6_10032
; %bb.10027:                            ;   in Loop: Header=BB6_9340 Depth=3
	v_and_b32_e32 v20, 0x7c, v28
	v_and_b32_e32 v21, 3, v28
	v_cmp_ne_u32_e32 vcc, s95, v20
                                        ; implicit-def: $vgpr20
	s_and_saveexec_b64 s[74:75], vcc
	s_xor_b64 s[74:75], exec, s[74:75]
	s_cbranch_execz .LBB6_10029
; %bb.10028:                            ;   in Loop: Header=BB6_9340 Depth=3
	v_ffbh_u32_e32 v22, v21
	v_min_u32_e32 v27, 32, v22
	v_and_b32_e32 v20, 0xff, v28
	v_mov_b32_e32 v29, v51
	v_subrev_u32_e32 v22, 29, v27
	v_bfe_u32 v20, v20, 2, 5
	v_lshlrev_b64 v[22:23], v22, v[28:29]
	v_sub_u32_e32 v23, 30, v27
	v_and_b32_e32 v22, 3, v22
	v_cmp_eq_u32_e32 vcc, 0, v20
	v_cndmask_b32_e32 v20, v20, v23, vcc
	v_cndmask_b32_e32 v21, v21, v22, vcc
	v_bfrev_b32_e32 v22, 28
	v_bfe_i32 v26, v28, 0, 16
	v_lshl_add_u32 v20, v20, 23, v22
	v_and_or_b32 v20, v26, s96, v20
	v_lshl_or_b32 v20, v21, 21, v20
                                        ; implicit-def: $vgpr21
.LBB6_10029:                            ;   in Loop: Header=BB6_9340 Depth=3
	s_andn2_saveexec_b64 s[74:75], s[74:75]
; %bb.10030:                            ;   in Loop: Header=BB6_9340 Depth=3
	v_cmp_lt_i16_e32 vcc, -1, v28
	v_mov_b32_e32 v20, 0xc7600000
	v_mov_b32_e32 v22, 0x47600000
	v_cndmask_b32_e32 v20, v20, v22, vcc
	v_cmp_eq_u32_e32 vcc, 0, v21
	v_mov_b32_e32 v21, 0x7f800001
	v_cndmask_b32_e32 v20, v21, v20, vcc
; %bb.10031:                            ;   in Loop: Header=BB6_9340 Depth=3
	s_or_b64 exec, exec, s[74:75]
.LBB6_10032:                            ;   in Loop: Header=BB6_9340 Depth=3
	s_or_b64 exec, exec, s[72:73]
.LBB6_10033:                            ;   in Loop: Header=BB6_9340 Depth=3
	s_or_b64 exec, exec, s[70:71]
	v_max_f32_e32 v20, v20, v20
	v_max_f32_e32 v1, v1, v1
	;; [unrolled: 1-line block ×3, first 2 shown]
	s_branch .LBB6_10052
.LBB6_10034:                            ;   in Loop: Header=BB6_9340 Depth=3
                                        ; implicit-def: $vgpr1
	s_cbranch_execz .LBB6_10052
; %bb.10035:                            ;   in Loop: Header=BB6_9340 Depth=3
	v_mov_b32_e32 v20, 0
	v_mov_b32_e32 v1, 0
	s_and_saveexec_b64 s[70:71], s[30:31]
	s_cbranch_execz .LBB6_10043
; %bb.10036:                            ;   in Loop: Header=BB6_9340 Depth=3
	v_cmp_ne_u16_e32 vcc, s94, v48
	v_bfrev_b32_e32 v1, 1
	s_and_saveexec_b64 s[30:31], vcc
	s_cbranch_execz .LBB6_10042
; %bb.10037:                            ;   in Loop: Header=BB6_9340 Depth=3
	v_and_b32_e32 v1, 0x7c, v0
	v_and_b32_e32 v21, 3, v0
	v_cmp_ne_u32_e32 vcc, s95, v1
                                        ; implicit-def: $vgpr1
	s_and_saveexec_b64 s[72:73], vcc
	s_xor_b64 s[72:73], exec, s[72:73]
	s_cbranch_execz .LBB6_10039
; %bb.10038:                            ;   in Loop: Header=BB6_9340 Depth=3
	v_bfe_u32 v22, v0, 2, 5
	v_ffbh_u32_e32 v0, v21
	v_min_u32_e32 v26, 32, v0
	v_mov_b32_e32 v49, v51
	v_subrev_u32_e32 v0, 29, v26
	v_lshlrev_b64 v[0:1], v0, v[48:49]
	v_sub_u32_e32 v1, 30, v26
	v_and_b32_e32 v0, 3, v0
	v_cmp_eq_u32_e32 vcc, 0, v22
	v_cndmask_b32_e32 v1, v22, v1, vcc
	v_cndmask_b32_e32 v0, v21, v0, vcc
	v_bfrev_b32_e32 v21, 28
	v_bfe_i32 v23, v48, 0, 16
	v_lshl_add_u32 v1, v1, 23, v21
	v_and_or_b32 v1, v23, s96, v1
	v_lshl_or_b32 v1, v0, 21, v1
                                        ; implicit-def: $vgpr21
                                        ; implicit-def: $vgpr48
.LBB6_10039:                            ;   in Loop: Header=BB6_9340 Depth=3
	s_andn2_saveexec_b64 s[72:73], s[72:73]
; %bb.10040:                            ;   in Loop: Header=BB6_9340 Depth=3
	v_cmp_lt_i16_e32 vcc, -1, v48
	v_mov_b32_e32 v0, 0xc7600000
	v_mov_b32_e32 v1, 0x47600000
	v_cndmask_b32_e32 v0, v0, v1, vcc
	v_cmp_eq_u32_e32 vcc, 0, v21
	v_mov_b32_e32 v1, 0x7f800001
	v_cndmask_b32_e32 v1, v1, v0, vcc
; %bb.10041:                            ;   in Loop: Header=BB6_9340 Depth=3
	s_or_b64 exec, exec, s[72:73]
.LBB6_10042:                            ;   in Loop: Header=BB6_9340 Depth=3
	s_or_b64 exec, exec, s[30:31]
.LBB6_10043:                            ;   in Loop: Header=BB6_9340 Depth=3
	s_or_b64 exec, exec, s[70:71]
	v_cmp_ne_u16_e32 vcc, 0, v28
	s_and_saveexec_b64 s[30:31], vcc
	s_cbranch_execz .LBB6_10051
; %bb.10044:                            ;   in Loop: Header=BB6_9340 Depth=3
	v_cmp_ne_u16_e32 vcc, s94, v28
	v_bfrev_b32_e32 v20, 1
	s_and_saveexec_b64 s[70:71], vcc
	s_cbranch_execz .LBB6_10050
; %bb.10045:                            ;   in Loop: Header=BB6_9340 Depth=3
	v_and_b32_e32 v20, 0x7c, v28
	v_and_b32_e32 v0, 3, v28
	v_cmp_ne_u32_e32 vcc, s95, v20
                                        ; implicit-def: $vgpr20
	s_and_saveexec_b64 s[72:73], vcc
	s_xor_b64 s[72:73], exec, s[72:73]
	s_cbranch_execz .LBB6_10047
; %bb.10046:                            ;   in Loop: Header=BB6_9340 Depth=3
	v_and_b32_e32 v20, 0xff, v28
	v_bfe_u32 v22, v20, 2, 5
	v_ffbh_u32_e32 v20, v0
	v_min_u32_e32 v26, 32, v20
	v_mov_b32_e32 v29, v51
	v_subrev_u32_e32 v20, 29, v26
	v_lshlrev_b64 v[20:21], v20, v[28:29]
	v_sub_u32_e32 v21, 30, v26
	v_and_b32_e32 v20, 3, v20
	v_cmp_eq_u32_e32 vcc, 0, v22
	v_cndmask_b32_e32 v21, v22, v21, vcc
	v_cndmask_b32_e32 v0, v0, v20, vcc
	v_bfrev_b32_e32 v20, 28
	v_bfe_i32 v23, v28, 0, 16
	v_lshl_add_u32 v20, v21, 23, v20
	v_and_or_b32 v20, v23, s96, v20
	v_lshl_or_b32 v20, v0, 21, v20
                                        ; implicit-def: $vgpr0
                                        ; implicit-def: $vgpr28
.LBB6_10047:                            ;   in Loop: Header=BB6_9340 Depth=3
	s_andn2_saveexec_b64 s[72:73], s[72:73]
; %bb.10048:                            ;   in Loop: Header=BB6_9340 Depth=3
	v_cmp_lt_i16_e32 vcc, -1, v28
	v_mov_b32_e32 v20, 0xc7600000
	v_mov_b32_e32 v21, 0x47600000
	v_cndmask_b32_e32 v20, v20, v21, vcc
	v_cmp_eq_u32_e32 vcc, 0, v0
	v_mov_b32_e32 v0, 0x7f800001
	v_cndmask_b32_e32 v20, v0, v20, vcc
; %bb.10049:                            ;   in Loop: Header=BB6_9340 Depth=3
	s_or_b64 exec, exec, s[72:73]
.LBB6_10050:                            ;   in Loop: Header=BB6_9340 Depth=3
	s_or_b64 exec, exec, s[70:71]
.LBB6_10051:                            ;   in Loop: Header=BB6_9340 Depth=3
	s_or_b64 exec, exec, s[30:31]
	v_max_f32_e32 v0, v20, v20
	v_max_f32_e32 v1, v1, v1
	v_min_f32_e32 v1, v1, v0
.LBB6_10052:                            ;   in Loop: Header=BB6_9340 Depth=3
	v_and_b32_sdwa v21, v1, s97 dst_sel:DWORD dst_unused:UNUSED_PAD src0_sel:BYTE_3 src1_sel:DWORD
	v_and_b32_e32 v22, 0x7f800000, v1
	v_mov_b32_e32 v23, v51
	v_and_b32_e32 v50, 0x7fffff, v1
	v_or_b32_e32 v20, 0x7b, v21
	v_cmp_ne_u64_e32 vcc, s[52:53], v[22:23]
	s_and_saveexec_b64 s[30:31], vcc
	s_xor_b64 s[70:71], exec, s[30:31]
	s_cbranch_execz .LBB6_10066
; %bb.10053:                            ;   in Loop: Header=BB6_9340 Depth=3
	v_and_b32_e32 v22, 0x7fffffff, v1
	v_mov_b32_e32 v23, v51
	v_cmp_gt_u64_e32 vcc, s[54:55], v[22:23]
	s_and_saveexec_b64 s[30:31], vcc
	s_xor_b64 s[72:73], exec, s[30:31]
	s_cbranch_execz .LBB6_10065
; %bb.10054:                            ;   in Loop: Header=BB6_9340 Depth=3
	v_cmp_ne_u32_e32 vcc, 0, v1
	v_mov_b32_e32 v20, 0
	s_and_saveexec_b64 s[74:75], vcc
	s_cbranch_execz .LBB6_10064
; %bb.10055:                            ;   in Loop: Header=BB6_9340 Depth=3
	v_bfe_u32 v0, v1, 23, 8
	v_cmp_eq_u32_e32 vcc, 0, v0
	v_add_u32_e32 v1, 0xffffff81, v0
	v_cmp_gt_u32_e64 s[30:31], s38, v0
	v_sub_u32_e32 v0, 0x71, v0
	v_mov_b32_e32 v22, 0xffffff82
	v_cndmask_b32_e64 v0, 0, v0, s[30:31]
	v_cndmask_b32_e32 v26, v1, v22, vcc
	v_mov_b32_e32 v1, 0x70
	v_cndmask_b32_e32 v27, v0, v1, vcc
	v_add_u32_e32 v0, 21, v27
	v_or_b32_e32 v20, 0x800000, v50
	v_lshlrev_b64 v[0:1], v0, -1
	v_cndmask_b32_e32 v50, v20, v50, vcc
	v_not_b32_e32 v1, v1
	v_not_b32_e32 v0, v0
	v_add_u32_e32 v20, 20, v27
	v_and_b32_e32 v1, 0, v1
	v_and_b32_e32 v0, v50, v0
	v_lshlrev_b64 v[22:23], v20, 1
	v_cmp_eq_u64_e32 vcc, v[0:1], v[22:23]
	v_lshrrev_b64 v[0:1], v27, v[50:51]
	v_bfe_u32 v22, v0, 21, 1
	v_add_u32_e32 v22, -1, v22
	v_cndmask_b32_e32 v22, 0, v22, vcc
	v_add_u32_e32 v22, v22, v0
	v_lshrrev_b32_e32 v20, 23, v0
	v_and_b32_e32 v22, 0x1fffff, v22
	v_add3_u32 v23, v27, v26, v20
	v_add_co_u32_e32 v0, vcc, v22, v0
	v_add_u32_e32 v20, 14, v23
	v_addc_co_u32_e32 v1, vcc, 0, v1, vcc
	v_cmp_ne_u32_e32 vcc, 0, v20
                                        ; implicit-def: $vgpr22
	s_and_saveexec_b64 s[30:31], vcc
	s_xor_b64 s[30:31], exec, s[30:31]
; %bb.10056:                            ;   in Loop: Header=BB6_9340 Depth=3
	v_add_u32_e32 v22, 15, v23
	v_cmp_lt_u64_e32 vcc, s[56:57], v[0:1]
	v_cndmask_b32_e32 v22, v20, v22, vcc
	v_cndmask_b32_e64 v20, 0, 1, vcc
	v_lshrrev_b64 v[0:1], v20, v[0:1]
; %bb.10057:                            ;   in Loop: Header=BB6_9340 Depth=3
	s_andn2_saveexec_b64 vcc, s[30:31]
; %bb.10058:                            ;   in Loop: Header=BB6_9340 Depth=3
	v_bfe_u32 v22, v0, 23, 1
; %bb.10059:                            ;   in Loop: Header=BB6_9340 Depth=3
	s_or_b64 exec, exec, vcc
	v_lshrrev_b64 v[0:1], 21, v[0:1]
	v_cmp_gt_i32_e32 vcc, 32, v22
	v_cndmask_b32_e32 v1, 0, v1, vcc
	v_cndmask_b32_e32 v0, 3, v0, vcc
	v_cmp_ne_u32_e32 vcc, 0, v22
	v_cmp_ne_u64_e64 s[30:31], 0, v[0:1]
	s_or_b64 vcc, vcc, s[30:31]
                                        ; implicit-def: $vgpr20
	s_and_saveexec_b64 s[30:31], vcc
	s_xor_b64 vcc, exec, s[30:31]
; %bb.10060:                            ;   in Loop: Header=BB6_9340 Depth=3
	v_min_i32_e32 v1, 31, v22
	v_lshl_or_b32 v1, v1, 2, v21
	v_and_or_b32 v20, v0, 3, v1
                                        ; implicit-def: $vgpr21
; %bb.10061:                            ;   in Loop: Header=BB6_9340 Depth=3
	s_andn2_saveexec_b64 vcc, vcc
; %bb.10062:                            ;   in Loop: Header=BB6_9340 Depth=3
	v_mov_b32_e32 v20, v21
; %bb.10063:                            ;   in Loop: Header=BB6_9340 Depth=3
	s_or_b64 exec, exec, vcc
.LBB6_10064:                            ;   in Loop: Header=BB6_9340 Depth=3
	s_or_b64 exec, exec, s[74:75]
.LBB6_10065:                            ;   in Loop: Header=BB6_9340 Depth=3
	s_andn2_saveexec_b64 vcc, s[72:73]
	s_or_b64 exec, exec, vcc
                                        ; implicit-def: $vgpr1
.LBB6_10066:                            ;   in Loop: Header=BB6_9340 Depth=3
	s_andn2_saveexec_b64 s[30:31], s[70:71]
; %bb.10067:                            ;   in Loop: Header=BB6_9340 Depth=3
	v_or_b32_sdwa v0, v1, s39 dst_sel:DWORD dst_unused:UNUSED_PAD src0_sel:BYTE_3 src1_sel:DWORD
	v_cmp_eq_u64_e32 vcc, 0, v[50:51]
	v_cndmask_b32_e32 v20, v0, v20, vcc
; %bb.10068:                            ;   in Loop: Header=BB6_9340 Depth=3
	s_or_b64 exec, exec, s[30:31]
	v_and_b32_e32 v0, 0xff, v36
	s_and_b64 vcc, exec, s[28:29]
	v_cmp_ne_u16_e64 s[30:31], 0, v36
	s_cbranch_vccnz .LBB6_10086
; %bb.10069:                            ;   in Loop: Header=BB6_9340 Depth=3
	v_mov_b32_e32 v21, 0
	v_mov_b32_e32 v1, 0
	s_and_saveexec_b64 s[70:71], s[30:31]
	s_cbranch_execz .LBB6_10077
; %bb.10070:                            ;   in Loop: Header=BB6_9340 Depth=3
	v_cmp_ne_u16_e32 vcc, s94, v36
	v_bfrev_b32_e32 v1, 1
	s_and_saveexec_b64 s[72:73], vcc
	s_cbranch_execz .LBB6_10076
; %bb.10071:                            ;   in Loop: Header=BB6_9340 Depth=3
	v_and_b32_e32 v1, 0x7c, v0
	v_and_b32_e32 v22, 3, v0
	v_cmp_ne_u32_e32 vcc, s95, v1
                                        ; implicit-def: $vgpr1
	s_and_saveexec_b64 s[74:75], vcc
	s_xor_b64 s[74:75], exec, s[74:75]
	s_cbranch_execz .LBB6_10073
; %bb.10072:                            ;   in Loop: Header=BB6_9340 Depth=3
	v_ffbh_u32_e32 v26, v22
	v_min_u32_e32 v28, 32, v26
	v_mov_b32_e32 v37, v51
	v_subrev_u32_e32 v26, 29, v28
	v_bfe_u32 v1, v0, 2, 5
	v_lshlrev_b64 v[26:27], v26, v[36:37]
	v_sub_u32_e32 v27, 30, v28
	v_and_b32_e32 v26, 3, v26
	v_cmp_eq_u32_e32 vcc, 0, v1
	v_cndmask_b32_e32 v1, v1, v27, vcc
	v_cndmask_b32_e32 v22, v22, v26, vcc
	v_bfrev_b32_e32 v26, 28
	v_bfe_i32 v23, v36, 0, 16
	v_lshl_add_u32 v1, v1, 23, v26
	v_and_or_b32 v1, v23, s96, v1
	v_lshl_or_b32 v1, v22, 21, v1
                                        ; implicit-def: $vgpr22
.LBB6_10073:                            ;   in Loop: Header=BB6_9340 Depth=3
	s_andn2_saveexec_b64 s[74:75], s[74:75]
; %bb.10074:                            ;   in Loop: Header=BB6_9340 Depth=3
	v_cmp_lt_i16_e32 vcc, -1, v36
	v_mov_b32_e32 v1, 0xc7600000
	v_mov_b32_e32 v23, 0x47600000
	v_cndmask_b32_e32 v1, v1, v23, vcc
	v_cmp_eq_u32_e32 vcc, 0, v22
	v_mov_b32_e32 v22, 0x7f800001
	v_cndmask_b32_e32 v1, v22, v1, vcc
; %bb.10075:                            ;   in Loop: Header=BB6_9340 Depth=3
	s_or_b64 exec, exec, s[74:75]
.LBB6_10076:                            ;   in Loop: Header=BB6_9340 Depth=3
	s_or_b64 exec, exec, s[72:73]
.LBB6_10077:                            ;   in Loop: Header=BB6_9340 Depth=3
	s_or_b64 exec, exec, s[70:71]
	v_cmp_ne_u16_e32 vcc, 0, v34
	s_and_saveexec_b64 s[70:71], vcc
	s_cbranch_execz .LBB6_10085
; %bb.10078:                            ;   in Loop: Header=BB6_9340 Depth=3
	v_cmp_ne_u16_e32 vcc, s94, v34
	v_bfrev_b32_e32 v21, 1
	s_and_saveexec_b64 s[72:73], vcc
	s_cbranch_execz .LBB6_10084
; %bb.10079:                            ;   in Loop: Header=BB6_9340 Depth=3
	v_and_b32_e32 v21, 0x7c, v34
	v_and_b32_e32 v22, 3, v34
	v_cmp_ne_u32_e32 vcc, s95, v21
                                        ; implicit-def: $vgpr21
	s_and_saveexec_b64 s[74:75], vcc
	s_xor_b64 s[74:75], exec, s[74:75]
	s_cbranch_execz .LBB6_10081
; %bb.10080:                            ;   in Loop: Header=BB6_9340 Depth=3
	v_ffbh_u32_e32 v26, v22
	v_min_u32_e32 v28, 32, v26
	v_and_b32_e32 v21, 0xff, v34
	v_mov_b32_e32 v35, v51
	v_subrev_u32_e32 v26, 29, v28
	v_bfe_u32 v21, v21, 2, 5
	v_lshlrev_b64 v[26:27], v26, v[34:35]
	v_sub_u32_e32 v27, 30, v28
	v_and_b32_e32 v26, 3, v26
	v_cmp_eq_u32_e32 vcc, 0, v21
	v_cndmask_b32_e32 v21, v21, v27, vcc
	v_cndmask_b32_e32 v22, v22, v26, vcc
	v_bfrev_b32_e32 v26, 28
	v_bfe_i32 v23, v34, 0, 16
	v_lshl_add_u32 v21, v21, 23, v26
	v_and_or_b32 v21, v23, s96, v21
	v_lshl_or_b32 v21, v22, 21, v21
                                        ; implicit-def: $vgpr22
.LBB6_10081:                            ;   in Loop: Header=BB6_9340 Depth=3
	s_andn2_saveexec_b64 s[74:75], s[74:75]
; %bb.10082:                            ;   in Loop: Header=BB6_9340 Depth=3
	v_cmp_lt_i16_e32 vcc, -1, v34
	v_mov_b32_e32 v21, 0xc7600000
	v_mov_b32_e32 v23, 0x47600000
	v_cndmask_b32_e32 v21, v21, v23, vcc
	v_cmp_eq_u32_e32 vcc, 0, v22
	v_mov_b32_e32 v22, 0x7f800001
	v_cndmask_b32_e32 v21, v22, v21, vcc
; %bb.10083:                            ;   in Loop: Header=BB6_9340 Depth=3
	s_or_b64 exec, exec, s[74:75]
.LBB6_10084:                            ;   in Loop: Header=BB6_9340 Depth=3
	s_or_b64 exec, exec, s[72:73]
.LBB6_10085:                            ;   in Loop: Header=BB6_9340 Depth=3
	s_or_b64 exec, exec, s[70:71]
	v_max_f32_e32 v21, v21, v21
	v_max_f32_e32 v1, v1, v1
	;; [unrolled: 1-line block ×3, first 2 shown]
	s_branch .LBB6_10104
.LBB6_10086:                            ;   in Loop: Header=BB6_9340 Depth=3
                                        ; implicit-def: $vgpr1
	s_cbranch_execz .LBB6_10104
; %bb.10087:                            ;   in Loop: Header=BB6_9340 Depth=3
	v_mov_b32_e32 v21, 0
	v_mov_b32_e32 v1, 0
	s_and_saveexec_b64 s[70:71], s[30:31]
	s_cbranch_execz .LBB6_10095
; %bb.10088:                            ;   in Loop: Header=BB6_9340 Depth=3
	v_cmp_ne_u16_e32 vcc, s94, v36
	v_bfrev_b32_e32 v1, 1
	s_and_saveexec_b64 s[30:31], vcc
	s_cbranch_execz .LBB6_10094
; %bb.10089:                            ;   in Loop: Header=BB6_9340 Depth=3
	v_and_b32_e32 v1, 0x7c, v0
	v_and_b32_e32 v22, 3, v0
	v_cmp_ne_u32_e32 vcc, s95, v1
                                        ; implicit-def: $vgpr1
	s_and_saveexec_b64 s[72:73], vcc
	s_xor_b64 s[72:73], exec, s[72:73]
	s_cbranch_execz .LBB6_10091
; %bb.10090:                            ;   in Loop: Header=BB6_9340 Depth=3
	v_bfe_u32 v23, v0, 2, 5
	v_ffbh_u32_e32 v0, v22
	v_min_u32_e32 v27, 32, v0
	v_mov_b32_e32 v37, v51
	v_subrev_u32_e32 v0, 29, v27
	v_lshlrev_b64 v[0:1], v0, v[36:37]
	v_sub_u32_e32 v1, 30, v27
	v_and_b32_e32 v0, 3, v0
	v_cmp_eq_u32_e32 vcc, 0, v23
	v_cndmask_b32_e32 v1, v23, v1, vcc
	v_cndmask_b32_e32 v0, v22, v0, vcc
	v_bfrev_b32_e32 v22, 28
	v_bfe_i32 v26, v36, 0, 16
	v_lshl_add_u32 v1, v1, 23, v22
	v_and_or_b32 v1, v26, s96, v1
	v_lshl_or_b32 v1, v0, 21, v1
                                        ; implicit-def: $vgpr22
                                        ; implicit-def: $vgpr36
.LBB6_10091:                            ;   in Loop: Header=BB6_9340 Depth=3
	s_andn2_saveexec_b64 s[72:73], s[72:73]
; %bb.10092:                            ;   in Loop: Header=BB6_9340 Depth=3
	v_cmp_lt_i16_e32 vcc, -1, v36
	v_mov_b32_e32 v0, 0xc7600000
	v_mov_b32_e32 v1, 0x47600000
	v_cndmask_b32_e32 v0, v0, v1, vcc
	v_cmp_eq_u32_e32 vcc, 0, v22
	v_mov_b32_e32 v1, 0x7f800001
	v_cndmask_b32_e32 v1, v1, v0, vcc
; %bb.10093:                            ;   in Loop: Header=BB6_9340 Depth=3
	s_or_b64 exec, exec, s[72:73]
.LBB6_10094:                            ;   in Loop: Header=BB6_9340 Depth=3
	s_or_b64 exec, exec, s[30:31]
.LBB6_10095:                            ;   in Loop: Header=BB6_9340 Depth=3
	s_or_b64 exec, exec, s[70:71]
	v_cmp_ne_u16_e32 vcc, 0, v34
	s_and_saveexec_b64 s[30:31], vcc
	s_cbranch_execz .LBB6_10103
; %bb.10096:                            ;   in Loop: Header=BB6_9340 Depth=3
	v_cmp_ne_u16_e32 vcc, s94, v34
	v_bfrev_b32_e32 v21, 1
	s_and_saveexec_b64 s[70:71], vcc
	s_cbranch_execz .LBB6_10102
; %bb.10097:                            ;   in Loop: Header=BB6_9340 Depth=3
	v_and_b32_e32 v21, 0x7c, v34
	v_and_b32_e32 v0, 3, v34
	v_cmp_ne_u32_e32 vcc, s95, v21
                                        ; implicit-def: $vgpr21
	s_and_saveexec_b64 s[72:73], vcc
	s_xor_b64 s[72:73], exec, s[72:73]
	s_cbranch_execz .LBB6_10099
; %bb.10098:                            ;   in Loop: Header=BB6_9340 Depth=3
	v_ffbh_u32_e32 v22, v0
	v_min_u32_e32 v27, 32, v22
	v_and_b32_e32 v21, 0xff, v34
	v_mov_b32_e32 v35, v51
	v_subrev_u32_e32 v22, 29, v27
	v_bfe_u32 v21, v21, 2, 5
	v_lshlrev_b64 v[22:23], v22, v[34:35]
	v_sub_u32_e32 v23, 30, v27
	v_and_b32_e32 v22, 3, v22
	v_cmp_eq_u32_e32 vcc, 0, v21
	v_cndmask_b32_e32 v21, v21, v23, vcc
	v_cndmask_b32_e32 v0, v0, v22, vcc
	v_bfrev_b32_e32 v22, 28
	v_bfe_i32 v26, v34, 0, 16
	v_lshl_add_u32 v21, v21, 23, v22
	v_and_or_b32 v21, v26, s96, v21
	v_lshl_or_b32 v21, v0, 21, v21
                                        ; implicit-def: $vgpr0
                                        ; implicit-def: $vgpr34
.LBB6_10099:                            ;   in Loop: Header=BB6_9340 Depth=3
	s_andn2_saveexec_b64 s[72:73], s[72:73]
; %bb.10100:                            ;   in Loop: Header=BB6_9340 Depth=3
	v_cmp_lt_i16_e32 vcc, -1, v34
	v_mov_b32_e32 v21, 0xc7600000
	v_mov_b32_e32 v22, 0x47600000
	v_cndmask_b32_e32 v21, v21, v22, vcc
	v_cmp_eq_u32_e32 vcc, 0, v0
	v_mov_b32_e32 v0, 0x7f800001
	v_cndmask_b32_e32 v21, v0, v21, vcc
; %bb.10101:                            ;   in Loop: Header=BB6_9340 Depth=3
	s_or_b64 exec, exec, s[72:73]
.LBB6_10102:                            ;   in Loop: Header=BB6_9340 Depth=3
	s_or_b64 exec, exec, s[70:71]
.LBB6_10103:                            ;   in Loop: Header=BB6_9340 Depth=3
	s_or_b64 exec, exec, s[30:31]
	v_max_f32_e32 v0, v21, v21
	v_max_f32_e32 v1, v1, v1
	v_min_f32_e32 v1, v1, v0
.LBB6_10104:                            ;   in Loop: Header=BB6_9340 Depth=3
	v_and_b32_sdwa v22, v1, s97 dst_sel:DWORD dst_unused:UNUSED_PAD src0_sel:BYTE_3 src1_sel:DWORD
	v_and_b32_e32 v26, 0x7f800000, v1
	v_mov_b32_e32 v27, v51
	v_and_b32_e32 v50, 0x7fffff, v1
	v_or_b32_e32 v21, 0x7b, v22
	v_cmp_ne_u64_e32 vcc, s[52:53], v[26:27]
	s_and_saveexec_b64 s[30:31], vcc
	s_xor_b64 s[70:71], exec, s[30:31]
	s_cbranch_execz .LBB6_10118
; %bb.10105:                            ;   in Loop: Header=BB6_9340 Depth=3
	v_and_b32_e32 v26, 0x7fffffff, v1
	v_mov_b32_e32 v27, v51
	v_cmp_gt_u64_e32 vcc, s[54:55], v[26:27]
	s_and_saveexec_b64 s[30:31], vcc
	s_xor_b64 s[72:73], exec, s[30:31]
	s_cbranch_execz .LBB6_10117
; %bb.10106:                            ;   in Loop: Header=BB6_9340 Depth=3
	v_cmp_ne_u32_e32 vcc, 0, v1
	v_mov_b32_e32 v21, 0
	s_and_saveexec_b64 s[74:75], vcc
	s_cbranch_execz .LBB6_10116
; %bb.10107:                            ;   in Loop: Header=BB6_9340 Depth=3
	v_bfe_u32 v0, v1, 23, 8
	v_cmp_eq_u32_e32 vcc, 0, v0
	v_add_u32_e32 v1, 0xffffff81, v0
	v_cmp_gt_u32_e64 s[30:31], s38, v0
	v_sub_u32_e32 v0, 0x71, v0
	v_mov_b32_e32 v23, 0xffffff82
	v_cndmask_b32_e64 v0, 0, v0, s[30:31]
	v_cndmask_b32_e32 v23, v1, v23, vcc
	v_mov_b32_e32 v1, 0x70
	v_cndmask_b32_e32 v28, v0, v1, vcc
	v_add_u32_e32 v0, 21, v28
	v_or_b32_e32 v21, 0x800000, v50
	v_lshlrev_b64 v[0:1], v0, -1
	v_cndmask_b32_e32 v50, v21, v50, vcc
	v_not_b32_e32 v1, v1
	v_not_b32_e32 v0, v0
	v_add_u32_e32 v21, 20, v28
	v_and_b32_e32 v1, 0, v1
	v_and_b32_e32 v0, v50, v0
	v_lshlrev_b64 v[26:27], v21, 1
	v_cmp_eq_u64_e32 vcc, v[0:1], v[26:27]
	v_lshrrev_b64 v[0:1], v28, v[50:51]
	v_lshrrev_b32_e32 v21, 23, v0
	v_add3_u32 v26, v28, v23, v21
	v_bfe_u32 v23, v0, 21, 1
	v_add_u32_e32 v23, -1, v23
	v_cndmask_b32_e32 v23, 0, v23, vcc
	v_add_u32_e32 v23, v23, v0
	v_and_b32_e32 v23, 0x1fffff, v23
	v_add_co_u32_e32 v0, vcc, v23, v0
	v_add_u32_e32 v21, 14, v26
	v_addc_co_u32_e32 v1, vcc, 0, v1, vcc
	v_cmp_ne_u32_e32 vcc, 0, v21
                                        ; implicit-def: $vgpr23
	s_and_saveexec_b64 s[30:31], vcc
	s_xor_b64 s[30:31], exec, s[30:31]
; %bb.10108:                            ;   in Loop: Header=BB6_9340 Depth=3
	v_add_u32_e32 v23, 15, v26
	v_cmp_lt_u64_e32 vcc, s[56:57], v[0:1]
	v_cndmask_b32_e32 v23, v21, v23, vcc
	v_cndmask_b32_e64 v21, 0, 1, vcc
	v_lshrrev_b64 v[0:1], v21, v[0:1]
; %bb.10109:                            ;   in Loop: Header=BB6_9340 Depth=3
	s_andn2_saveexec_b64 vcc, s[30:31]
; %bb.10110:                            ;   in Loop: Header=BB6_9340 Depth=3
	v_bfe_u32 v23, v0, 23, 1
; %bb.10111:                            ;   in Loop: Header=BB6_9340 Depth=3
	s_or_b64 exec, exec, vcc
	v_lshrrev_b64 v[0:1], 21, v[0:1]
	v_cmp_gt_i32_e32 vcc, 32, v23
	v_cndmask_b32_e32 v1, 0, v1, vcc
	v_cndmask_b32_e32 v0, 3, v0, vcc
	v_cmp_ne_u32_e32 vcc, 0, v23
	v_cmp_ne_u64_e64 s[30:31], 0, v[0:1]
	s_or_b64 vcc, vcc, s[30:31]
                                        ; implicit-def: $vgpr21
	s_and_saveexec_b64 s[30:31], vcc
	s_xor_b64 vcc, exec, s[30:31]
; %bb.10112:                            ;   in Loop: Header=BB6_9340 Depth=3
	v_min_i32_e32 v1, 31, v23
	v_lshl_or_b32 v1, v1, 2, v22
	v_and_or_b32 v21, v0, 3, v1
                                        ; implicit-def: $vgpr22
; %bb.10113:                            ;   in Loop: Header=BB6_9340 Depth=3
	s_andn2_saveexec_b64 vcc, vcc
; %bb.10114:                            ;   in Loop: Header=BB6_9340 Depth=3
	v_mov_b32_e32 v21, v22
; %bb.10115:                            ;   in Loop: Header=BB6_9340 Depth=3
	s_or_b64 exec, exec, vcc
.LBB6_10116:                            ;   in Loop: Header=BB6_9340 Depth=3
	s_or_b64 exec, exec, s[74:75]
.LBB6_10117:                            ;   in Loop: Header=BB6_9340 Depth=3
	s_andn2_saveexec_b64 vcc, s[72:73]
	s_or_b64 exec, exec, vcc
                                        ; implicit-def: $vgpr1
.LBB6_10118:                            ;   in Loop: Header=BB6_9340 Depth=3
	s_andn2_saveexec_b64 s[30:31], s[70:71]
; %bb.10119:                            ;   in Loop: Header=BB6_9340 Depth=3
	v_or_b32_sdwa v0, v1, s39 dst_sel:DWORD dst_unused:UNUSED_PAD src0_sel:BYTE_3 src1_sel:DWORD
	v_cmp_eq_u64_e32 vcc, 0, v[50:51]
	v_cndmask_b32_e32 v21, v0, v21, vcc
; %bb.10120:                            ;   in Loop: Header=BB6_9340 Depth=3
	s_or_b64 exec, exec, s[30:31]
	v_and_b32_e32 v0, 0xff, v32
	s_and_b64 vcc, exec, s[28:29]
	v_cmp_ne_u16_e64 s[28:29], 0, v32
	s_cbranch_vccnz .LBB6_10138
; %bb.10121:                            ;   in Loop: Header=BB6_9340 Depth=3
	v_mov_b32_e32 v22, 0
	v_mov_b32_e32 v1, 0
	s_and_saveexec_b64 s[30:31], s[28:29]
	s_cbranch_execz .LBB6_10129
; %bb.10122:                            ;   in Loop: Header=BB6_9340 Depth=3
	v_cmp_ne_u16_e32 vcc, s94, v32
	v_bfrev_b32_e32 v1, 1
	s_and_saveexec_b64 s[70:71], vcc
	s_cbranch_execz .LBB6_10128
; %bb.10123:                            ;   in Loop: Header=BB6_9340 Depth=3
	v_and_b32_e32 v1, 0x7c, v0
	v_and_b32_e32 v23, 3, v0
	v_cmp_ne_u32_e32 vcc, s95, v1
                                        ; implicit-def: $vgpr1
	s_and_saveexec_b64 s[72:73], vcc
	s_xor_b64 s[72:73], exec, s[72:73]
	s_cbranch_execz .LBB6_10125
; %bb.10124:                            ;   in Loop: Header=BB6_9340 Depth=3
	v_ffbh_u32_e32 v26, v23
	v_min_u32_e32 v29, 32, v26
	v_mov_b32_e32 v33, v51
	v_subrev_u32_e32 v26, 29, v29
	v_bfe_u32 v1, v0, 2, 5
	v_lshlrev_b64 v[26:27], v26, v[32:33]
	v_sub_u32_e32 v27, 30, v29
	v_and_b32_e32 v26, 3, v26
	v_cmp_eq_u32_e32 vcc, 0, v1
	v_cndmask_b32_e32 v1, v1, v27, vcc
	v_cndmask_b32_e32 v23, v23, v26, vcc
	v_bfrev_b32_e32 v26, 28
	v_bfe_i32 v28, v32, 0, 16
	v_lshl_add_u32 v1, v1, 23, v26
	v_and_or_b32 v1, v28, s96, v1
	v_lshl_or_b32 v1, v23, 21, v1
                                        ; implicit-def: $vgpr23
.LBB6_10125:                            ;   in Loop: Header=BB6_9340 Depth=3
	s_andn2_saveexec_b64 s[72:73], s[72:73]
; %bb.10126:                            ;   in Loop: Header=BB6_9340 Depth=3
	v_cmp_lt_i16_e32 vcc, -1, v32
	v_mov_b32_e32 v1, 0xc7600000
	v_mov_b32_e32 v26, 0x47600000
	v_cndmask_b32_e32 v1, v1, v26, vcc
	v_cmp_eq_u32_e32 vcc, 0, v23
	v_mov_b32_e32 v23, 0x7f800001
	v_cndmask_b32_e32 v1, v23, v1, vcc
; %bb.10127:                            ;   in Loop: Header=BB6_9340 Depth=3
	s_or_b64 exec, exec, s[72:73]
.LBB6_10128:                            ;   in Loop: Header=BB6_9340 Depth=3
	s_or_b64 exec, exec, s[70:71]
.LBB6_10129:                            ;   in Loop: Header=BB6_9340 Depth=3
	s_or_b64 exec, exec, s[30:31]
	v_cmp_ne_u16_e32 vcc, 0, v30
	s_and_saveexec_b64 s[30:31], vcc
	s_cbranch_execz .LBB6_10137
; %bb.10130:                            ;   in Loop: Header=BB6_9340 Depth=3
	v_cmp_ne_u16_e32 vcc, s94, v30
	v_bfrev_b32_e32 v22, 1
	s_and_saveexec_b64 s[70:71], vcc
	s_cbranch_execz .LBB6_10136
; %bb.10131:                            ;   in Loop: Header=BB6_9340 Depth=3
	v_and_b32_e32 v22, 0x7c, v30
	v_and_b32_e32 v23, 3, v30
	v_cmp_ne_u32_e32 vcc, s95, v22
                                        ; implicit-def: $vgpr22
	s_and_saveexec_b64 s[72:73], vcc
	s_xor_b64 s[72:73], exec, s[72:73]
	s_cbranch_execz .LBB6_10133
; %bb.10132:                            ;   in Loop: Header=BB6_9340 Depth=3
	v_ffbh_u32_e32 v26, v23
	v_min_u32_e32 v29, 32, v26
	v_and_b32_e32 v22, 0xff, v30
	v_mov_b32_e32 v31, v51
	v_subrev_u32_e32 v26, 29, v29
	v_bfe_u32 v22, v22, 2, 5
	v_lshlrev_b64 v[26:27], v26, v[30:31]
	v_sub_u32_e32 v27, 30, v29
	v_and_b32_e32 v26, 3, v26
	v_cmp_eq_u32_e32 vcc, 0, v22
	v_cndmask_b32_e32 v22, v22, v27, vcc
	v_cndmask_b32_e32 v23, v23, v26, vcc
	v_bfrev_b32_e32 v26, 28
	v_bfe_i32 v28, v30, 0, 16
	v_lshl_add_u32 v22, v22, 23, v26
	v_and_or_b32 v22, v28, s96, v22
	v_lshl_or_b32 v22, v23, 21, v22
                                        ; implicit-def: $vgpr23
.LBB6_10133:                            ;   in Loop: Header=BB6_9340 Depth=3
	s_andn2_saveexec_b64 s[72:73], s[72:73]
; %bb.10134:                            ;   in Loop: Header=BB6_9340 Depth=3
	v_cmp_lt_i16_e32 vcc, -1, v30
	v_mov_b32_e32 v22, 0xc7600000
	v_mov_b32_e32 v26, 0x47600000
	v_cndmask_b32_e32 v22, v22, v26, vcc
	v_cmp_eq_u32_e32 vcc, 0, v23
	v_mov_b32_e32 v23, 0x7f800001
	v_cndmask_b32_e32 v22, v23, v22, vcc
; %bb.10135:                            ;   in Loop: Header=BB6_9340 Depth=3
	s_or_b64 exec, exec, s[72:73]
.LBB6_10136:                            ;   in Loop: Header=BB6_9340 Depth=3
	s_or_b64 exec, exec, s[70:71]
.LBB6_10137:                            ;   in Loop: Header=BB6_9340 Depth=3
	s_or_b64 exec, exec, s[30:31]
	v_max_f32_e32 v22, v22, v22
	v_max_f32_e32 v1, v1, v1
	;; [unrolled: 1-line block ×3, first 2 shown]
	s_branch .LBB6_10156
.LBB6_10138:                            ;   in Loop: Header=BB6_9340 Depth=3
                                        ; implicit-def: $vgpr23
	s_cbranch_execz .LBB6_10156
; %bb.10139:                            ;   in Loop: Header=BB6_9340 Depth=3
	v_mov_b32_e32 v22, 0
	v_mov_b32_e32 v1, 0
	s_and_saveexec_b64 s[30:31], s[28:29]
	s_cbranch_execz .LBB6_10147
; %bb.10140:                            ;   in Loop: Header=BB6_9340 Depth=3
	v_cmp_ne_u16_e32 vcc, s94, v32
	v_bfrev_b32_e32 v1, 1
	s_and_saveexec_b64 s[28:29], vcc
	s_cbranch_execz .LBB6_10146
; %bb.10141:                            ;   in Loop: Header=BB6_9340 Depth=3
	v_and_b32_e32 v1, 0x7c, v0
	v_and_b32_e32 v23, 3, v0
	v_cmp_ne_u32_e32 vcc, s95, v1
                                        ; implicit-def: $vgpr1
	s_and_saveexec_b64 s[70:71], vcc
	s_xor_b64 s[70:71], exec, s[70:71]
	s_cbranch_execz .LBB6_10143
; %bb.10142:                            ;   in Loop: Header=BB6_9340 Depth=3
	v_bfe_u32 v26, v0, 2, 5
	v_ffbh_u32_e32 v0, v23
	v_min_u32_e32 v28, 32, v0
	v_mov_b32_e32 v33, v51
	v_subrev_u32_e32 v0, 29, v28
	v_lshlrev_b64 v[0:1], v0, v[32:33]
	v_sub_u32_e32 v1, 30, v28
	v_and_b32_e32 v0, 3, v0
	v_cmp_eq_u32_e32 vcc, 0, v26
	v_cndmask_b32_e32 v1, v26, v1, vcc
	v_cndmask_b32_e32 v0, v23, v0, vcc
	v_bfrev_b32_e32 v23, 28
	v_bfe_i32 v27, v32, 0, 16
	v_lshl_add_u32 v1, v1, 23, v23
	v_and_or_b32 v1, v27, s96, v1
	v_lshl_or_b32 v1, v0, 21, v1
                                        ; implicit-def: $vgpr23
                                        ; implicit-def: $vgpr32
.LBB6_10143:                            ;   in Loop: Header=BB6_9340 Depth=3
	s_andn2_saveexec_b64 s[70:71], s[70:71]
; %bb.10144:                            ;   in Loop: Header=BB6_9340 Depth=3
	v_cmp_lt_i16_e32 vcc, -1, v32
	v_mov_b32_e32 v0, 0xc7600000
	v_mov_b32_e32 v1, 0x47600000
	v_cndmask_b32_e32 v0, v0, v1, vcc
	v_cmp_eq_u32_e32 vcc, 0, v23
	v_mov_b32_e32 v1, 0x7f800001
	v_cndmask_b32_e32 v1, v1, v0, vcc
; %bb.10145:                            ;   in Loop: Header=BB6_9340 Depth=3
	s_or_b64 exec, exec, s[70:71]
.LBB6_10146:                            ;   in Loop: Header=BB6_9340 Depth=3
	s_or_b64 exec, exec, s[28:29]
.LBB6_10147:                            ;   in Loop: Header=BB6_9340 Depth=3
	s_or_b64 exec, exec, s[30:31]
	v_cmp_ne_u16_e32 vcc, 0, v30
	s_and_saveexec_b64 s[28:29], vcc
	s_cbranch_execz .LBB6_10155
; %bb.10148:                            ;   in Loop: Header=BB6_9340 Depth=3
	v_cmp_ne_u16_e32 vcc, s94, v30
	v_bfrev_b32_e32 v22, 1
	s_and_saveexec_b64 s[30:31], vcc
	s_cbranch_execz .LBB6_10154
; %bb.10149:                            ;   in Loop: Header=BB6_9340 Depth=3
	v_and_b32_e32 v22, 0x7c, v30
	v_and_b32_e32 v0, 3, v30
	v_cmp_ne_u32_e32 vcc, s95, v22
                                        ; implicit-def: $vgpr22
	s_and_saveexec_b64 s[70:71], vcc
	s_xor_b64 s[70:71], exec, s[70:71]
	s_cbranch_execz .LBB6_10151
; %bb.10150:                            ;   in Loop: Header=BB6_9340 Depth=3
	v_and_b32_e32 v22, 0xff, v30
	v_bfe_u32 v26, v22, 2, 5
	v_ffbh_u32_e32 v22, v0
	v_min_u32_e32 v28, 32, v22
	v_mov_b32_e32 v31, v51
	v_subrev_u32_e32 v22, 29, v28
	v_lshlrev_b64 v[22:23], v22, v[30:31]
	v_sub_u32_e32 v23, 30, v28
	v_and_b32_e32 v22, 3, v22
	v_cmp_eq_u32_e32 vcc, 0, v26
	v_cndmask_b32_e32 v23, v26, v23, vcc
	v_cndmask_b32_e32 v0, v0, v22, vcc
	v_bfrev_b32_e32 v22, 28
	v_bfe_i32 v27, v30, 0, 16
	v_lshl_add_u32 v22, v23, 23, v22
	v_and_or_b32 v22, v27, s96, v22
	v_lshl_or_b32 v22, v0, 21, v22
                                        ; implicit-def: $vgpr0
                                        ; implicit-def: $vgpr30
.LBB6_10151:                            ;   in Loop: Header=BB6_9340 Depth=3
	s_andn2_saveexec_b64 s[70:71], s[70:71]
; %bb.10152:                            ;   in Loop: Header=BB6_9340 Depth=3
	v_cmp_lt_i16_e32 vcc, -1, v30
	v_mov_b32_e32 v22, 0xc7600000
	v_mov_b32_e32 v23, 0x47600000
	v_cndmask_b32_e32 v22, v22, v23, vcc
	v_cmp_eq_u32_e32 vcc, 0, v0
	v_mov_b32_e32 v0, 0x7f800001
	v_cndmask_b32_e32 v22, v0, v22, vcc
; %bb.10153:                            ;   in Loop: Header=BB6_9340 Depth=3
	s_or_b64 exec, exec, s[70:71]
.LBB6_10154:                            ;   in Loop: Header=BB6_9340 Depth=3
	s_or_b64 exec, exec, s[30:31]
.LBB6_10155:                            ;   in Loop: Header=BB6_9340 Depth=3
	s_or_b64 exec, exec, s[28:29]
	v_max_f32_e32 v0, v22, v22
	v_max_f32_e32 v1, v1, v1
	v_min_f32_e32 v23, v1, v0
.LBB6_10156:                            ;   in Loop: Header=BB6_9340 Depth=3
	v_and_b32_sdwa v22, v23, s97 dst_sel:DWORD dst_unused:UNUSED_PAD src0_sel:BYTE_3 src1_sel:DWORD
	v_and_b32_e32 v26, 0x7f800000, v23
	v_mov_b32_e32 v27, v51
	v_and_b32_e32 v50, 0x7fffff, v23
	v_or_b32_e32 v1, 0x7b, v22
	v_cmp_ne_u64_e32 vcc, s[52:53], v[26:27]
	s_and_saveexec_b64 s[28:29], vcc
	s_xor_b64 s[30:31], exec, s[28:29]
	s_cbranch_execz .LBB6_10170
; %bb.10157:                            ;   in Loop: Header=BB6_9340 Depth=3
	v_and_b32_e32 v26, 0x7fffffff, v23
	v_mov_b32_e32 v27, v51
	v_cmp_gt_u64_e32 vcc, s[54:55], v[26:27]
	s_and_saveexec_b64 s[28:29], vcc
	s_xor_b64 s[70:71], exec, s[28:29]
	s_cbranch_execz .LBB6_10169
; %bb.10158:                            ;   in Loop: Header=BB6_9340 Depth=3
	v_cmp_ne_u32_e32 vcc, 0, v23
	v_mov_b32_e32 v1, 0
	s_and_saveexec_b64 s[72:73], vcc
	s_cbranch_execz .LBB6_10168
; %bb.10159:                            ;   in Loop: Header=BB6_9340 Depth=3
	v_bfe_u32 v0, v23, 23, 8
	v_cmp_eq_u32_e32 vcc, 0, v0
	v_add_u32_e32 v1, 0xffffff81, v0
	v_cmp_gt_u32_e64 s[28:29], s38, v0
	v_sub_u32_e32 v0, 0x71, v0
	v_mov_b32_e32 v26, 0xffffff82
	v_cndmask_b32_e64 v0, 0, v0, s[28:29]
	v_cndmask_b32_e32 v28, v1, v26, vcc
	v_mov_b32_e32 v1, 0x70
	v_cndmask_b32_e32 v29, v0, v1, vcc
	v_add_u32_e32 v0, 21, v29
	v_or_b32_e32 v23, 0x800000, v50
	v_lshlrev_b64 v[0:1], v0, -1
	v_cndmask_b32_e32 v50, v23, v50, vcc
	v_not_b32_e32 v1, v1
	v_not_b32_e32 v0, v0
	v_add_u32_e32 v23, 20, v29
	v_and_b32_e32 v1, 0, v1
	v_and_b32_e32 v0, v50, v0
	v_lshlrev_b64 v[26:27], v23, 1
	v_cmp_eq_u64_e32 vcc, v[0:1], v[26:27]
	v_lshrrev_b64 v[0:1], v29, v[50:51]
	v_lshrrev_b32_e32 v23, 23, v0
	v_add3_u32 v27, v29, v28, v23
	v_bfe_u32 v23, v0, 21, 1
	v_add_u32_e32 v23, -1, v23
	v_cndmask_b32_e32 v23, 0, v23, vcc
	v_add_u32_e32 v23, v23, v0
	v_and_b32_e32 v23, 0x1fffff, v23
	v_add_co_u32_e32 v0, vcc, v23, v0
	v_add_u32_e32 v26, 14, v27
	v_addc_co_u32_e32 v1, vcc, 0, v1, vcc
	v_cmp_ne_u32_e32 vcc, 0, v26
                                        ; implicit-def: $vgpr23
	s_and_saveexec_b64 s[28:29], vcc
	s_xor_b64 s[28:29], exec, s[28:29]
; %bb.10160:                            ;   in Loop: Header=BB6_9340 Depth=3
	v_add_u32_e32 v23, 15, v27
	v_cmp_lt_u64_e32 vcc, s[56:57], v[0:1]
	v_cndmask_b32_e32 v23, v26, v23, vcc
	v_cndmask_b32_e64 v26, 0, 1, vcc
	v_lshrrev_b64 v[0:1], v26, v[0:1]
; %bb.10161:                            ;   in Loop: Header=BB6_9340 Depth=3
	s_andn2_saveexec_b64 s[28:29], s[28:29]
; %bb.10162:                            ;   in Loop: Header=BB6_9340 Depth=3
	v_bfe_u32 v23, v0, 23, 1
; %bb.10163:                            ;   in Loop: Header=BB6_9340 Depth=3
	s_or_b64 exec, exec, s[28:29]
	v_lshrrev_b64 v[0:1], 21, v[0:1]
	v_cmp_gt_i32_e32 vcc, 32, v23
	v_cndmask_b32_e32 v1, 0, v1, vcc
	v_cndmask_b32_e32 v0, 3, v0, vcc
	v_cmp_ne_u32_e32 vcc, 0, v23
	v_cmp_ne_u64_e64 s[28:29], 0, v[0:1]
	s_or_b64 s[28:29], vcc, s[28:29]
                                        ; implicit-def: $vgpr1
	s_and_saveexec_b64 vcc, s[28:29]
	s_xor_b64 s[28:29], exec, vcc
; %bb.10164:                            ;   in Loop: Header=BB6_9340 Depth=3
	v_min_i32_e32 v1, 31, v23
	v_lshl_or_b32 v1, v1, 2, v22
	v_and_or_b32 v1, v0, 3, v1
                                        ; implicit-def: $vgpr22
; %bb.10165:                            ;   in Loop: Header=BB6_9340 Depth=3
	s_andn2_saveexec_b64 s[28:29], s[28:29]
; %bb.10166:                            ;   in Loop: Header=BB6_9340 Depth=3
	v_mov_b32_e32 v1, v22
; %bb.10167:                            ;   in Loop: Header=BB6_9340 Depth=3
	s_or_b64 exec, exec, s[28:29]
.LBB6_10168:                            ;   in Loop: Header=BB6_9340 Depth=3
	s_or_b64 exec, exec, s[72:73]
.LBB6_10169:                            ;   in Loop: Header=BB6_9340 Depth=3
	s_andn2_saveexec_b64 s[28:29], s[70:71]
	s_or_b64 exec, exec, s[28:29]
                                        ; implicit-def: $vgpr23
.LBB6_10170:                            ;   in Loop: Header=BB6_9340 Depth=3
	s_andn2_saveexec_b64 s[28:29], s[30:31]
	s_cbranch_execz .LBB6_9339
; %bb.10171:                            ;   in Loop: Header=BB6_9340 Depth=3
	v_or_b32_sdwa v0, v23, s39 dst_sel:DWORD dst_unused:UNUSED_PAD src0_sel:BYTE_3 src1_sel:DWORD
	v_cmp_eq_u64_e32 vcc, 0, v[50:51]
	v_cndmask_b32_e32 v1, v0, v1, vcc
	s_branch .LBB6_9339
.LBB6_10172:                            ;   in Loop: Header=BB6_3679 Depth=2
	s_or_b64 exec, exec, s[68:69]
	v_accvgpr_mov_b32 a13, a3
	v_accvgpr_read_b32 v59, a15
	v_accvgpr_read_b32 v45, a55
	;; [unrolled: 1-line block ×3, first 2 shown]
	v_accvgpr_mov_b32 a12, a2
	v_accvgpr_read_b32 v58, a14
	v_accvgpr_read_b32 v22, a61
	;; [unrolled: 1-line block ×8, first 2 shown]
.LBB6_10173:                            ;   in Loop: Header=BB6_3679 Depth=2
	s_or_b64 exec, exec, s[34:35]
	v_lshlrev_b32_e32 v0, 10, v25
	v_cmp_ne_u32_e32 vcc, v3, v0
	s_and_saveexec_b64 s[66:67], vcc
	s_cbranch_execz .LBB6_10229
; %bb.10174:                            ;   in Loop: Header=BB6_3679 Depth=2
	v_ashrrev_i32_e32 v1, 31, v2
	v_lshrrev_b32_e32 v1, 26, v1
	v_add_u32_e32 v1, v2, v1
	v_and_b32_e32 v1, 0xffffffc0, v1
	v_sub_u32_e32 v1, v2, v1
	v_lshlrev_b32_e32 v2, 6, v24
	v_sub_u32_e32 v1, v1, v2
	v_add_u32_e32 v0, v0, v1
	v_sub_u32_e32 v8, v3, v0
	v_cmp_lt_i32_e32 vcc, 0, v8
	s_and_b64 exec, exec, vcc
	s_cbranch_execz .LBB6_10229
; %bb.10175:                            ;   in Loop: Header=BB6_3679 Depth=2
	s_trap 2
	ds_read_b128 v[2:5], v0
	ds_read_b64 v[6:7], v0
	v_add_u32_e32 v9, v0, v9
	v_ashrrev_i32_e32 v10, 31, v9
	s_bitcmp1_b32 s27, 0
	s_waitcnt lgkmcnt(0)
	v_add_co_u32_e32 v0, vcc, v2, v9
	v_addc_co_u32_e32 v1, vcc, v3, v10, vcc
	v_add_co_u32_e32 v2, vcc, v4, v9
	v_addc_co_u32_e32 v3, vcc, v5, v10, vcc
	;; [unrolled: 2-line block ×3, first 2 shown]
	s_mov_b64 s[68:69], 0
	s_cselect_b64 s[70:71], -1, 0
	s_branch .LBB6_10177
.LBB6_10176:                            ;   in Loop: Header=BB6_10177 Depth=3
	s_or_b64 exec, exec, s[28:29]
	flat_store_byte v[4:5], v7 glc slc
	v_accvgpr_read_b32 v7, a44
	v_add_co_u32_e32 v0, vcc, v0, v7
	v_accvgpr_read_b32 v9, a45
	v_addc_co_u32_e32 v1, vcc, v1, v9, vcc
	v_add_co_u32_e32 v2, vcc, v2, v7
	v_accvgpr_read_b32 v6, a31
	v_addc_co_u32_e32 v3, vcc, v3, v9, vcc
	v_sub_u32_e32 v8, v8, v6
	v_cmp_gt_i32_e32 vcc, 1, v8
	s_or_b64 s[68:69], vcc, s[68:69]
	v_add_co_u32_e32 v4, vcc, v4, v7
	v_addc_co_u32_e32 v5, vcc, v5, v9, vcc
	s_andn2_b64 exec, exec, s[68:69]
	s_cbranch_execz .LBB6_10229
.LBB6_10177:                            ;   Parent Loop BB6_47 Depth=1
                                        ;     Parent Loop BB6_3679 Depth=2
                                        ; =>    This Inner Loop Header: Depth=3
	flat_load_ubyte v7, v[0:1] glc slc
	flat_load_ubyte v9, v[2:3] glc slc
	v_mov_b32_e32 v10, -1
	v_mov_b32_e32 v12, 0x47600000
	s_and_b64 vcc, exec, s[70:71]
	s_waitcnt vmcnt(0) lgkmcnt(0)
	v_bfe_i32 v6, v7, 0, 8
	v_lshlrev_b32_e32 v11, 24, v9
	v_cmp_gt_i16_sdwa s[34:35], sext(v9), v10 src0_sel:BYTE_0 src1_sel:DWORD
	v_mov_b32_e32 v10, 0xc7600000
	v_cmp_ne_u16_e64 s[30:31], 0, v9
	v_and_b32_e32 v50, 0xffff, v9
	v_cmp_ne_u16_e64 s[28:29], s97, v9
	v_cndmask_b32_e64 v10, v10, v12, s[34:35]
	v_and_b32_e32 v12, 0xffff, v7
	v_cmp_ne_u16_e64 s[34:35], 0, v7
	v_and_b32_e32 v11, 0x80000000, v11
	s_cbranch_vccz .LBB6_10195
; %bb.10178:                            ;   in Loop: Header=BB6_10177 Depth=3
	v_mov_b32_e32 v13, 0
	v_mov_b32_e32 v7, 0
	s_and_saveexec_b64 s[72:73], s[34:35]
	s_cbranch_execz .LBB6_10186
; %bb.10179:                            ;   in Loop: Header=BB6_10177 Depth=3
	v_cmp_ne_u16_e32 vcc, s94, v6
	v_bfrev_b32_e32 v7, 1
	s_and_saveexec_b64 s[74:75], vcc
	s_cbranch_execz .LBB6_10185
; %bb.10180:                            ;   in Loop: Header=BB6_10177 Depth=3
	v_and_b32_e32 v7, 0x7c, v12
	v_and_b32_e32 v14, 3, v12
	v_cmp_ne_u32_e32 vcc, s95, v7
                                        ; implicit-def: $vgpr7
	s_and_saveexec_b64 s[76:77], vcc
	s_xor_b64 s[76:77], exec, s[76:77]
	s_cbranch_execz .LBB6_10182
; %bb.10181:                            ;   in Loop: Header=BB6_10177 Depth=3
	v_ffbh_u32_e32 v16, v14
	v_min_u32_e32 v19, 32, v16
	v_mov_b32_e32 v7, v51
	v_bfe_u32 v15, v12, 2, 5
	v_subrev_u32_e32 v16, 29, v19
	v_lshlrev_b64 v[16:17], v16, v[6:7]
	v_sub_u32_e32 v7, 30, v19
	v_cmp_eq_u32_e32 vcc, 0, v15
	v_cndmask_b32_e32 v7, v15, v7, vcc
	v_bfrev_b32_e32 v15, 28
	v_bfe_i32 v18, v6, 0, 16
	v_and_b32_e32 v16, 3, v16
	v_lshl_add_u32 v7, v7, 23, v15
	v_cndmask_b32_e32 v14, v14, v16, vcc
	v_and_or_b32 v7, v18, s96, v7
	v_lshl_or_b32 v7, v14, 21, v7
                                        ; implicit-def: $vgpr14
.LBB6_10182:                            ;   in Loop: Header=BB6_10177 Depth=3
	s_andn2_saveexec_b64 s[76:77], s[76:77]
; %bb.10183:                            ;   in Loop: Header=BB6_10177 Depth=3
	v_cmp_lt_i16_e32 vcc, -1, v6
	v_mov_b32_e32 v7, 0xc7600000
	v_mov_b32_e32 v15, 0x47600000
	v_cndmask_b32_e32 v7, v7, v15, vcc
	v_cmp_eq_u32_e32 vcc, 0, v14
	v_mov_b32_e32 v14, 0x7f800001
	v_cndmask_b32_e32 v7, v14, v7, vcc
; %bb.10184:                            ;   in Loop: Header=BB6_10177 Depth=3
	s_or_b64 exec, exec, s[76:77]
.LBB6_10185:                            ;   in Loop: Header=BB6_10177 Depth=3
	s_or_b64 exec, exec, s[74:75]
.LBB6_10186:                            ;   in Loop: Header=BB6_10177 Depth=3
	s_or_b64 exec, exec, s[72:73]
	s_and_saveexec_b64 s[72:73], s[30:31]
	s_cbranch_execz .LBB6_10194
; %bb.10187:                            ;   in Loop: Header=BB6_10177 Depth=3
	v_bfrev_b32_e32 v13, 1
	s_and_saveexec_b64 s[74:75], s[28:29]
	s_cbranch_execz .LBB6_10193
; %bb.10188:                            ;   in Loop: Header=BB6_10177 Depth=3
	v_mov_b32_e32 v13, 3
	v_and_b32_sdwa v14, sext(v9), v13 dst_sel:DWORD dst_unused:UNUSED_PAD src0_sel:BYTE_0 src1_sel:DWORD
	v_and_b32_sdwa v13, sext(v9), s95 dst_sel:DWORD dst_unused:UNUSED_PAD src0_sel:BYTE_0 src1_sel:DWORD
	v_cmp_ne_u32_e32 vcc, s95, v13
                                        ; implicit-def: $vgpr13
	s_and_saveexec_b64 s[76:77], vcc
	s_xor_b64 s[76:77], exec, s[76:77]
	s_cbranch_execz .LBB6_10190
; %bb.10189:                            ;   in Loop: Header=BB6_10177 Depth=3
	v_ffbh_u32_e32 v15, v14
	v_min_u32_e32 v15, 32, v15
	v_and_b32_sdwa v13, sext(v9), s93 dst_sel:DWORD dst_unused:UNUSED_PAD src0_sel:BYTE_0 src1_sel:DWORD
	v_subrev_u32_e32 v16, 29, v15
	v_bfe_u32 v13, v13, 2, 5
	v_lshlrev_b64 v[16:17], v16, v[50:51]
	v_and_b32_e32 v16, 3, v16
	v_cmp_eq_u32_e32 vcc, 0, v13
	v_sub_u32_e32 v15, 30, v15
	v_cndmask_b32_e32 v14, v14, v16, vcc
	v_cndmask_b32_e32 v13, v13, v15, vcc
	v_lshlrev_b32_e32 v14, 21, v14
	v_lshl_or_b32 v13, v13, 23, v14
	v_add_u32_e32 v13, 0x38000000, v13
	v_or_b32_e32 v13, v13, v11
                                        ; implicit-def: $vgpr14
.LBB6_10190:                            ;   in Loop: Header=BB6_10177 Depth=3
	s_andn2_saveexec_b64 s[76:77], s[76:77]
; %bb.10191:                            ;   in Loop: Header=BB6_10177 Depth=3
	v_cmp_eq_u32_e32 vcc, 0, v14
	v_mov_b32_e32 v13, 0x7f800001
	v_cndmask_b32_e32 v13, v13, v10, vcc
; %bb.10192:                            ;   in Loop: Header=BB6_10177 Depth=3
	s_or_b64 exec, exec, s[76:77]
.LBB6_10193:                            ;   in Loop: Header=BB6_10177 Depth=3
	s_or_b64 exec, exec, s[74:75]
.LBB6_10194:                            ;   in Loop: Header=BB6_10177 Depth=3
	s_or_b64 exec, exec, s[72:73]
	v_max_f32_e32 v13, v13, v13
	v_max_f32_e32 v7, v7, v7
	;; [unrolled: 1-line block ×3, first 2 shown]
	s_branch .LBB6_10213
.LBB6_10195:                            ;   in Loop: Header=BB6_10177 Depth=3
                                        ; implicit-def: $vgpr13
	s_cbranch_execz .LBB6_10213
; %bb.10196:                            ;   in Loop: Header=BB6_10177 Depth=3
	v_mov_b32_e32 v13, 0
	v_mov_b32_e32 v7, 0
	s_and_saveexec_b64 s[72:73], s[34:35]
	s_cbranch_execz .LBB6_10204
; %bb.10197:                            ;   in Loop: Header=BB6_10177 Depth=3
	v_cmp_ne_u16_e32 vcc, s94, v6
	v_bfrev_b32_e32 v7, 1
	s_and_saveexec_b64 s[34:35], vcc
	s_cbranch_execz .LBB6_10203
; %bb.10198:                            ;   in Loop: Header=BB6_10177 Depth=3
	v_and_b32_e32 v7, 0x7c, v12
	v_and_b32_e32 v14, 3, v12
	v_cmp_ne_u32_e32 vcc, s95, v7
                                        ; implicit-def: $vgpr7
	s_and_saveexec_b64 s[74:75], vcc
	s_xor_b64 s[74:75], exec, s[74:75]
	s_cbranch_execz .LBB6_10200
; %bb.10199:                            ;   in Loop: Header=BB6_10177 Depth=3
	v_ffbh_u32_e32 v16, v14
	v_min_u32_e32 v16, 32, v16
	v_mov_b32_e32 v7, v51
	v_subrev_u32_e32 v17, 29, v16
	v_bfe_u32 v12, v12, 2, 5
	v_bfe_i32 v15, v6, 0, 16
	v_lshlrev_b64 v[6:7], v17, v[6:7]
	v_sub_u32_e32 v7, 30, v16
	v_cmp_eq_u32_e32 vcc, 0, v12
	v_cndmask_b32_e32 v7, v12, v7, vcc
	v_bfrev_b32_e32 v12, 28
	v_and_b32_e32 v6, 3, v6
	v_lshl_add_u32 v7, v7, 23, v12
	v_cndmask_b32_e32 v6, v14, v6, vcc
	v_and_or_b32 v7, v15, s96, v7
	v_lshl_or_b32 v7, v6, 21, v7
                                        ; implicit-def: $vgpr14
                                        ; implicit-def: $vgpr6
.LBB6_10200:                            ;   in Loop: Header=BB6_10177 Depth=3
	s_andn2_saveexec_b64 s[74:75], s[74:75]
; %bb.10201:                            ;   in Loop: Header=BB6_10177 Depth=3
	v_cmp_lt_i16_e32 vcc, -1, v6
	v_mov_b32_e32 v6, 0xc7600000
	v_mov_b32_e32 v7, 0x47600000
	v_cndmask_b32_e32 v6, v6, v7, vcc
	v_cmp_eq_u32_e32 vcc, 0, v14
	v_mov_b32_e32 v7, 0x7f800001
	v_cndmask_b32_e32 v7, v7, v6, vcc
; %bb.10202:                            ;   in Loop: Header=BB6_10177 Depth=3
	s_or_b64 exec, exec, s[74:75]
.LBB6_10203:                            ;   in Loop: Header=BB6_10177 Depth=3
	s_or_b64 exec, exec, s[34:35]
.LBB6_10204:                            ;   in Loop: Header=BB6_10177 Depth=3
	s_or_b64 exec, exec, s[72:73]
	s_and_saveexec_b64 s[34:35], s[30:31]
	s_cbranch_execz .LBB6_10212
; %bb.10205:                            ;   in Loop: Header=BB6_10177 Depth=3
	v_bfrev_b32_e32 v13, 1
	s_and_saveexec_b64 s[30:31], s[28:29]
	s_cbranch_execz .LBB6_10211
; %bb.10206:                            ;   in Loop: Header=BB6_10177 Depth=3
	v_mov_b32_e32 v6, 3
	v_and_b32_sdwa v12, sext(v9), s95 dst_sel:DWORD dst_unused:UNUSED_PAD src0_sel:BYTE_0 src1_sel:DWORD
	v_and_b32_sdwa v6, sext(v9), v6 dst_sel:DWORD dst_unused:UNUSED_PAD src0_sel:BYTE_0 src1_sel:DWORD
	v_cmp_ne_u32_e32 vcc, s95, v12
                                        ; implicit-def: $vgpr13
	s_and_saveexec_b64 s[28:29], vcc
	s_xor_b64 s[28:29], exec, s[28:29]
	s_cbranch_execz .LBB6_10208
; %bb.10207:                            ;   in Loop: Header=BB6_10177 Depth=3
	v_ffbh_u32_e32 v10, v6
	v_min_u32_e32 v10, 32, v10
	v_and_b32_sdwa v9, sext(v9), s93 dst_sel:DWORD dst_unused:UNUSED_PAD src0_sel:BYTE_0 src1_sel:DWORD
	v_subrev_u32_e32 v12, 29, v10
	v_bfe_u32 v9, v9, 2, 5
	v_lshlrev_b64 v[12:13], v12, v[50:51]
	v_and_b32_e32 v12, 3, v12
	v_cmp_eq_u32_e32 vcc, 0, v9
	v_sub_u32_e32 v10, 30, v10
	v_cndmask_b32_e32 v6, v6, v12, vcc
	v_cndmask_b32_e32 v9, v9, v10, vcc
	v_lshlrev_b32_e32 v6, 21, v6
	v_lshl_or_b32 v6, v9, 23, v6
	v_add_u32_e32 v6, 0x38000000, v6
	v_or_b32_e32 v13, v6, v11
                                        ; implicit-def: $vgpr6
                                        ; implicit-def: $vgpr10
.LBB6_10208:                            ;   in Loop: Header=BB6_10177 Depth=3
	s_andn2_saveexec_b64 s[28:29], s[28:29]
; %bb.10209:                            ;   in Loop: Header=BB6_10177 Depth=3
	v_cmp_eq_u32_e32 vcc, 0, v6
	v_mov_b32_e32 v6, 0x7f800001
	v_cndmask_b32_e32 v13, v6, v10, vcc
; %bb.10210:                            ;   in Loop: Header=BB6_10177 Depth=3
	s_or_b64 exec, exec, s[28:29]
.LBB6_10211:                            ;   in Loop: Header=BB6_10177 Depth=3
	s_or_b64 exec, exec, s[30:31]
.LBB6_10212:                            ;   in Loop: Header=BB6_10177 Depth=3
	s_or_b64 exec, exec, s[34:35]
	v_max_f32_e32 v6, v13, v13
	v_max_f32_e32 v7, v7, v7
	v_min_f32_e32 v13, v7, v6
.LBB6_10213:                            ;   in Loop: Header=BB6_10177 Depth=3
	v_and_b32_sdwa v9, v13, s97 dst_sel:DWORD dst_unused:UNUSED_PAD src0_sel:BYTE_3 src1_sel:DWORD
	v_and_b32_e32 v10, 0x7f800000, v13
	v_mov_b32_e32 v11, v51
	v_and_b32_e32 v50, 0x7fffff, v13
	v_or_b32_e32 v7, 0x7b, v9
	v_cmp_ne_u64_e32 vcc, s[52:53], v[10:11]
	s_and_saveexec_b64 s[28:29], vcc
	s_xor_b64 s[30:31], exec, s[28:29]
	s_cbranch_execz .LBB6_10227
; %bb.10214:                            ;   in Loop: Header=BB6_10177 Depth=3
	v_and_b32_e32 v10, 0x7fffffff, v13
	v_mov_b32_e32 v11, v51
	v_cmp_gt_u64_e32 vcc, s[54:55], v[10:11]
	s_and_saveexec_b64 s[28:29], vcc
	s_xor_b64 s[34:35], exec, s[28:29]
	s_cbranch_execz .LBB6_10226
; %bb.10215:                            ;   in Loop: Header=BB6_10177 Depth=3
	v_cmp_ne_u32_e32 vcc, 0, v13
	v_mov_b32_e32 v7, 0
	s_and_saveexec_b64 s[72:73], vcc
	s_cbranch_execz .LBB6_10225
; %bb.10216:                            ;   in Loop: Header=BB6_10177 Depth=3
	v_bfe_u32 v6, v13, 23, 8
	v_cmp_eq_u32_e32 vcc, 0, v6
	v_add_u32_e32 v7, 0xffffff81, v6
	v_cmp_gt_u32_e64 s[28:29], s38, v6
	v_sub_u32_e32 v6, 0x71, v6
	v_mov_b32_e32 v11, 0xffffff82
	v_cndmask_b32_e64 v6, 0, v6, s[28:29]
	v_cndmask_b32_e32 v12, v7, v11, vcc
	v_mov_b32_e32 v7, 0x70
	v_cndmask_b32_e32 v13, v6, v7, vcc
	v_add_u32_e32 v6, 21, v13
	v_or_b32_e32 v10, 0x800000, v50
	v_lshlrev_b64 v[6:7], v6, -1
	v_cndmask_b32_e32 v50, v10, v50, vcc
	v_not_b32_e32 v7, v7
	v_not_b32_e32 v6, v6
	v_add_u32_e32 v10, 20, v13
	v_and_b32_e32 v7, 0, v7
	v_and_b32_e32 v6, v50, v6
	v_lshlrev_b64 v[10:11], v10, 1
	v_cmp_eq_u64_e32 vcc, v[6:7], v[10:11]
	v_lshrrev_b64 v[6:7], v13, v[50:51]
	v_lshrrev_b32_e32 v10, 23, v6
	v_add3_u32 v12, v13, v12, v10
	v_bfe_u32 v10, v6, 21, 1
	v_add_u32_e32 v10, -1, v10
	v_cndmask_b32_e32 v10, 0, v10, vcc
	v_add_u32_e32 v10, v10, v6
	v_and_b32_e32 v10, 0x1fffff, v10
	v_add_co_u32_e32 v6, vcc, v10, v6
	v_add_u32_e32 v11, 14, v12
	v_addc_co_u32_e32 v7, vcc, 0, v7, vcc
	v_cmp_ne_u32_e32 vcc, 0, v11
                                        ; implicit-def: $vgpr10
	s_and_saveexec_b64 s[28:29], vcc
	s_xor_b64 s[28:29], exec, s[28:29]
; %bb.10217:                            ;   in Loop: Header=BB6_10177 Depth=3
	v_add_u32_e32 v10, 15, v12
	v_cmp_lt_u64_e32 vcc, s[56:57], v[6:7]
	v_cndmask_b32_e32 v10, v11, v10, vcc
	v_cndmask_b32_e64 v11, 0, 1, vcc
	v_lshrrev_b64 v[6:7], v11, v[6:7]
; %bb.10218:                            ;   in Loop: Header=BB6_10177 Depth=3
	s_andn2_saveexec_b64 s[28:29], s[28:29]
; %bb.10219:                            ;   in Loop: Header=BB6_10177 Depth=3
	v_bfe_u32 v10, v6, 23, 1
; %bb.10220:                            ;   in Loop: Header=BB6_10177 Depth=3
	s_or_b64 exec, exec, s[28:29]
	v_lshrrev_b64 v[6:7], 21, v[6:7]
	v_cmp_gt_i32_e32 vcc, 32, v10
	v_cndmask_b32_e32 v7, 0, v7, vcc
	v_cndmask_b32_e32 v6, 3, v6, vcc
	v_cmp_ne_u32_e32 vcc, 0, v10
	v_cmp_ne_u64_e64 s[28:29], 0, v[6:7]
	s_or_b64 s[28:29], vcc, s[28:29]
                                        ; implicit-def: $vgpr7
	s_and_saveexec_b64 vcc, s[28:29]
	s_xor_b64 s[28:29], exec, vcc
; %bb.10221:                            ;   in Loop: Header=BB6_10177 Depth=3
	v_min_i32_e32 v7, 31, v10
	v_lshl_or_b32 v7, v7, 2, v9
	v_and_or_b32 v7, v6, 3, v7
                                        ; implicit-def: $vgpr9
; %bb.10222:                            ;   in Loop: Header=BB6_10177 Depth=3
	s_andn2_saveexec_b64 s[28:29], s[28:29]
; %bb.10223:                            ;   in Loop: Header=BB6_10177 Depth=3
	v_mov_b32_e32 v7, v9
; %bb.10224:                            ;   in Loop: Header=BB6_10177 Depth=3
	s_or_b64 exec, exec, s[28:29]
.LBB6_10225:                            ;   in Loop: Header=BB6_10177 Depth=3
	s_or_b64 exec, exec, s[72:73]
.LBB6_10226:                            ;   in Loop: Header=BB6_10177 Depth=3
	s_andn2_saveexec_b64 s[28:29], s[34:35]
	s_or_b64 exec, exec, s[28:29]
                                        ; implicit-def: $vgpr13
.LBB6_10227:                            ;   in Loop: Header=BB6_10177 Depth=3
	s_andn2_saveexec_b64 s[28:29], s[30:31]
	s_cbranch_execz .LBB6_10176
; %bb.10228:                            ;   in Loop: Header=BB6_10177 Depth=3
	v_or_b32_sdwa v6, v13, s39 dst_sel:DWORD dst_unused:UNUSED_PAD src0_sel:BYTE_3 src1_sel:DWORD
	v_cmp_eq_u64_e32 vcc, 0, v[50:51]
	v_cndmask_b32_e32 v7, v6, v7, vcc
	s_branch .LBB6_10176
.LBB6_10229:                            ;   in Loop: Header=BB6_3679 Depth=2
	s_or_b64 exec, exec, s[66:67]
	v_accvgpr_read_b32 v25, a17
	v_accvgpr_read_b32 v24, a16
	s_or_b64 exec, exec, s[64:65]
	s_and_saveexec_b64 s[28:29], s[10:11]
	s_cbranch_execz .LBB6_10811
; %bb.10823:                            ;   in Loop: Header=BB6_3679 Depth=2
	s_getpc_b64 s[98:99]
.Lpost_getpc22:
	s_add_u32 s98, s98, (.LBB6_3753-.Lpost_getpc22)&4294967295
	s_addc_u32 s99, s99, (.LBB6_3753-.Lpost_getpc22)>>32
	s_setpc_b64 s[98:99]
.LBB6_10811:                            ;   in Loop: Header=BB6_3679 Depth=2
	s_getpc_b64 s[98:99]
.Lpost_getpc16:
	s_add_u32 s98, s98, (.LBB6_5311-.Lpost_getpc16)&4294967295
	s_addc_u32 s99, s99, (.LBB6_5311-.Lpost_getpc16)>>32
	s_setpc_b64 s[98:99]
.LBB6_10230:                            ;   in Loop: Header=BB6_47 Depth=1
	s_or_b64 exec, exec, s[60:61]
.LBB6_10231:                            ;   in Loop: Header=BB6_47 Depth=1
	s_or_b64 exec, exec, s[58:59]
	v_cmp_gt_i32_e32 vcc, 2, v2
	s_and_saveexec_b64 s[30:31], vcc
	s_cbranch_execz .LBB6_10305
; %bb.10232:                            ;   in Loop: Header=BB6_47 Depth=1
	v_cmp_eq_u32_e64 s[28:29], 0, v2
	s_mov_b64 s[34:35], 0
	s_branch .LBB6_10234
.LBB6_10233:                            ;   in Loop: Header=BB6_10234 Depth=2
	s_or_b64 exec, exec, s[28:29]
	v_add_u32_e32 v23, v56, v23
	s_mov_b64 s[28:29], 0
	s_andn2_b64 exec, exec, s[34:35]
	s_cbranch_execz .LBB6_10304
.LBB6_10234:                            ;   Parent Loop BB6_47 Depth=1
                                        ; =>  This Loop Header: Depth=2
                                        ;       Child Loop BB6_10240 Depth 3
                                        ;       Child Loop BB6_10270 Depth 3
	;; [unrolled: 1-line block ×3, first 2 shown]
	v_and_b32_e32 v0, 12, v46
	s_mov_b64 s[60:61], -1
	v_cmp_ne_u32_e32 vcc, 0, v0
	s_and_saveexec_b64 s[58:59], vcc
	s_cbranch_execz .LBB6_10246
; %bb.10235:                            ;   in Loop: Header=BB6_10234 Depth=2
	v_and_b32_e32 v0, 8, v46
	v_accvgpr_read_b32 v2, a26
	v_accvgpr_read_b32 v3, a27
	v_add_co_u32_e32 v4, vcc, v2, v0
	v_addc_co_u32_e32 v5, vcc, 0, v3, vcc
	v_add_co_u32_e32 v2, vcc, 2, v58
	v_addc_co_u32_e32 v3, vcc, 0, v59, vcc
	v_cmp_lt_u64_e32 vcc, v[4:5], v[2:3]
	v_mov_b32_e32 v1, 1
	s_and_saveexec_b64 s[60:61], vcc
	s_cbranch_execz .LBB6_10245
; %bb.10236:                            ;   in Loop: Header=BB6_10234 Depth=2
	s_mov_b64 s[62:63], 0
	v_mov_b32_e32 v1, 0
                                        ; implicit-def: $sgpr64_sgpr65
	s_branch .LBB6_10240
.LBB6_10237:                            ;   in Loop: Header=BB6_10240 Depth=3
	s_or_b64 exec, exec, s[72:73]
	v_mov_b32_e32 v4, 0
	s_orn2_b64 s[70:71], s[70:71], exec
.LBB6_10238:                            ;   in Loop: Header=BB6_10240 Depth=3
	s_or_b64 exec, exec, s[68:69]
	s_andn2_b64 s[26:27], s[64:65], exec
	s_and_b64 vcc, s[70:71], exec
	s_or_b64 s[64:65], s[26:27], vcc
	v_mov_b32_e32 v1, v4
.LBB6_10239:                            ;   in Loop: Header=BB6_10240 Depth=3
	s_or_b64 exec, exec, s[66:67]
	s_waitcnt vmcnt(0) lgkmcnt(0)
	v_accvgpr_read_b32 v4, a26
	v_accvgpr_read_b32 v5, a27
	v_add_co_u32_e32 v4, vcc, v4, v0
	v_addc_co_u32_e32 v5, vcc, 0, v5, vcc
	v_cmp_ge_u64_e32 vcc, v[4:5], v[2:3]
	s_xor_b64 s[26:27], s[64:65], -1
	s_or_b64 s[26:27], s[26:27], vcc
	s_and_b64 s[26:27], exec, s[26:27]
	s_or_b64 s[62:63], s[26:27], s[62:63]
	s_andn2_b64 exec, exec, s[62:63]
	s_cbranch_execz .LBB6_10244
.LBB6_10240:                            ;   Parent Loop BB6_47 Depth=1
                                        ;     Parent Loop BB6_10234 Depth=2
                                        ; =>    This Inner Loop Header: Depth=3
	v_accvgpr_read_b32 v4, a18
	v_accvgpr_read_b32 v5, a19
	s_sleep 1
	flat_load_dwordx2 a[26:27], v[4:5] glc
	v_and_b32_e32 v4, 64, v46
	v_cmp_eq_u32_e32 vcc, 0, v4
	s_andn2_b64 s[64:65], s[64:65], exec
	s_and_saveexec_b64 s[66:67], vcc
	s_cbranch_execz .LBB6_10239
; %bb.10241:                            ;   in Loop: Header=BB6_10240 Depth=3
	v_add_u32_e32 v4, 1, v1
	v_cmp_lt_i32_e32 vcc, s91, v1
	s_mov_b64 s[70:71], -1
	s_and_saveexec_b64 s[68:69], vcc
	s_cbranch_execz .LBB6_10238
; %bb.10242:                            ;   in Loop: Header=BB6_10240 Depth=3
	s_trap 2
	ds_read_b64 v[4:5], v0
	s_waitcnt vmcnt(0) lgkmcnt(0)
	flat_load_dword v1, v[4:5] glc
	s_waitcnt vmcnt(0) lgkmcnt(0)
	buffer_invl2
	buffer_wbinvl1_vol
	v_cmp_ne_u32_e32 vcc, 0, v1
	s_and_saveexec_b64 s[72:73], vcc
	s_cbranch_execz .LBB6_10237
; %bb.10243:                            ;   in Loop: Header=BB6_10240 Depth=3
	v_or_b32_e32 v46, 64, v46
	s_xor_b64 s[70:71], exec, -1
	ds_write_b32 v0, v1
	s_trap 2
	s_branch .LBB6_10237
.LBB6_10244:                            ;   in Loop: Header=BB6_10234 Depth=2
	s_or_b64 exec, exec, s[62:63]
	v_and_b32_e32 v1, 12, v46
.LBB6_10245:                            ;   in Loop: Header=BB6_10234 Depth=2
	s_or_b64 exec, exec, s[60:61]
	v_cmp_eq_u32_e32 vcc, 0, v1
	s_orn2_b64 s[60:61], vcc, exec
	;;#ASMSTART
	s_wakeup
	;;#ASMEND
.LBB6_10246:                            ;   in Loop: Header=BB6_10234 Depth=2
	s_or_b64 exec, exec, s[58:59]
	s_xor_b64 s[26:27], s[28:29], -1
	s_and_b64 s[26:27], exec, s[26:27]
	s_or_b64 s[34:35], s[26:27], s[34:35]
	v_sub_u32_e32 v0, v22, v23
	s_xor_b64 s[26:27], s[60:61], -1
	v_min_i32_e32 v56, v56, v0
	s_and_saveexec_b64 s[58:59], s[26:27]
	s_cbranch_execz .LBB6_10262
; %bb.10247:                            ;   in Loop: Header=BB6_10234 Depth=2
	v_and_b32_e32 v0, 0x108, v46
	v_cmp_ne_u32_e32 vcc, s92, v0
	v_and_b32_e32 v0, 7, v58
	s_and_saveexec_b64 s[26:27], vcc
	s_xor_b64 s[28:29], exec, s[26:27]
	s_andn2_saveexec_b64 s[28:29], s[28:29]
	s_cbranch_execz .LBB6_10249
; %bb.10248:                            ;   in Loop: Header=BB6_10234 Depth=2
	v_mad_u64_u32 v[2:3], s[26:27], v0, 24, v[24:25]
	v_ashrrev_i32_e32 v57, 31, v56
	flat_store_dwordx2 v[2:3], v[56:57] offset:8
.LBB6_10249:                            ;   in Loop: Header=BB6_10234 Depth=2
	s_or_b64 exec, exec, s[28:29]
	v_and_b32_e32 v1, 0x100, v46
	v_cmp_ne_u32_e32 vcc, 0, v1
	s_mov_b64 s[28:29], -1
                                        ; implicit-def: $vgpr2_vgpr3
	s_and_saveexec_b64 s[60:61], vcc
	s_cbranch_execz .LBB6_10253
; %bb.10250:                            ;   in Loop: Header=BB6_10234 Depth=2
	v_mad_u64_u32 v[4:5], s[26:27], v0, 24, v[24:25]
	v_mov_b32_e32 v2, v5
	v_mad_u64_u32 v[2:3], s[26:27], v51, 24, v[2:3]
	v_mov_b32_e32 v5, v2
	flat_load_dword v1, v[4:5]
                                        ; implicit-def: $vgpr2_vgpr3
	s_waitcnt vmcnt(0) lgkmcnt(0)
	v_cmp_ne_u32_e32 vcc, 1, v1
	v_cmp_eq_u32_e64 s[28:29], 1, v1
	s_and_saveexec_b64 s[62:63], s[28:29]
	s_cbranch_execz .LBB6_10252
; %bb.10251:                            ;   in Loop: Header=BB6_10234 Depth=2
	flat_load_dword v2, v[4:5] offset:4 glc
	s_waitcnt vmcnt(0) lgkmcnt(0)
	v_ashrrev_i32_e32 v3, 31, v2
.LBB6_10252:                            ;   in Loop: Header=BB6_10234 Depth=2
	s_or_b64 exec, exec, s[62:63]
	s_orn2_b64 s[28:29], vcc, exec
.LBB6_10253:                            ;   in Loop: Header=BB6_10234 Depth=2
	s_or_b64 exec, exec, s[60:61]
	s_and_saveexec_b64 vcc, s[28:29]
; %bb.10254:                            ;   in Loop: Header=BB6_10234 Depth=2
	v_accvgpr_read_b32 v2, a20
	v_accvgpr_read_b32 v3, a21
	v_mul_lo_u32 v1, v51, v2
	v_mul_lo_u32 v4, v0, v3
	v_mad_u64_u32 v[2:3], s[26:27], v0, v2, 0
	v_add3_u32 v3, v3, v4, v1
; %bb.10255:                            ;   in Loop: Header=BB6_10234 Depth=2
	s_or_b64 exec, exec, vcc
	v_accvgpr_read_b32 v0, a22
	v_accvgpr_read_b32 v1, a23
	v_add_co_u32_e32 v0, vcc, v0, v2
	v_addc_co_u32_e32 v1, vcc, v1, v3, vcc
	s_trap 2
	ds_write_b64 v0, v[0:1]
	v_and_b32_e32 v0, 0x2000, v46
	v_cmp_ne_u32_e32 vcc, 0, v0
	s_and_saveexec_b64 s[28:29], vcc
	s_cbranch_execz .LBB6_10257
; %bb.10256:                            ;   in Loop: Header=BB6_10234 Depth=2
	ds_read_b64 v[0:1], v0 offset:584
	s_waitcnt lgkmcnt(0)
	v_add_co_u32_e32 v0, vcc, 1, v0
	v_addc_co_u32_e32 v1, vcc, 0, v1, vcc
	ds_write_b64 v0, v[0:1] offset:584
.LBB6_10257:                            ;   in Loop: Header=BB6_10234 Depth=2
	s_or_b64 exec, exec, s[28:29]
	v_add_co_u32_e32 v58, vcc, 2, v58
	v_addc_co_u32_e32 v59, vcc, 0, v59, vcc
	s_or_b64 exec, exec, s[58:59]
	s_and_saveexec_b64 s[28:29], s[10:11]
	s_cbranch_execnz .LBB6_10263
.LBB6_10258:                            ;   in Loop: Header=BB6_10234 Depth=2
	s_or_b64 exec, exec, s[28:29]
                                        ; implicit-def: $vgpr0
	s_and_saveexec_b64 s[26:27], s[24:25]
	s_xor_b64 s[28:29], exec, s[26:27]
	s_cbranch_execz .LBB6_10281
.LBB6_10259:                            ;   in Loop: Header=BB6_10234 Depth=2
	s_trap 2
	ds_read_b32 v1, v0
	v_cmp_lt_i32_e32 vcc, 0, v56
	v_and_b32_e32 v2, 16, v46
	v_and_b32_e32 v0, 16, v46
	s_waitcnt lgkmcnt(0)
	v_readfirstlane_b32 s26, v1
	s_cmp_eq_u32 s26, 0
	s_cselect_b64 s[26:27], -1, 0
	s_and_b64 s[26:27], vcc, s[26:27]
	v_cmp_ne_u32_e32 vcc, 0, v2
	s_and_b64 s[26:27], vcc, s[26:27]
	s_and_saveexec_b64 vcc, s[26:27]
	s_cbranch_execz .LBB6_10261
; %bb.10260:                            ;   in Loop: Header=BB6_10234 Depth=2
	v_mov_b32_e32 v0, 1
	s_waitcnt vmcnt(0)
	buffer_wbinvl1_vol
.LBB6_10261:                            ;   in Loop: Header=BB6_10234 Depth=2
	s_or_b64 exec, exec, vcc
	s_andn2_saveexec_b64 s[28:29], s[28:29]
	s_cbranch_execz .LBB6_10300
	s_branch .LBB6_10282
.LBB6_10262:                            ;   in Loop: Header=BB6_10234 Depth=2
	s_or_b64 exec, exec, s[58:59]
	s_and_saveexec_b64 s[28:29], s[10:11]
	s_cbranch_execz .LBB6_10258
.LBB6_10263:                            ;   in Loop: Header=BB6_10234 Depth=2
	s_and_saveexec_b64 s[26:27], s[44:45]
	s_xor_b64 s[58:59], exec, s[26:27]
	s_cbranch_execz .LBB6_10278
; %bb.10264:                            ;   in Loop: Header=BB6_10234 Depth=2
	s_and_saveexec_b64 s[60:61], s[16:17]
	s_cbranch_execz .LBB6_10277
; %bb.10265:                            ;   in Loop: Header=BB6_10234 Depth=2
	s_mov_b64 s[64:65], exec
	v_mbcnt_lo_u32_b32 v0, s64, 0
	v_mbcnt_hi_u32_b32 v0, s65, v0
	v_cmp_eq_u32_e32 vcc, 0, v0
	s_waitcnt vmcnt(0) lgkmcnt(0)
	buffer_wbinvl1_vol
	s_and_saveexec_b64 s[62:63], vcc
	s_cbranch_execz .LBB6_10267
; %bb.10266:                            ;   in Loop: Header=BB6_10234 Depth=2
	s_bcnt1_i32_b64 s26, s[64:65]
	v_mov_b32_e32 v50, s26
	ds_add_u64 v0, v[50:51]
	s_trap 2
.LBB6_10267:                            ;   in Loop: Header=BB6_10234 Depth=2
	s_or_b64 exec, exec, s[62:63]
	s_trap 2
	ds_read_b64 v[0:1], v0
	v_accvgpr_read_b32 v2, a28
	v_accvgpr_read_b32 v3, a29
	v_add_co_u32_e32 v2, vcc, v2, v40
	v_addc_co_u32_e32 v3, vcc, 0, v3, vcc
	v_accvgpr_write_b32 a29, v3
	v_accvgpr_write_b32 a28, v2
	s_waitcnt lgkmcnt(0)
	v_cmp_lt_u64_e32 vcc, v[0:1], v[2:3]
	s_and_saveexec_b64 s[62:63], vcc
	s_cbranch_execz .LBB6_10276
; %bb.10268:                            ;   in Loop: Header=BB6_10234 Depth=2
	s_mov_b32 s26, 0
	s_mov_b64 s[64:65], 0
                                        ; implicit-def: $sgpr66_sgpr67
                                        ; implicit-def: $sgpr68_sgpr69
	s_branch .LBB6_10270
.LBB6_10269:                            ;   in Loop: Header=BB6_10270 Depth=3
	s_or_b64 exec, exec, s[72:73]
	s_and_b64 vcc, exec, vcc
	s_or_b64 s[64:65], vcc, s[64:65]
	s_andn2_b64 vcc, s[66:67], exec
	s_and_b64 s[50:51], s[68:69], exec
	s_or_b64 s[66:67], vcc, s[50:51]
	s_andn2_b64 exec, exec, s[64:65]
	s_cbranch_execz .LBB6_10274
.LBB6_10270:                            ;   Parent Loop BB6_47 Depth=1
                                        ;     Parent Loop BB6_10234 Depth=2
                                        ; =>    This Inner Loop Header: Depth=3
	s_add_i32 s26, s26, 1
	s_cmpk_lg_i32 s26, 0x2710
	s_cselect_b64 s[70:71], -1, 0
	s_and_b64 vcc, exec, s[70:71]
                                        ; implicit-def: $sgpr72_sgpr73
	s_cbranch_vccnz .LBB6_10272
; %bb.10271:                            ;   in Loop: Header=BB6_10270 Depth=3
	s_trap 2
	ds_read_b64 v[0:1], v0
	s_andn2_b64 s[70:71], s[70:71], exec
	s_mov_b32 s26, 0
	s_mov_b64 s[72:73], -1
	s_waitcnt lgkmcnt(0)
	flat_load_dword v0, v[0:1] glc
	s_waitcnt vmcnt(0) lgkmcnt(0)
	buffer_invl2
	buffer_wbinvl1_vol
	v_cmp_eq_u32_e32 vcc, 0, v0
	s_and_b64 vcc, vcc, exec
	s_or_b64 s[70:71], s[70:71], vcc
.LBB6_10272:                            ;   in Loop: Header=BB6_10270 Depth=3
	s_andn2_b64 s[68:69], s[68:69], exec
	s_and_b64 s[72:73], s[72:73], exec
	s_mov_b64 vcc, -1
	s_or_b64 s[68:69], s[68:69], s[72:73]
	s_and_saveexec_b64 s[72:73], s[70:71]
	s_cbranch_execz .LBB6_10269
; %bb.10273:                            ;   in Loop: Header=BB6_10270 Depth=3
	s_sleep 1
	s_trap 2
	ds_read_b64 v[0:1], v0
	v_accvgpr_read_b32 v2, a28
	v_accvgpr_read_b32 v3, a29
	s_andn2_b64 s[68:69], s[68:69], exec
	s_waitcnt lgkmcnt(0)
	v_cmp_ge_u64_e32 vcc, v[0:1], v[2:3]
	s_orn2_b64 vcc, vcc, exec
	s_branch .LBB6_10269
.LBB6_10274:                            ;   in Loop: Header=BB6_10234 Depth=2
	s_or_b64 exec, exec, s[64:65]
	s_and_saveexec_b64 s[26:27], s[66:67]
	s_xor_b64 s[26:27], exec, s[26:27]
	s_cbranch_execz .LBB6_10276
; %bb.10275:                            ;   in Loop: Header=BB6_10234 Depth=2
	v_mov_b32_e32 v0, 1
	ds_write_b32 v0, v0
	s_trap 2
.LBB6_10276:                            ;   in Loop: Header=BB6_10234 Depth=2
	s_or_b64 exec, exec, s[62:63]
	;;#ASMSTART
	s_wakeup
	;;#ASMEND
.LBB6_10277:                            ;   in Loop: Header=BB6_10234 Depth=2
	s_or_b64 exec, exec, s[60:61]
.LBB6_10278:                            ;   in Loop: Header=BB6_10234 Depth=2
	s_andn2_saveexec_b64 vcc, s[58:59]
	s_cbranch_execz .LBB6_10280
; %bb.10279:                            ;   in Loop: Header=BB6_10234 Depth=2
	s_waitcnt vmcnt(0) lgkmcnt(0)
	buffer_wbinvl1_vol
	s_barrier
.LBB6_10280:                            ;   in Loop: Header=BB6_10234 Depth=2
	s_or_b64 exec, exec, vcc
	s_or_b64 exec, exec, s[28:29]
                                        ; implicit-def: $vgpr0
	s_and_saveexec_b64 s[26:27], s[24:25]
	s_xor_b64 s[28:29], exec, s[26:27]
	s_cbranch_execnz .LBB6_10259
.LBB6_10281:                            ;   in Loop: Header=BB6_10234 Depth=2
	s_andn2_saveexec_b64 s[28:29], s[28:29]
	s_cbranch_execz .LBB6_10300
.LBB6_10282:                            ;   in Loop: Header=BB6_10234 Depth=2
	s_and_saveexec_b64 s[26:27], s[44:45]
	s_xor_b64 s[58:59], exec, s[26:27]
	s_cbranch_execz .LBB6_10297
; %bb.10283:                            ;   in Loop: Header=BB6_10234 Depth=2
	s_and_saveexec_b64 s[60:61], s[16:17]
	s_cbranch_execz .LBB6_10296
; %bb.10284:                            ;   in Loop: Header=BB6_10234 Depth=2
	s_mov_b64 s[64:65], exec
	v_mbcnt_lo_u32_b32 v0, s64, 0
	v_mbcnt_hi_u32_b32 v0, s65, v0
	v_cmp_eq_u32_e32 vcc, 0, v0
	;;#ASMSTART
	s_waitcnt lgkmcnt(0) vmcnt(0)
	;;#ASMEND
	s_and_saveexec_b64 s[62:63], vcc
	s_cbranch_execz .LBB6_10286
; %bb.10285:                            ;   in Loop: Header=BB6_10234 Depth=2
	s_bcnt1_i32_b64 s26, s[64:65]
	v_mov_b32_e32 v50, s26
	ds_add_u64 v0, v[50:51]
	s_trap 2
.LBB6_10286:                            ;   in Loop: Header=BB6_10234 Depth=2
	s_or_b64 exec, exec, s[62:63]
	s_trap 2
	ds_read_b64 v[0:1], v0
	v_accvgpr_read_b32 v2, a28
	v_accvgpr_read_b32 v3, a29
	v_add_co_u32_e32 v2, vcc, v2, v40
	v_addc_co_u32_e32 v3, vcc, 0, v3, vcc
	v_accvgpr_write_b32 a29, v3
	v_accvgpr_write_b32 a28, v2
	s_waitcnt lgkmcnt(0)
	v_cmp_lt_u64_e32 vcc, v[0:1], v[2:3]
	s_and_saveexec_b64 s[62:63], vcc
	s_cbranch_execz .LBB6_10295
; %bb.10287:                            ;   in Loop: Header=BB6_10234 Depth=2
	s_mov_b32 s26, 0
	s_mov_b64 s[64:65], 0
                                        ; implicit-def: $sgpr66_sgpr67
                                        ; implicit-def: $sgpr68_sgpr69
	s_branch .LBB6_10289
.LBB6_10288:                            ;   in Loop: Header=BB6_10289 Depth=3
	s_or_b64 exec, exec, s[72:73]
	s_and_b64 vcc, exec, vcc
	s_or_b64 s[64:65], vcc, s[64:65]
	s_andn2_b64 vcc, s[66:67], exec
	s_and_b64 s[50:51], s[68:69], exec
	s_or_b64 s[66:67], vcc, s[50:51]
	s_andn2_b64 exec, exec, s[64:65]
	s_cbranch_execz .LBB6_10293
.LBB6_10289:                            ;   Parent Loop BB6_47 Depth=1
                                        ;     Parent Loop BB6_10234 Depth=2
                                        ; =>    This Inner Loop Header: Depth=3
	s_add_i32 s26, s26, 1
	s_cmpk_lg_i32 s26, 0x2710
	s_cselect_b64 s[70:71], -1, 0
	s_and_b64 vcc, exec, s[70:71]
                                        ; implicit-def: $sgpr72_sgpr73
	s_cbranch_vccnz .LBB6_10291
; %bb.10290:                            ;   in Loop: Header=BB6_10289 Depth=3
	s_trap 2
	ds_read_b64 v[0:1], v0
	s_andn2_b64 s[70:71], s[70:71], exec
	s_mov_b32 s26, 0
	s_mov_b64 s[72:73], -1
	s_waitcnt vmcnt(0) lgkmcnt(0)
	flat_load_dword v0, v[0:1] glc
	s_waitcnt vmcnt(0) lgkmcnt(0)
	buffer_invl2
	buffer_wbinvl1_vol
	v_cmp_eq_u32_e32 vcc, 0, v0
	s_and_b64 vcc, vcc, exec
	s_or_b64 s[70:71], s[70:71], vcc
.LBB6_10291:                            ;   in Loop: Header=BB6_10289 Depth=3
	s_andn2_b64 s[68:69], s[68:69], exec
	s_and_b64 s[72:73], s[72:73], exec
	s_mov_b64 vcc, -1
	s_or_b64 s[68:69], s[68:69], s[72:73]
	s_and_saveexec_b64 s[72:73], s[70:71]
	s_cbranch_execz .LBB6_10288
; %bb.10292:                            ;   in Loop: Header=BB6_10289 Depth=3
	s_sleep 1
	s_trap 2
	ds_read_b64 v[0:1], v0
	v_accvgpr_read_b32 v2, a28
	v_accvgpr_read_b32 v3, a29
	s_andn2_b64 s[68:69], s[68:69], exec
	s_waitcnt lgkmcnt(0)
	v_cmp_ge_u64_e32 vcc, v[0:1], v[2:3]
	s_orn2_b64 vcc, vcc, exec
	s_branch .LBB6_10288
.LBB6_10293:                            ;   in Loop: Header=BB6_10234 Depth=2
	s_or_b64 exec, exec, s[64:65]
	s_and_saveexec_b64 s[26:27], s[66:67]
	s_xor_b64 s[26:27], exec, s[26:27]
	s_cbranch_execz .LBB6_10295
; %bb.10294:                            ;   in Loop: Header=BB6_10234 Depth=2
	v_mov_b32_e32 v0, 1
	ds_write_b32 v0, v0
	s_trap 2
.LBB6_10295:                            ;   in Loop: Header=BB6_10234 Depth=2
	s_or_b64 exec, exec, s[62:63]
	;;#ASMSTART
	s_wakeup
	;;#ASMEND
.LBB6_10296:                            ;   in Loop: Header=BB6_10234 Depth=2
	s_or_b64 exec, exec, s[60:61]
.LBB6_10297:                            ;   in Loop: Header=BB6_10234 Depth=2
	s_andn2_saveexec_b64 vcc, s[58:59]
	s_cbranch_execz .LBB6_10299
; %bb.10298:                            ;   in Loop: Header=BB6_10234 Depth=2
	;;#ASMSTART
	s_waitcnt lgkmcnt(0) vmcnt(0)
	;;#ASMEND
	s_barrier
.LBB6_10299:                            ;   in Loop: Header=BB6_10234 Depth=2
	s_or_b64 exec, exec, vcc
	v_and_b32_e32 v0, 16, v46
.LBB6_10300:                            ;   in Loop: Header=BB6_10234 Depth=2
	s_or_b64 exec, exec, s[28:29]
	v_cmp_ne_u32_e32 vcc, 0, v0
	s_xor_b64 s[26:27], s[12:13], -1
	s_and_b64 s[26:27], vcc, s[26:27]
	s_and_saveexec_b64 s[28:29], s[26:27]
	s_cbranch_execz .LBB6_10302
; %bb.10301:                            ;   in Loop: Header=BB6_10234 Depth=2
	v_accvgpr_read_b32 v0, a24
	v_accvgpr_read_b32 v1, a25
	v_mov_b32_e32 v2, 1
	flat_store_dword v[0:1], v2
.LBB6_10302:                            ;   in Loop: Header=BB6_10234 Depth=2
	s_or_b64 exec, exec, s[28:29]
	v_and_b32_e32 v0, 48, v46
	v_cmp_ne_u32_e32 vcc, 0, v0
	s_and_saveexec_b64 s[28:29], vcc
	s_cbranch_execz .LBB6_10233
; %bb.10303:                            ;   in Loop: Header=BB6_10234 Depth=2
	v_add_co_u32_e32 v58, vcc, 2, v58
	v_accvgpr_read_b32 v0, a18
	v_addc_co_u32_e32 v59, vcc, 0, v59, vcc
	v_accvgpr_read_b32 v1, a19
	flat_store_dwordx2 v[0:1], v[58:59]
	s_branch .LBB6_10233
.LBB6_10304:                            ;   in Loop: Header=BB6_47 Depth=1
	s_or_b64 exec, exec, s[34:35]
.LBB6_10305:                            ;   in Loop: Header=BB6_47 Depth=1
	s_or_b64 exec, exec, s[30:31]
	v_readlane_b32 s26, v61, 21
	v_readlane_b32 s27, v61, 22
	s_and_b64 vcc, exec, s[26:27]
	s_cbranch_vccnz .LBB6_10562
; %bb.10306:                            ;   in Loop: Header=BB6_47 Depth=1
	s_mov_b32 s74, 1
.LBB6_10307:                            ;   Parent Loop BB6_47 Depth=1
                                        ; =>  This Loop Header: Depth=2
                                        ;       Child Loop BB6_10310 Depth 3
                                        ;         Child Loop BB6_10318 Depth 4
                                        ;         Child Loop BB6_10344 Depth 4
                                        ;         Child Loop BB6_10363 Depth 4
                                        ;         Child Loop BB6_10435 Depth 4
                                        ;         Child Loop BB6_10440 Depth 4
                                        ;         Child Loop BB6_10448 Depth 4
                                        ;         Child Loop BB6_10453 Depth 4
                                        ;         Child Loop BB6_10398 Depth 4
                                        ;         Child Loop BB6_10403 Depth 4
                                        ;           Child Loop BB6_10404 Depth 5
                                        ;         Child Loop BB6_10413 Depth 4
                                        ;         Child Loop BB6_10418 Depth 4
                                        ;           Child Loop BB6_10419 Depth 5
                                        ;         Child Loop BB6_10391 Depth 4
                                        ;         Child Loop BB6_10470 Depth 4
                                        ;       Child Loop BB6_10488 Depth 3
                                        ;         Child Loop BB6_10494 Depth 4
                                        ;         Child Loop BB6_10524 Depth 4
	;; [unrolled: 1-line block ×3, first 2 shown]
	buffer_load_dword v4, off, s[0:3], s33 offset:180 ; 4-byte Folded Reload
	buffer_load_dword v5, off, s[0:3], s33 offset:184 ; 4-byte Folded Reload
	s_sub_i32 s26, s84, s74
	s_cmp_le_i32 s78, s26
	s_cselect_b32 s27, s78, 0
	s_sub_i32 s26, s26, s27
	s_ashr_i32 s27, s26, 31
	v_mov_b32_e32 v15, 0
	s_waitcnt vmcnt(0)
	v_mul_lo_u32 v2, v4, s27
	v_mul_lo_u32 v3, v5, s26
	v_mad_u64_u32 v[0:1], s[26:27], v4, s26, 0
	v_add3_u32 v1, v1, v2, v3
	buffer_load_dword v2, off, s[0:3], s33 offset:172 ; 4-byte Folded Reload
	buffer_load_dword v3, off, s[0:3], s33 offset:176 ; 4-byte Folded Reload
	v_readlane_b32 s26, v61, 19
	v_readlane_b32 s27, v61, 20
	s_waitcnt vmcnt(0)
	v_sub_co_u32_e32 v2, vcc, v2, v0
	v_subb_co_u32_e32 v3, vcc, v3, v1, vcc
	v_cmp_lt_i64_e32 vcc, v[4:5], v[2:3]
	v_cndmask_b32_e32 v2, v2, v4, vcc
	v_max_i32_e32 v14, 0, v2
	v_add_u32_e32 v3, 31, v14
	v_lshrrev_b32_e32 v3, 1, v3
	v_and_b32_e32 v3, 0x3ffffff0, v3
	v_cmp_lt_i32_e32 vcc, 0, v2
	v_max_i32_e32 v4, s87, v3
	s_and_b64 s[26:27], s[26:27], vcc
	v_mov_b32_e32 v2, 0
	s_and_saveexec_b64 s[58:59], s[26:27]
	s_cbranch_execz .LBB6_10485
; %bb.10308:                            ;   in Loop: Header=BB6_10307 Depth=2
	v_accvgpr_read_b32 v2, a53
	v_add_co_u32_e32 v16, vcc, v0, v2
	v_accvgpr_read_b32 v0, a60
	v_addc_co_u32_e32 v17, vcc, v1, v0, vcc
	s_mov_b32 s75, 1
	s_mov_b64 s[62:63], -1
	s_mov_b64 s[60:61], 0
	v_mov_b32_e32 v15, 0
	s_branch .LBB6_10310
.LBB6_10309:                            ;   in Loop: Header=BB6_10310 Depth=3
	s_or_b64 exec, exec, s[26:27]
	v_add_u32_e32 v15, v4, v15
	v_cmp_ge_i32_e32 vcc, v15, v14
	s_xor_b64 s[26:27], s[62:63], -1
	s_or_b64 s[26:27], s[26:27], vcc
	s_and_b64 s[26:27], exec, s[26:27]
	s_or_b64 s[60:61], s[26:27], s[60:61]
	s_mov_b64 s[62:63], 0
	v_mov_b32_e32 v2, s75
	s_mov_b32 s75, 2
	s_andn2_b64 exec, exec, s[60:61]
	s_cbranch_execz .LBB6_10558
.LBB6_10310:                            ;   Parent Loop BB6_47 Depth=1
                                        ;     Parent Loop BB6_10307 Depth=2
                                        ; =>    This Loop Header: Depth=3
                                        ;         Child Loop BB6_10318 Depth 4
                                        ;         Child Loop BB6_10344 Depth 4
	;; [unrolled: 1-line block ×9, first 2 shown]
                                        ;           Child Loop BB6_10404 Depth 5
                                        ;         Child Loop BB6_10413 Depth 4
                                        ;         Child Loop BB6_10418 Depth 4
                                        ;           Child Loop BB6_10419 Depth 5
                                        ;         Child Loop BB6_10391 Depth 4
                                        ;         Child Loop BB6_10470 Depth 4
	s_and_saveexec_b64 s[26:27], s[4:5]
	s_cbranch_execz .LBB6_10312
; %bb.10311:                            ;   in Loop: Header=BB6_10310 Depth=3
	s_trap 2
	ds_read_b128 v[0:3], v0
	v_ashrrev_i32_e32 v5, 31, v15
	s_waitcnt lgkmcnt(0)
	v_add_co_u32_e32 v0, vcc, v0, v16
	v_addc_co_u32_e32 v1, vcc, v1, v17, vcc
	v_add_co_u32_e32 v0, vcc, v0, v15
	v_addc_co_u32_e32 v1, vcc, v1, v5, vcc
	ds_write_b64 v0, v[0:1]
	v_add_co_u32_e32 v0, vcc, v2, v16
	v_addc_co_u32_e32 v1, vcc, v3, v17, vcc
	v_add_co_u32_e32 v0, vcc, v0, v15
	v_addc_co_u32_e32 v1, vcc, v1, v5, vcc
	v_cmp_ne_u64_e32 vcc, 0, v[2:3]
	v_cndmask_b32_e32 v1, 0, v1, vcc
	v_cndmask_b32_e32 v0, 0, v0, vcc
	ds_write_b64 v0, v[0:1]
.LBB6_10312:                            ;   in Loop: Header=BB6_10310 Depth=3
	s_or_b64 exec, exec, s[26:27]
	v_and_b32_e32 v0, 12, v46
	v_cmp_ne_u32_e32 vcc, 0, v0
	s_mov_b64 s[28:29], -1
	s_and_saveexec_b64 s[26:27], vcc
	s_cbranch_execz .LBB6_10324
; %bb.10313:                            ;   in Loop: Header=BB6_10310 Depth=3
	v_and_b32_e32 v0, 8, v46
	v_accvgpr_read_b32 v2, a26
	v_accvgpr_read_b32 v3, a27
	v_add_co_u32_e32 v6, vcc, v2, v0
	v_addc_co_u32_e32 v7, vcc, 0, v3, vcc
	v_add_co_u32_e32 v2, vcc, 2, v58
	v_addc_co_u32_e32 v3, vcc, 0, v59, vcc
	v_cmp_lt_u64_e32 vcc, v[6:7], v[2:3]
	v_mov_b32_e32 v1, 1
	s_and_saveexec_b64 s[28:29], vcc
	s_cbranch_execz .LBB6_10323
; %bb.10314:                            ;   in Loop: Header=BB6_10310 Depth=3
	s_mov_b64 s[30:31], 0
	v_mov_b32_e32 v1, 0
                                        ; implicit-def: $sgpr34_sgpr35
	s_branch .LBB6_10318
.LBB6_10315:                            ;   in Loop: Header=BB6_10318 Depth=4
	s_or_b64 exec, exec, s[70:71]
	v_mov_b32_e32 v5, 0
	s_orn2_b64 s[68:69], s[68:69], exec
.LBB6_10316:                            ;   in Loop: Header=BB6_10318 Depth=4
	s_or_b64 exec, exec, s[66:67]
	s_andn2_b64 vcc, s[34:35], exec
	s_and_b64 s[34:35], s[68:69], exec
	s_or_b64 s[34:35], vcc, s[34:35]
	v_mov_b32_e32 v1, v5
.LBB6_10317:                            ;   in Loop: Header=BB6_10318 Depth=4
	s_or_b64 exec, exec, s[64:65]
	s_waitcnt vmcnt(0) lgkmcnt(0)
	v_accvgpr_read_b32 v6, a26
	v_accvgpr_read_b32 v7, a27
	v_add_co_u32_e32 v6, vcc, v6, v0
	v_addc_co_u32_e32 v7, vcc, 0, v7, vcc
	v_cmp_ge_u64_e32 vcc, v[6:7], v[2:3]
	s_xor_b64 s[50:51], s[34:35], -1
	s_or_b64 vcc, s[50:51], vcc
	s_and_b64 vcc, exec, vcc
	s_or_b64 s[30:31], vcc, s[30:31]
	s_andn2_b64 exec, exec, s[30:31]
	s_cbranch_execz .LBB6_10322
.LBB6_10318:                            ;   Parent Loop BB6_47 Depth=1
                                        ;     Parent Loop BB6_10307 Depth=2
                                        ;       Parent Loop BB6_10310 Depth=3
                                        ; =>      This Inner Loop Header: Depth=4
	v_accvgpr_read_b32 v6, a18
	v_accvgpr_read_b32 v7, a19
	s_sleep 1
	flat_load_dwordx2 a[26:27], v[6:7] glc
	v_and_b32_e32 v5, 64, v46
	v_cmp_eq_u32_e32 vcc, 0, v5
	s_andn2_b64 s[34:35], s[34:35], exec
	s_and_saveexec_b64 s[64:65], vcc
	s_cbranch_execz .LBB6_10317
; %bb.10319:                            ;   in Loop: Header=BB6_10318 Depth=4
	v_add_u32_e32 v5, 1, v1
	v_cmp_lt_i32_e32 vcc, s91, v1
	s_mov_b64 s[68:69], -1
	s_and_saveexec_b64 s[66:67], vcc
	s_cbranch_execz .LBB6_10316
; %bb.10320:                            ;   in Loop: Header=BB6_10318 Depth=4
	s_trap 2
	ds_read_b64 v[6:7], v0
	s_waitcnt vmcnt(0) lgkmcnt(0)
	flat_load_dword v1, v[6:7] glc
	s_waitcnt vmcnt(0) lgkmcnt(0)
	buffer_invl2
	buffer_wbinvl1_vol
	v_cmp_ne_u32_e32 vcc, 0, v1
	s_and_saveexec_b64 s[70:71], vcc
	s_cbranch_execz .LBB6_10315
; %bb.10321:                            ;   in Loop: Header=BB6_10318 Depth=4
	v_or_b32_e32 v46, 64, v46
	s_xor_b64 s[68:69], exec, -1
	ds_write_b32 v0, v1
	s_trap 2
	s_branch .LBB6_10315
.LBB6_10322:                            ;   in Loop: Header=BB6_10310 Depth=3
	s_or_b64 exec, exec, s[30:31]
	v_and_b32_e32 v1, 12, v46
.LBB6_10323:                            ;   in Loop: Header=BB6_10310 Depth=3
	s_or_b64 exec, exec, s[28:29]
	v_cmp_eq_u32_e32 vcc, 0, v1
	s_orn2_b64 s[28:29], vcc, exec
	;;#ASMSTART
	s_wakeup
	;;#ASMEND
.LBB6_10324:                            ;   in Loop: Header=BB6_10310 Depth=3
	s_or_b64 exec, exec, s[26:27]
	v_sub_u32_e32 v0, v14, v15
	s_xor_b64 s[26:27], s[28:29], -1
	v_min_i32_e32 v4, v4, v0
	s_and_saveexec_b64 s[28:29], s[26:27]
	s_cbranch_execz .LBB6_10336
; %bb.10325:                            ;   in Loop: Header=BB6_10310 Depth=3
	v_and_b32_e32 v0, 0x108, v46
	v_cmp_ne_u32_e32 vcc, s92, v0
	v_and_b32_e32 v0, 7, v58
	s_and_saveexec_b64 s[26:27], vcc
	s_xor_b64 s[26:27], exec, s[26:27]
	s_andn2_saveexec_b64 s[26:27], s[26:27]
	s_cbranch_execz .LBB6_10327
; %bb.10326:                            ;   in Loop: Header=BB6_10310 Depth=3
	v_mad_u64_u32 v[2:3], vcc, v0, 24, v[24:25]
	v_ashrrev_i32_e32 v5, 31, v4
	flat_store_dwordx2 v[2:3], v[4:5] offset:8
.LBB6_10327:                            ;   in Loop: Header=BB6_10310 Depth=3
	s_or_b64 exec, exec, s[26:27]
	v_and_b32_e32 v1, 0x100, v46
	v_cmp_ne_u32_e32 vcc, 0, v1
	s_mov_b64 s[26:27], -1
                                        ; implicit-def: $vgpr2_vgpr3
	s_and_saveexec_b64 s[30:31], vcc
	s_cbranch_execz .LBB6_10331
; %bb.10328:                            ;   in Loop: Header=BB6_10310 Depth=3
	v_mad_u64_u32 v[6:7], s[26:27], v0, 24, v[24:25]
	v_mov_b32_e32 v2, v7
	v_mad_u64_u32 v[2:3], s[26:27], v51, 24, v[2:3]
	v_mov_b32_e32 v7, v2
	flat_load_dword v1, v[6:7]
                                        ; implicit-def: $vgpr2_vgpr3
	s_waitcnt vmcnt(0) lgkmcnt(0)
	v_cmp_ne_u32_e32 vcc, 1, v1
	v_cmp_eq_u32_e64 s[26:27], 1, v1
	s_and_saveexec_b64 s[34:35], s[26:27]
	s_cbranch_execz .LBB6_10330
; %bb.10329:                            ;   in Loop: Header=BB6_10310 Depth=3
	flat_load_dword v2, v[6:7] offset:4 glc
	s_waitcnt vmcnt(0) lgkmcnt(0)
	v_ashrrev_i32_e32 v3, 31, v2
.LBB6_10330:                            ;   in Loop: Header=BB6_10310 Depth=3
	s_or_b64 exec, exec, s[34:35]
	s_orn2_b64 s[26:27], vcc, exec
.LBB6_10331:                            ;   in Loop: Header=BB6_10310 Depth=3
	s_or_b64 exec, exec, s[30:31]
	s_and_saveexec_b64 vcc, s[26:27]
; %bb.10332:                            ;   in Loop: Header=BB6_10310 Depth=3
	v_accvgpr_read_b32 v2, a20
	v_accvgpr_read_b32 v3, a21
	v_mul_lo_u32 v1, v51, v2
	v_mul_lo_u32 v5, v0, v3
	v_mad_u64_u32 v[2:3], s[26:27], v0, v2, 0
	v_add3_u32 v3, v3, v5, v1
; %bb.10333:                            ;   in Loop: Header=BB6_10310 Depth=3
	s_or_b64 exec, exec, vcc
	v_accvgpr_read_b32 v0, a22
	v_accvgpr_read_b32 v1, a23
	v_add_co_u32_e32 v0, vcc, v0, v2
	v_addc_co_u32_e32 v1, vcc, v1, v3, vcc
	s_trap 2
	ds_write_b64 v0, v[0:1]
	v_and_b32_e32 v0, 0x2000, v46
	v_cmp_ne_u32_e32 vcc, 0, v0
	s_and_saveexec_b64 s[26:27], vcc
	s_cbranch_execz .LBB6_10335
; %bb.10334:                            ;   in Loop: Header=BB6_10310 Depth=3
	ds_read_b64 v[0:1], v0 offset:584
	s_waitcnt lgkmcnt(0)
	v_add_co_u32_e32 v0, vcc, 1, v0
	v_addc_co_u32_e32 v1, vcc, 0, v1, vcc
	ds_write_b64 v0, v[0:1] offset:584
.LBB6_10335:                            ;   in Loop: Header=BB6_10310 Depth=3
	s_or_b64 exec, exec, s[26:27]
	v_add_co_u32_e32 v58, vcc, 2, v58
	v_addc_co_u32_e32 v59, vcc, 0, v59, vcc
.LBB6_10336:                            ;   in Loop: Header=BB6_10310 Depth=3
	s_or_b64 exec, exec, s[28:29]
	s_and_saveexec_b64 s[26:27], s[10:11]
	s_cbranch_execz .LBB6_10355
; %bb.10337:                            ;   in Loop: Header=BB6_10310 Depth=3
	s_and_saveexec_b64 s[28:29], s[44:45]
	s_xor_b64 s[28:29], exec, s[28:29]
	s_cbranch_execz .LBB6_10352
; %bb.10338:                            ;   in Loop: Header=BB6_10310 Depth=3
	s_and_saveexec_b64 s[30:31], s[16:17]
	s_cbranch_execz .LBB6_10351
; %bb.10339:                            ;   in Loop: Header=BB6_10310 Depth=3
	s_mov_b64 s[64:65], exec
	v_mbcnt_lo_u32_b32 v0, s64, 0
	v_mbcnt_hi_u32_b32 v0, s65, v0
	v_cmp_eq_u32_e32 vcc, 0, v0
	s_waitcnt vmcnt(0) lgkmcnt(0)
	buffer_wbinvl1_vol
	s_and_saveexec_b64 s[34:35], vcc
	s_cbranch_execz .LBB6_10341
; %bb.10340:                            ;   in Loop: Header=BB6_10310 Depth=3
	s_bcnt1_i32_b64 vcc_lo, s[64:65]
	v_mov_b32_e32 v50, vcc_lo
	ds_add_u64 v0, v[50:51]
	s_trap 2
.LBB6_10341:                            ;   in Loop: Header=BB6_10310 Depth=3
	s_or_b64 exec, exec, s[34:35]
	s_trap 2
	ds_read_b64 v[0:1], v0
	v_accvgpr_read_b32 v2, a28
	v_accvgpr_read_b32 v3, a29
	v_add_co_u32_e32 v2, vcc, v2, v40
	v_addc_co_u32_e32 v3, vcc, 0, v3, vcc
	v_accvgpr_write_b32 a29, v3
	v_accvgpr_write_b32 a28, v2
	s_waitcnt lgkmcnt(0)
	v_cmp_lt_u64_e32 vcc, v[0:1], v[2:3]
	s_and_saveexec_b64 s[34:35], vcc
	s_cbranch_execz .LBB6_10350
; %bb.10342:                            ;   in Loop: Header=BB6_10310 Depth=3
	s_mov_b32 s76, 0
	s_mov_b64 s[64:65], 0
                                        ; implicit-def: $sgpr66_sgpr67
                                        ; implicit-def: $sgpr68_sgpr69
	s_branch .LBB6_10344
.LBB6_10343:                            ;   in Loop: Header=BB6_10344 Depth=4
	s_or_b64 exec, exec, s[72:73]
	s_and_b64 vcc, exec, vcc
	s_or_b64 s[64:65], vcc, s[64:65]
	s_andn2_b64 vcc, s[66:67], exec
	s_and_b64 s[50:51], s[68:69], exec
	s_or_b64 s[66:67], vcc, s[50:51]
	s_andn2_b64 exec, exec, s[64:65]
	s_cbranch_execz .LBB6_10348
.LBB6_10344:                            ;   Parent Loop BB6_47 Depth=1
                                        ;     Parent Loop BB6_10307 Depth=2
                                        ;       Parent Loop BB6_10310 Depth=3
                                        ; =>      This Inner Loop Header: Depth=4
	s_add_i32 s76, s76, 1
	s_cmpk_lg_i32 s76, 0x2710
	s_cselect_b64 s[70:71], -1, 0
	s_and_b64 vcc, exec, s[70:71]
                                        ; implicit-def: $sgpr72_sgpr73
	s_cbranch_vccnz .LBB6_10346
; %bb.10345:                            ;   in Loop: Header=BB6_10344 Depth=4
	s_trap 2
	ds_read_b64 v[0:1], v0
	s_andn2_b64 s[50:51], s[70:71], exec
	s_mov_b32 s76, 0
	s_mov_b64 s[72:73], -1
	s_waitcnt lgkmcnt(0)
	flat_load_dword v0, v[0:1] glc
	s_waitcnt vmcnt(0) lgkmcnt(0)
	buffer_invl2
	buffer_wbinvl1_vol
	v_cmp_eq_u32_e32 vcc, 0, v0
	s_and_b64 vcc, vcc, exec
	s_or_b64 s[70:71], s[50:51], vcc
.LBB6_10346:                            ;   in Loop: Header=BB6_10344 Depth=4
	s_andn2_b64 s[50:51], s[68:69], exec
	s_and_b64 s[68:69], s[72:73], exec
	s_mov_b64 vcc, -1
	s_or_b64 s[68:69], s[50:51], s[68:69]
	s_and_saveexec_b64 s[72:73], s[70:71]
	s_cbranch_execz .LBB6_10343
; %bb.10347:                            ;   in Loop: Header=BB6_10344 Depth=4
	s_sleep 1
	s_trap 2
	ds_read_b64 v[0:1], v0
	v_accvgpr_read_b32 v2, a28
	v_accvgpr_read_b32 v3, a29
	s_andn2_b64 s[68:69], s[68:69], exec
	s_waitcnt lgkmcnt(0)
	v_cmp_ge_u64_e32 vcc, v[0:1], v[2:3]
	s_orn2_b64 vcc, vcc, exec
	s_branch .LBB6_10343
.LBB6_10348:                            ;   in Loop: Header=BB6_10310 Depth=3
	s_or_b64 exec, exec, s[64:65]
	s_and_saveexec_b64 vcc, s[66:67]
	s_xor_b64 vcc, exec, vcc
	s_cbranch_execz .LBB6_10350
; %bb.10349:                            ;   in Loop: Header=BB6_10310 Depth=3
	v_mov_b32_e32 v0, 1
	ds_write_b32 v0, v0
	s_trap 2
.LBB6_10350:                            ;   in Loop: Header=BB6_10310 Depth=3
	s_or_b64 exec, exec, s[34:35]
	;;#ASMSTART
	s_wakeup
	;;#ASMEND
.LBB6_10351:                            ;   in Loop: Header=BB6_10310 Depth=3
	s_or_b64 exec, exec, s[30:31]
.LBB6_10352:                            ;   in Loop: Header=BB6_10310 Depth=3
	s_andn2_saveexec_b64 s[28:29], s[28:29]
	s_cbranch_execz .LBB6_10354
; %bb.10353:                            ;   in Loop: Header=BB6_10310 Depth=3
	s_waitcnt vmcnt(0) lgkmcnt(0)
	buffer_wbinvl1_vol
	s_barrier
.LBB6_10354:                            ;   in Loop: Header=BB6_10310 Depth=3
	s_or_b64 exec, exec, s[28:29]
.LBB6_10355:                            ;   in Loop: Header=BB6_10310 Depth=3
	s_or_b64 exec, exec, s[26:27]
	s_trap 2
	ds_read_b32 v0, v0
	v_and_b32_e32 v1, 0x4000, v46
	v_cmp_ne_u32_e32 vcc, 0, v1
	s_xor_b64 s[26:27], s[6:7], -1
	s_and_b64 s[28:29], s[26:27], vcc
	s_and_saveexec_b64 s[26:27], s[28:29]
	s_cbranch_execz .LBB6_10374
; %bb.10356:                            ;   in Loop: Header=BB6_10310 Depth=3
	s_and_saveexec_b64 s[28:29], s[44:45]
	s_xor_b64 s[28:29], exec, s[28:29]
	s_cbranch_execz .LBB6_10371
; %bb.10357:                            ;   in Loop: Header=BB6_10310 Depth=3
	s_and_saveexec_b64 s[30:31], s[16:17]
	s_cbranch_execz .LBB6_10370
; %bb.10358:                            ;   in Loop: Header=BB6_10310 Depth=3
	s_mov_b64 s[64:65], exec
	v_mbcnt_lo_u32_b32 v1, s64, 0
	v_mbcnt_hi_u32_b32 v1, s65, v1
	v_cmp_eq_u32_e32 vcc, 0, v1
	s_waitcnt vmcnt(0) lgkmcnt(0)
	buffer_wbinvl1_vol
	s_and_saveexec_b64 s[34:35], vcc
	s_cbranch_execz .LBB6_10360
; %bb.10359:                            ;   in Loop: Header=BB6_10310 Depth=3
	s_bcnt1_i32_b64 vcc_lo, s[64:65]
	v_mov_b32_e32 v50, vcc_lo
	ds_add_u64 v0, v[50:51]
	s_trap 2
.LBB6_10360:                            ;   in Loop: Header=BB6_10310 Depth=3
	s_or_b64 exec, exec, s[34:35]
	s_trap 2
	ds_read_b64 v[2:3], v0
	v_accvgpr_read_b32 v6, a28
	v_accvgpr_read_b32 v7, a29
	v_add_co_u32_e32 v6, vcc, v6, v40
	v_addc_co_u32_e32 v7, vcc, 0, v7, vcc
	v_accvgpr_write_b32 a29, v7
	v_accvgpr_write_b32 a28, v6
	s_waitcnt lgkmcnt(0)
	v_cmp_lt_u64_e32 vcc, v[2:3], v[6:7]
	s_and_saveexec_b64 s[34:35], vcc
	s_cbranch_execz .LBB6_10369
; %bb.10361:                            ;   in Loop: Header=BB6_10310 Depth=3
	s_mov_b32 s76, 0
	s_mov_b64 s[64:65], 0
                                        ; implicit-def: $sgpr66_sgpr67
                                        ; implicit-def: $sgpr68_sgpr69
	s_branch .LBB6_10363
.LBB6_10362:                            ;   in Loop: Header=BB6_10363 Depth=4
	s_or_b64 exec, exec, s[72:73]
	s_and_b64 vcc, exec, vcc
	s_or_b64 s[64:65], vcc, s[64:65]
	s_andn2_b64 vcc, s[66:67], exec
	s_and_b64 s[50:51], s[68:69], exec
	s_or_b64 s[66:67], vcc, s[50:51]
	s_andn2_b64 exec, exec, s[64:65]
	s_cbranch_execz .LBB6_10367
.LBB6_10363:                            ;   Parent Loop BB6_47 Depth=1
                                        ;     Parent Loop BB6_10307 Depth=2
                                        ;       Parent Loop BB6_10310 Depth=3
                                        ; =>      This Inner Loop Header: Depth=4
	s_add_i32 s76, s76, 1
	s_cmpk_lg_i32 s76, 0x2710
	s_cselect_b64 s[70:71], -1, 0
	s_and_b64 vcc, exec, s[70:71]
                                        ; implicit-def: $sgpr72_sgpr73
	s_cbranch_vccnz .LBB6_10365
; %bb.10364:                            ;   in Loop: Header=BB6_10363 Depth=4
	s_trap 2
	ds_read_b64 v[2:3], v0
	s_andn2_b64 s[50:51], s[70:71], exec
	s_mov_b32 s76, 0
	s_mov_b64 s[72:73], -1
	s_waitcnt lgkmcnt(0)
	flat_load_dword v1, v[2:3] glc
	s_waitcnt vmcnt(0) lgkmcnt(0)
	buffer_invl2
	buffer_wbinvl1_vol
	v_cmp_eq_u32_e32 vcc, 0, v1
	s_and_b64 vcc, vcc, exec
	s_or_b64 s[70:71], s[50:51], vcc
.LBB6_10365:                            ;   in Loop: Header=BB6_10363 Depth=4
	s_andn2_b64 s[50:51], s[68:69], exec
	s_and_b64 s[68:69], s[72:73], exec
	s_mov_b64 vcc, -1
	s_or_b64 s[68:69], s[50:51], s[68:69]
	s_and_saveexec_b64 s[72:73], s[70:71]
	s_cbranch_execz .LBB6_10362
; %bb.10366:                            ;   in Loop: Header=BB6_10363 Depth=4
	s_sleep 1
	s_trap 2
	ds_read_b64 v[2:3], v0
	v_accvgpr_read_b32 v6, a28
	v_accvgpr_read_b32 v7, a29
	s_andn2_b64 s[68:69], s[68:69], exec
	s_waitcnt lgkmcnt(0)
	v_cmp_ge_u64_e32 vcc, v[2:3], v[6:7]
	s_orn2_b64 vcc, vcc, exec
	s_branch .LBB6_10362
.LBB6_10367:                            ;   in Loop: Header=BB6_10310 Depth=3
	s_or_b64 exec, exec, s[64:65]
	s_and_saveexec_b64 vcc, s[66:67]
	s_xor_b64 vcc, exec, vcc
	s_cbranch_execz .LBB6_10369
; %bb.10368:                            ;   in Loop: Header=BB6_10310 Depth=3
	v_mov_b32_e32 v1, 1
	ds_write_b32 v0, v1
	s_trap 2
.LBB6_10369:                            ;   in Loop: Header=BB6_10310 Depth=3
	s_or_b64 exec, exec, s[34:35]
	;;#ASMSTART
	s_wakeup
	;;#ASMEND
.LBB6_10370:                            ;   in Loop: Header=BB6_10310 Depth=3
	s_or_b64 exec, exec, s[30:31]
.LBB6_10371:                            ;   in Loop: Header=BB6_10310 Depth=3
	s_andn2_saveexec_b64 s[28:29], s[28:29]
	s_cbranch_execz .LBB6_10373
; %bb.10372:                            ;   in Loop: Header=BB6_10310 Depth=3
	s_waitcnt vmcnt(0) lgkmcnt(0)
	buffer_wbinvl1_vol
	s_barrier
.LBB6_10373:                            ;   in Loop: Header=BB6_10310 Depth=3
	s_or_b64 exec, exec, s[28:29]
.LBB6_10374:                            ;   in Loop: Header=BB6_10310 Depth=3
	s_or_b64 exec, exec, s[26:27]
	s_trap 2
	s_waitcnt lgkmcnt(0)
	ds_read_b64 v[2:3], v0
	v_mov_b32_e32 v5, 0
	s_waitcnt lgkmcnt(0)
	v_readfirstlane_b32 s26, v2
	v_readfirstlane_b32 s27, v3
	s_cmp_eq_u64 s[26:27], 0
	s_cselect_b64 s[26:27], -1, 0
	s_or_b64 s[26:27], s[26:27], s[26:27]
	s_and_b64 vcc, exec, s[26:27]
	s_cbranch_vccnz .LBB6_10383
; %bb.10375:                            ;   in Loop: Header=BB6_10310 Depth=3
	s_trap 2
	ds_read_b64 v[2:3], v0
	v_cmp_eq_u32_e64 s[26:27], 0, v0
	v_cndmask_b32_e64 v5, 0, v4, s[26:27]
	s_waitcnt lgkmcnt(0)
	v_cmp_ne_u64_e32 vcc, 0, v[2:3]
	s_cbranch_vccz .LBB6_10395
; %bb.10376:                            ;   in Loop: Header=BB6_10310 Depth=3
	s_mov_b64 s[28:29], -1
	s_and_saveexec_b64 s[26:27], s[20:21]
	s_cbranch_execz .LBB6_10378
; %bb.10377:                            ;   in Loop: Header=BB6_10310 Depth=3
	ds_read_b32 v0, v0 offset:720
	s_waitcnt lgkmcnt(0)
	v_and_b32_e32 v0, 15, v0
	v_cmp_eq_u32_e32 vcc, 0, v0
	s_orn2_b64 s[28:29], vcc, exec
.LBB6_10378:                            ;   in Loop: Header=BB6_10310 Depth=3
	s_or_b64 exec, exec, s[26:27]
	s_and_saveexec_b64 s[26:27], s[22:23]
	s_cbranch_execz .LBB6_10380
; %bb.10379:                            ;   in Loop: Header=BB6_10310 Depth=3
	ds_read_b32 v0, v0 offset:784
	s_waitcnt lgkmcnt(0)
	v_and_b32_e32 v0, 15, v0
	v_cmp_eq_u32_e32 vcc, 0, v0
	s_and_b64 vcc, s[28:29], vcc
	s_andn2_b64 s[28:29], s[28:29], exec
	s_and_b64 vcc, vcc, exec
	s_or_b64 s[28:29], s[28:29], vcc
.LBB6_10380:                            ;   in Loop: Header=BB6_10310 Depth=3
	s_or_b64 exec, exec, s[26:27]
	s_xor_b64 s[28:29], s[28:29], -1
	v_cndmask_b32_e64 v0, 0, 1, s[28:29]
	;;#ASMSTART
	;;#ASMEND
	s_mov_b64 s[26:27], -1
	v_cmp_ne_u32_e32 vcc, 0, v0
	v_mov_b32_e32 v8, 0
	v_mov_b32_e32 v9, v5
	;; [unrolled: 1-line block ×3, first 2 shown]
	v_accvgpr_read_b32 v0, a37
	s_cbranch_vccz .LBB6_10396
; %bb.10381:                            ;   in Loop: Header=BB6_10310 Depth=3
	s_and_saveexec_b64 s[30:31], s[26:27]
	s_cbranch_execnz .LBB6_10411
.LBB6_10382:                            ;   in Loop: Header=BB6_10310 Depth=3
	s_or_b64 exec, exec, s[30:31]
.LBB6_10383:                            ;   in Loop: Header=BB6_10310 Depth=3
	s_and_saveexec_b64 s[26:27], s[10:11]
	s_cbranch_execz .LBB6_10429
.LBB6_10384:                            ;   in Loop: Header=BB6_10310 Depth=3
	s_and_saveexec_b64 s[28:29], s[44:45]
	s_xor_b64 s[28:29], exec, s[28:29]
	s_cbranch_execz .LBB6_10459
; %bb.10385:                            ;   in Loop: Header=BB6_10310 Depth=3
	s_and_saveexec_b64 s[30:31], s[16:17]
	s_cbranch_execz .LBB6_10458
; %bb.10386:                            ;   in Loop: Header=BB6_10310 Depth=3
	s_mov_b64 s[64:65], exec
	v_mbcnt_lo_u32_b32 v0, s64, 0
	v_mbcnt_hi_u32_b32 v0, s65, v0
	v_cmp_eq_u32_e32 vcc, 0, v0
	s_waitcnt vmcnt(0) lgkmcnt(0)
	buffer_wbinvl1_vol
	s_and_saveexec_b64 s[34:35], vcc
	s_cbranch_execz .LBB6_10388
; %bb.10387:                            ;   in Loop: Header=BB6_10310 Depth=3
	s_bcnt1_i32_b64 vcc_lo, s[64:65]
	v_mov_b32_e32 v50, vcc_lo
	ds_add_u64 v0, v[50:51]
	s_trap 2
.LBB6_10388:                            ;   in Loop: Header=BB6_10310 Depth=3
	s_or_b64 exec, exec, s[34:35]
	s_trap 2
	ds_read_b64 v[0:1], v0
	v_accvgpr_read_b32 v2, a28
	v_accvgpr_read_b32 v3, a29
	v_add_co_u32_e32 v2, vcc, v2, v40
	v_addc_co_u32_e32 v3, vcc, 0, v3, vcc
	v_accvgpr_write_b32 a29, v3
	v_accvgpr_write_b32 a28, v2
	s_waitcnt lgkmcnt(0)
	v_cmp_lt_u64_e32 vcc, v[0:1], v[2:3]
	s_and_saveexec_b64 s[34:35], vcc
	s_cbranch_execz .LBB6_10457
; %bb.10389:                            ;   in Loop: Header=BB6_10310 Depth=3
	s_mov_b32 s76, 0
	s_mov_b64 s[64:65], 0
                                        ; implicit-def: $sgpr66_sgpr67
                                        ; implicit-def: $sgpr68_sgpr69
	s_branch .LBB6_10391
.LBB6_10390:                            ;   in Loop: Header=BB6_10391 Depth=4
	s_or_b64 exec, exec, s[72:73]
	s_and_b64 vcc, exec, vcc
	s_or_b64 s[64:65], vcc, s[64:65]
	s_andn2_b64 vcc, s[66:67], exec
	s_and_b64 s[50:51], s[68:69], exec
	s_or_b64 s[66:67], vcc, s[50:51]
	s_andn2_b64 exec, exec, s[64:65]
	s_cbranch_execz .LBB6_10455
.LBB6_10391:                            ;   Parent Loop BB6_47 Depth=1
                                        ;     Parent Loop BB6_10307 Depth=2
                                        ;       Parent Loop BB6_10310 Depth=3
                                        ; =>      This Inner Loop Header: Depth=4
	s_add_i32 s76, s76, 1
	s_cmpk_lg_i32 s76, 0x2710
	s_cselect_b64 s[70:71], -1, 0
	s_and_b64 vcc, exec, s[70:71]
                                        ; implicit-def: $sgpr72_sgpr73
	s_cbranch_vccnz .LBB6_10393
; %bb.10392:                            ;   in Loop: Header=BB6_10391 Depth=4
	s_trap 2
	ds_read_b64 v[0:1], v0
	s_andn2_b64 s[50:51], s[70:71], exec
	s_mov_b32 s76, 0
	s_mov_b64 s[72:73], -1
	s_waitcnt lgkmcnt(0)
	flat_load_dword v0, v[0:1] glc
	s_waitcnt vmcnt(0) lgkmcnt(0)
	buffer_invl2
	buffer_wbinvl1_vol
	v_cmp_eq_u32_e32 vcc, 0, v0
	s_and_b64 vcc, vcc, exec
	s_or_b64 s[70:71], s[50:51], vcc
.LBB6_10393:                            ;   in Loop: Header=BB6_10391 Depth=4
	s_andn2_b64 s[50:51], s[68:69], exec
	s_and_b64 s[68:69], s[72:73], exec
	s_mov_b64 vcc, -1
	s_or_b64 s[68:69], s[50:51], s[68:69]
	s_and_saveexec_b64 s[72:73], s[70:71]
	s_cbranch_execz .LBB6_10390
; %bb.10394:                            ;   in Loop: Header=BB6_10391 Depth=4
	s_sleep 1
	s_trap 2
	ds_read_b64 v[0:1], v0
	v_accvgpr_read_b32 v2, a28
	v_accvgpr_read_b32 v3, a29
	s_andn2_b64 s[68:69], s[68:69], exec
	s_waitcnt lgkmcnt(0)
	v_cmp_ge_u64_e32 vcc, v[0:1], v[2:3]
	s_orn2_b64 vcc, vcc, exec
	s_branch .LBB6_10390
.LBB6_10395:                            ;   in Loop: Header=BB6_10310 Depth=3
	s_cbranch_execnz .LBB6_10422
	s_branch .LBB6_10383
.LBB6_10396:                            ;   in Loop: Header=BB6_10310 Depth=3
	v_ashrrev_i32_e32 v0, 31, v5
	v_lshrrev_b32_e32 v0, 20, v0
	v_add_u32_e32 v0, v5, v0
	v_ashrrev_i32_e32 v8, 12, v0
	v_accvgpr_read_b32 v0, a37
	v_sub_u32_e32 v11, v8, v0
	v_cmp_lt_i32_e32 vcc, 0, v11
	s_and_saveexec_b64 s[26:27], vcc
	s_cbranch_execz .LBB6_10400
; %bb.10397:                            ;   in Loop: Header=BB6_10310 Depth=3
	s_trap 2
	ds_read_b64 v[0:1], v0
	s_mov_b64 s[28:29], 0
	v_accvgpr_read_b32 v9, a39
	v_accvgpr_read_b32 v10, a40
	s_waitcnt lgkmcnt(0)
	ds_read_b128 v[18:21], v0
	buffer_load_dword v6, off, s[0:3], s33 offset:188 ; 4-byte Folded Reload
	buffer_load_dword v7, off, s[0:3], s33 offset:192 ; 4-byte Folded Reload
	s_waitcnt vmcnt(0)
	v_accvgpr_read_b32 v7, a49
	v_add_co_u32_e32 v0, vcc, v0, v6
	v_addc_co_u32_e32 v1, vcc, v1, v7, vcc
	s_waitcnt lgkmcnt(0)
	v_add_co_u32_e32 v2, vcc, v18, v6
	v_addc_co_u32_e32 v3, vcc, v19, v7, vcc
	v_add_co_u32_e32 v6, vcc, v20, v6
	v_addc_co_u32_e32 v7, vcc, v21, v7, vcc
.LBB6_10398:                            ;   Parent Loop BB6_47 Depth=1
                                        ;     Parent Loop BB6_10307 Depth=2
                                        ;       Parent Loop BB6_10310 Depth=3
                                        ; =>      This Inner Loop Header: Depth=4
	global_load_dwordx4 v[18:21], v[0:1], off glc slc
	global_load_dwordx4 v[22:25], v[0:1], off offset:1024 glc slc
	global_load_dwordx4 v[26:29], v[0:1], off offset:2048 glc slc
	;; [unrolled: 1-line block ×3, first 2 shown]
	v_add_co_u32_e32 v0, vcc, v0, v9
	v_addc_co_u32_e32 v1, vcc, v1, v10, vcc
	v_sub_u32_e32 v11, v11, v40
	v_cmp_gt_i32_e32 vcc, 1, v11
	s_or_b64 s[28:29], vcc, s[28:29]
	s_waitcnt vmcnt(3)
	global_store_dwordx4 v[2:3], v[18:21], off glc slc
	s_waitcnt vmcnt(3)
	global_store_dwordx4 v[2:3], v[22:25], off offset:1024 glc slc
	s_waitcnt vmcnt(3)
	global_store_dwordx4 v[2:3], v[26:29], off offset:2048 glc slc
	;; [unrolled: 2-line block ×3, first 2 shown]
	global_store_dwordx4 v[6:7], v[18:21], off glc slc
	global_store_dwordx4 v[6:7], v[22:25], off offset:1024 glc slc
	global_store_dwordx4 v[6:7], v[26:29], off offset:2048 glc slc
	;; [unrolled: 1-line block ×3, first 2 shown]
	v_add_co_u32_e32 v2, vcc, v2, v9
	v_addc_co_u32_e32 v3, vcc, v3, v10, vcc
	v_add_co_u32_e32 v6, vcc, v6, v9
	v_addc_co_u32_e32 v7, vcc, v7, v10, vcc
	s_andn2_b64 exec, exec, s[28:29]
	s_cbranch_execnz .LBB6_10398
; %bb.10399:                            ;   in Loop: Header=BB6_10310 Depth=3
	s_or_b64 exec, exec, s[28:29]
	v_accvgpr_read_b32 v25, a17
	v_accvgpr_read_b32 v24, a16
.LBB6_10400:                            ;   in Loop: Header=BB6_10310 Depth=3
	s_or_b64 exec, exec, s[26:27]
	v_lshlrev_b32_e32 v6, 12, v8
	v_cmp_ne_u32_e32 vcc, v5, v6
	s_mov_b64 s[26:27], 0
	v_mov_b32_e32 v8, 0
                                        ; implicit-def: $vgpr9
                                        ; implicit-def: $vgpr10
                                        ; implicit-def: $vgpr0
	s_and_saveexec_b64 s[64:65], vcc
	s_cbranch_execz .LBB6_10410
; %bb.10401:                            ;   in Loop: Header=BB6_10310 Depth=3
	v_lshlrev_b32_e32 v0, 6, v11
	v_accvgpr_read_b32 v2, a46
	v_sub_u32_e32 v0, v2, v0
	v_ashrrev_i32_e32 v2, 31, v0
	v_lshrrev_b32_e32 v2, 26, v2
	v_add_u32_e32 v2, v0, v2
	v_sub_u32_e32 v1, v5, v6
	v_ashrrev_i32_e32 v3, 6, v2
	v_and_b32_e32 v2, 0xffffffc0, v2
	v_sub_u32_e32 v7, v0, v2
	v_ashrrev_i32_e32 v2, 31, v1
	v_lshrrev_b32_e32 v2, 22, v2
	v_add_u32_e32 v2, v1, v2
	v_and_b32_e32 v18, 0xfffffc00, v2
	v_lshlrev_b32_e32 v0, 4, v7
	v_sub_u32_e32 v20, v1, v18
	v_lshl_add_u32 v0, v3, 10, v0
	v_ashrrev_i32_e32 v8, 10, v2
	v_cmp_lt_i32_e64 s[26:27], 15, v20
	v_sub_u32_e32 v21, v1, v0
	v_addc_co_u32_e64 v1, vcc, 0, v8, s[26:27]
	v_sub_u32_e32 v19, v1, v3
	v_cmp_lt_i32_e32 vcc, 15, v21
	s_and_saveexec_b64 s[66:67], vcc
	s_cbranch_execz .LBB6_10407
; %bb.10402:                            ;   in Loop: Header=BB6_10310 Depth=3
	s_trap 2
	ds_read_b64 v[2:3], v0
	ds_read_b128 v[8:11], v0
	v_add_u32_e32 v12, v0, v6
	v_ashrrev_i32_e32 v13, 31, v12
	s_mov_b64 s[68:69], 0
	s_waitcnt lgkmcnt(0)
	v_add_co_u32_e32 v0, vcc, v2, v12
	v_addc_co_u32_e32 v1, vcc, v3, v13, vcc
	v_add_co_u32_e32 v2, vcc, v8, v12
	v_addc_co_u32_e32 v3, vcc, v9, v13, vcc
	;; [unrolled: 2-line block ×3, first 2 shown]
.LBB6_10403:                            ;   Parent Loop BB6_47 Depth=1
                                        ;     Parent Loop BB6_10307 Depth=2
                                        ;       Parent Loop BB6_10310 Depth=3
                                        ; =>      This Loop Header: Depth=4
                                        ;           Child Loop BB6_10404 Depth 5
	global_load_dwordx4 v[10:13], v[0:1], off glc slc
	s_mov_b64 s[30:31], -1
	s_mov_b64 s[34:35], 0
	s_waitcnt vmcnt(0)
.LBB6_10404:                            ;   Parent Loop BB6_47 Depth=1
                                        ;     Parent Loop BB6_10307 Depth=2
                                        ;       Parent Loop BB6_10310 Depth=3
                                        ;         Parent Loop BB6_10403 Depth=4
                                        ; =>        This Inner Loop Header: Depth=5
	s_cmp_eq_u32 s34, 0
	v_cndmask_b32_e64 v22, 0, 1, s[30:31]
	s_cselect_b64 s[30:31], -1, 0
	s_cmp_eq_u32 s34, 1
	s_cselect_b64 s[34:35], -1, 0
	v_cmp_ne_u32_e64 s[28:29], 1, v22
	v_cndmask_b32_e64 v23, v3, v9, s[34:35]
	v_cndmask_b32_e64 v22, v2, v8, s[34:35]
	global_store_dwordx4 v[22:23], v[10:13], off glc slc
	v_add_co_u32_e32 v22, vcc, 0x400, v22
	v_addc_co_u32_e32 v23, vcc, 0, v23, vcc
	v_cndmask_b32_e64 v9, v9, v23, s[34:35]
	v_cndmask_b32_e64 v8, v8, v22, s[34:35]
	;; [unrolled: 1-line block ×4, first 2 shown]
	s_mov_b64 s[34:35], 1
	s_mov_b64 s[30:31], 0
	s_and_b64 vcc, exec, s[28:29]
	s_cbranch_vccz .LBB6_10404
; %bb.10405:                            ;   in Loop: Header=BB6_10403 Depth=4
	v_accvgpr_read_b32 v10, a38
	v_add_co_u32_e32 v2, vcc, v2, v10
	v_accvgpr_read_b32 v11, a41
	v_addc_co_u32_e32 v3, vcc, v3, v11, vcc
	v_add_co_u32_e32 v8, vcc, v8, v10
	v_addc_co_u32_e32 v9, vcc, v9, v11, vcc
	v_accvgpr_read_b32 v10, a47
	v_add_co_u32_e32 v0, vcc, v10, v0
	v_accvgpr_read_b32 v10, a48
	v_addc_co_u32_e32 v1, vcc, v10, v1, vcc
	v_accvgpr_read_b32 v10, a34
	v_sub_u32_e32 v21, v21, v10
	v_cmp_gt_i32_e32 vcc, 16, v21
	s_or_b64 s[68:69], vcc, s[68:69]
	v_sub_u32_e32 v19, v19, v40
	s_andn2_b64 exec, exec, s[68:69]
	s_cbranch_execnz .LBB6_10403
; %bb.10406:                            ;   in Loop: Header=BB6_10310 Depth=3
	s_or_b64 exec, exec, s[68:69]
.LBB6_10407:                            ;   in Loop: Header=BB6_10310 Depth=3
	s_or_b64 exec, exec, s[66:67]
	v_and_b32_e32 v1, 15, v5
	v_cndmask_b32_e64 v9, v20, v1, s[26:27]
	v_cmp_ne_u32_e32 vcc, 0, v9
	s_mov_b64 s[28:29], 0
	v_mov_b32_e32 v8, 0
                                        ; implicit-def: $vgpr10
                                        ; implicit-def: $vgpr0
	s_and_saveexec_b64 s[30:31], vcc
	s_cbranch_execz .LBB6_10409
; %bb.10408:                            ;   in Loop: Header=BB6_10310 Depth=3
	v_sub_u32_e32 v0, v20, v1
	v_cndmask_b32_e64 v0, 0, v0, s[26:27]
	v_cmp_lt_i32_e32 vcc, 0, v19
	v_add3_u32 v8, v18, v6, v0
	v_cndmask_b32_e32 v0, 0, v40, vcc
	v_sub_u32_e32 v0, v0, v19
	v_lshl_add_u32 v10, v0, 6, v7
	v_ashrrev_i32_e32 v0, 31, v10
	v_lshrrev_b32_e32 v0, 26, v0
	v_add_u32_e32 v0, v10, v0
	s_mov_b64 s[28:29], exec
	v_ashrrev_i32_e32 v0, 6, v0
.LBB6_10409:                            ;   in Loop: Header=BB6_10310 Depth=3
	s_or_b64 exec, exec, s[30:31]
	s_and_b64 s[26:27], s[28:29], exec
.LBB6_10410:                            ;   in Loop: Header=BB6_10310 Depth=3
	s_or_b64 exec, exec, s[64:65]
	s_and_saveexec_b64 s[30:31], s[26:27]
	s_cbranch_execz .LBB6_10382
.LBB6_10411:                            ;   in Loop: Header=BB6_10310 Depth=3
	v_ashrrev_i32_e32 v1, 31, v9
	v_lshrrev_b32_e32 v1, 21, v1
	v_add_u32_e32 v1, v9, v1
	v_ashrrev_i32_e32 v13, 11, v1
	v_sub_u32_e32 v11, v13, v0
	v_ashrrev_i32_e32 v1, 31, v10
	v_cmp_lt_i32_e32 vcc, 0, v11
	v_lshrrev_b32_e32 v12, 26, v1
	s_and_saveexec_b64 s[26:27], vcc
	s_cbranch_execz .LBB6_10415
; %bb.10412:                            ;   in Loop: Header=BB6_10310 Depth=3
	s_trap 2
	ds_read_b64 v[6:7], v0
	ds_read_b128 v[18:21], v0
	v_add_u32_e32 v1, v10, v12
	v_and_b32_e32 v1, 0xffffffc0, v1
	v_sub_u32_e32 v1, v10, v1
	v_lshlrev_b32_e32 v0, 11, v0
	v_add3_u32 v22, v8, v1, v0
	v_ashrrev_i32_e32 v23, 31, v22
	s_waitcnt lgkmcnt(0)
	v_add_co_u32_e32 v0, vcc, v18, v22
	v_addc_co_u32_e32 v1, vcc, v19, v23, vcc
	v_add_co_u32_e32 v2, vcc, v20, v22
	v_addc_co_u32_e32 v3, vcc, v21, v23, vcc
	;; [unrolled: 2-line block ×4, first 2 shown]
	s_mov_b64 s[28:29], 0
	v_accvgpr_read_b32 v43, a42
	v_accvgpr_read_b32 v44, a43
.LBB6_10413:                            ;   Parent Loop BB6_47 Depth=1
                                        ;     Parent Loop BB6_10307 Depth=2
                                        ;       Parent Loop BB6_10310 Depth=3
                                        ; =>      This Inner Loop Header: Depth=4
	v_add_co_u32_e32 v18, vcc, 0xfffff840, v6
	v_addc_co_u32_e32 v19, vcc, -1, v7, vcc
	v_add_co_u32_e32 v20, vcc, 0xfffff880, v6
	v_addc_co_u32_e32 v21, vcc, -1, v7, vcc
	flat_load_ubyte v18, v[18:19] glc slc
	s_nop 0
	flat_load_ubyte v19, v[20:21] glc slc
	v_add_co_u32_e32 v20, vcc, 0xfffff8c0, v6
	v_addc_co_u32_e32 v21, vcc, -1, v7, vcc
	v_add_co_u32_e32 v22, vcc, 0xfffff900, v6
	v_addc_co_u32_e32 v23, vcc, -1, v7, vcc
	flat_load_ubyte v20, v[20:21] glc slc
	s_nop 0
	flat_load_ubyte v21, v[22:23] glc slc
	;; [unrolled: 7-line block ×12, first 2 shown]
	v_add_co_u32_e32 v52, vcc, s79, v6
	v_addc_co_u32_e32 v53, vcc, -1, v7, vcc
	flat_load_ubyte v50, v[52:53] glc slc
	v_add_co_u32_e32 v52, vcc, s40, v6
	v_addc_co_u32_e32 v53, vcc, -1, v7, vcc
	v_add_co_u32_e32 v54, vcc, s41, v6
	v_addc_co_u32_e32 v55, vcc, -1, v7, vcc
	flat_load_ubyte v52, v[52:53] glc slc
	s_nop 0
	flat_load_ubyte v53, v[54:55] glc slc
	v_add_co_u32_e32 v54, vcc, s14, v6
	v_addc_co_u32_e32 v55, vcc, -1, v7, vcc
	v_add_co_u32_e32 v40, vcc, s15, v6
	v_addc_co_u32_e32 v41, vcc, -1, v7, vcc
	flat_load_ubyte v54, v[54:55] glc slc
	s_nop 0
	flat_load_ubyte v55, v[40:41] glc slc
	v_add_co_u32_e32 v40, vcc, s94, v6
	v_addc_co_u32_e32 v41, vcc, -1, v7, vcc
	flat_load_ubyte v42, v[40:41] glc slc
	v_add_co_u32_e32 v40, vcc, s80, v6
	v_addc_co_u32_e32 v41, vcc, -1, v7, vcc
	flat_load_ubyte v40, v[40:41] glc slc
	s_nop 0
	flat_load_ubyte v41, v[6:7] glc slc
	s_waitcnt vmcnt(0) lgkmcnt(0)
	flat_store_byte v[0:1], v18 glc slc
	flat_store_byte v[0:1], v19 offset:64 glc slc
	flat_store_byte v[0:1], v20 offset:128 glc slc
	;; [unrolled: 1-line block ×31, first 2 shown]
	flat_store_byte v[2:3], v18 glc slc
	flat_store_byte v[2:3], v19 offset:64 glc slc
	flat_store_byte v[2:3], v20 offset:128 glc slc
	;; [unrolled: 1-line block ×31, first 2 shown]
	v_add_co_u32_e32 v0, vcc, v0, v43
	v_addc_co_u32_e32 v1, vcc, v1, v44, vcc
	v_add_co_u32_e32 v2, vcc, v2, v43
	v_addc_co_u32_e32 v3, vcc, v3, v44, vcc
	v_accvgpr_read_b32 v40, a30
	v_add_co_u32_e32 v6, vcc, v6, v43
	v_sub_u32_e32 v11, v11, v40
	v_addc_co_u32_e32 v7, vcc, v7, v44, vcc
	v_cmp_gt_i32_e32 vcc, 1, v11
	s_or_b64 s[28:29], vcc, s[28:29]
	s_andn2_b64 exec, exec, s[28:29]
	s_cbranch_execnz .LBB6_10413
; %bb.10414:                            ;   in Loop: Header=BB6_10310 Depth=3
	s_or_b64 exec, exec, s[28:29]
	v_accvgpr_read_b32 v25, a17
	v_accvgpr_read_b32 v24, a16
.LBB6_10415:                            ;   in Loop: Header=BB6_10310 Depth=3
	s_or_b64 exec, exec, s[26:27]
	v_lshlrev_b32_e32 v0, 11, v13
	v_cmp_ne_u32_e32 vcc, v9, v0
	s_and_saveexec_b64 s[34:35], vcc
	s_cbranch_execz .LBB6_10421
; %bb.10416:                            ;   in Loop: Header=BB6_10310 Depth=3
	v_add_u32_e32 v1, v10, v12
	v_and_b32_e32 v1, 0xffffffc0, v1
	v_sub_u32_e32 v1, v10, v1
	v_lshlrev_b32_e32 v2, 6, v11
	v_sub_u32_e32 v1, v1, v2
	v_add_u32_e32 v0, v0, v1
	v_sub_u32_e32 v6, v9, v0
	v_cmp_lt_i32_e32 vcc, 0, v6
	s_and_b64 exec, exec, vcc
	s_cbranch_execz .LBB6_10421
; %bb.10417:                            ;   in Loop: Header=BB6_10310 Depth=3
	s_trap 2
	ds_read_b64 v[2:3], v0
	v_add_u32_e32 v7, v0, v8
	ds_read_b128 v[8:11], v0
	v_ashrrev_i32_e32 v12, 31, v7
	s_mov_b64 s[64:65], 0
	s_waitcnt lgkmcnt(0)
	v_add_co_u32_e32 v0, vcc, v2, v7
	v_addc_co_u32_e32 v1, vcc, v3, v12, vcc
	v_add_co_u32_e32 v2, vcc, v8, v7
	v_addc_co_u32_e32 v3, vcc, v9, v12, vcc
	;; [unrolled: 2-line block ×3, first 2 shown]
.LBB6_10418:                            ;   Parent Loop BB6_47 Depth=1
                                        ;     Parent Loop BB6_10307 Depth=2
                                        ;       Parent Loop BB6_10310 Depth=3
                                        ; =>      This Loop Header: Depth=4
                                        ;           Child Loop BB6_10419 Depth 5
	flat_load_ubyte v7, v[0:1] glc slc
	s_mov_b64 s[66:67], -1
	s_mov_b64 s[68:69], 0
	s_waitcnt vmcnt(0)
.LBB6_10419:                            ;   Parent Loop BB6_47 Depth=1
                                        ;     Parent Loop BB6_10307 Depth=2
                                        ;       Parent Loop BB6_10310 Depth=3
                                        ;         Parent Loop BB6_10418 Depth=4
                                        ; =>        This Inner Loop Header: Depth=5
	s_cmp_eq_u32 s68, 1
	s_cselect_b64 vcc, -1, 0
	v_cndmask_b32_e32 v11, v3, v9, vcc
	v_cndmask_b32_e32 v10, v2, v8, vcc
	s_waitcnt lgkmcnt(0)
	flat_store_byte v[10:11], v7 glc slc
	v_add_co_u32_e64 v10, s[26:27], 64, v10
	s_cmp_eq_u32 s68, 0
	v_addc_co_u32_e64 v11, s[26:27], 0, v11, s[26:27]
	s_cselect_b64 s[26:27], -1, 0
	s_and_b64 s[28:29], exec, s[66:67]
	s_mov_b64 s[68:69], 1
	s_mov_b64 s[66:67], 0
	v_cndmask_b32_e32 v9, v9, v11, vcc
	v_cndmask_b32_e32 v8, v8, v10, vcc
	v_cndmask_b32_e64 v3, v3, v11, s[26:27]
	v_cndmask_b32_e64 v2, v2, v10, s[26:27]
	s_mov_b64 vcc, s[28:29]
	s_cbranch_vccnz .LBB6_10419
; %bb.10420:                            ;   in Loop: Header=BB6_10418 Depth=4
	v_accvgpr_read_b32 v10, a36
	v_add_co_u32_e32 v2, vcc, v2, v10
	v_accvgpr_read_b32 v7, a35
	v_addc_co_u32_e32 v3, vcc, v3, v7, vcc
	v_add_co_u32_e32 v8, vcc, v8, v10
	v_addc_co_u32_e32 v9, vcc, v9, v7, vcc
	v_accvgpr_read_b32 v7, a31
	v_sub_u32_e32 v6, v6, v7
	v_cmp_gt_i32_e32 vcc, 1, v6
	v_accvgpr_read_b32 v7, a44
	s_or_b64 s[64:65], vcc, s[64:65]
	v_add_co_u32_e32 v0, vcc, v7, v0
	v_accvgpr_read_b32 v7, a45
	v_addc_co_u32_e32 v1, vcc, v7, v1, vcc
	s_andn2_b64 exec, exec, s[64:65]
	s_cbranch_execnz .LBB6_10418
.LBB6_10421:                            ;   in Loop: Header=BB6_10310 Depth=3
	s_or_b64 exec, exec, s[34:35]
	s_or_b64 exec, exec, s[30:31]
	s_branch .LBB6_10383
.LBB6_10422:                            ;   in Loop: Header=BB6_10310 Depth=3
	s_mov_b64 s[26:27], -1
	s_and_saveexec_b64 s[28:29], s[20:21]
	s_cbranch_execz .LBB6_10424
; %bb.10423:                            ;   in Loop: Header=BB6_10310 Depth=3
	ds_read_b32 v0, v0 offset:720
	s_waitcnt lgkmcnt(0)
	v_and_b32_e32 v0, 15, v0
	v_cmp_eq_u32_e32 vcc, 0, v0
	s_orn2_b64 s[26:27], vcc, exec
.LBB6_10424:                            ;   in Loop: Header=BB6_10310 Depth=3
	s_or_b64 exec, exec, s[28:29]
	s_and_saveexec_b64 s[28:29], s[18:19]
	s_cbranch_execz .LBB6_10426
; %bb.10425:                            ;   in Loop: Header=BB6_10310 Depth=3
	ds_read_b32 v0, v0 offset:784
	s_waitcnt lgkmcnt(0)
	v_and_b32_e32 v0, 15, v0
	v_cmp_eq_u32_e32 vcc, 0, v0
	s_and_b64 vcc, s[26:27], vcc
	s_andn2_b64 s[26:27], s[26:27], exec
	s_and_b64 vcc, vcc, exec
	s_or_b64 s[26:27], s[26:27], vcc
.LBB6_10426:                            ;   in Loop: Header=BB6_10310 Depth=3
	s_or_b64 exec, exec, s[28:29]
	s_xor_b64 s[26:27], s[26:27], -1
	v_cndmask_b32_e64 v0, 0, 1, s[26:27]
	s_mov_b64 s[30:31], -1
	;;#ASMSTART
	;;#ASMEND
	v_cmp_ne_u32_e32 vcc, 0, v0
	v_mov_b32_e32 v10, 0
	v_mov_b32_e32 v11, v5
	;; [unrolled: 1-line block ×3, first 2 shown]
	v_accvgpr_read_b32 v2, a37
	s_cbranch_vccz .LBB6_10433
; %bb.10427:                            ;   in Loop: Header=BB6_10310 Depth=3
	s_and_saveexec_b64 s[26:27], s[30:31]
	s_cbranch_execnz .LBB6_10446
.LBB6_10428:                            ;   in Loop: Header=BB6_10310 Depth=3
	s_or_b64 exec, exec, s[26:27]
	s_and_saveexec_b64 s[26:27], s[10:11]
	s_cbranch_execnz .LBB6_10384
.LBB6_10429:                            ;   in Loop: Header=BB6_10310 Depth=3
	s_or_b64 exec, exec, s[26:27]
                                        ; implicit-def: $vgpr0
	s_and_saveexec_b64 s[26:27], s[24:25]
	s_xor_b64 s[28:29], exec, s[26:27]
	s_cbranch_execz .LBB6_10462
.LBB6_10430:                            ;   in Loop: Header=BB6_10310 Depth=3
	v_and_b32_e32 v1, 16, v46
	v_cmp_lt_i32_e32 vcc, 0, v5
	v_cmp_ne_u32_e64 s[26:27], 0, v1
	v_and_b32_e32 v0, 16, v46
	s_and_b64 vcc, s[26:27], vcc
	s_and_saveexec_b64 s[26:27], vcc
	s_cbranch_execz .LBB6_10432
; %bb.10431:                            ;   in Loop: Header=BB6_10310 Depth=3
	v_mov_b32_e32 v0, 1
	s_waitcnt vmcnt(0) lgkmcnt(0)
	buffer_wbinvl1_vol
.LBB6_10432:                            ;   in Loop: Header=BB6_10310 Depth=3
	s_or_b64 exec, exec, s[26:27]
	s_andn2_saveexec_b64 s[26:27], s[28:29]
	s_cbranch_execz .LBB6_10481
	s_branch .LBB6_10463
.LBB6_10433:                            ;   in Loop: Header=BB6_10310 Depth=3
	v_ashrrev_i32_e32 v0, 31, v5
	v_lshrrev_b32_e32 v0, 20, v0
	v_add_u32_e32 v0, v5, v0
	v_ashrrev_i32_e32 v6, 12, v0
	v_accvgpr_read_b32 v0, a37
	v_sub_u32_e32 v7, v6, v0
	v_cmp_lt_i32_e32 vcc, 0, v7
	s_and_saveexec_b64 s[26:27], vcc
	s_cbranch_execz .LBB6_10437
; %bb.10434:                            ;   in Loop: Header=BB6_10310 Depth=3
	s_trap 2
	ds_read_b64 v[0:1], v0
	buffer_load_dword v32, off, s[0:3], s33 offset:188 ; 4-byte Folded Reload
	buffer_load_dword v33, off, s[0:3], s33 offset:192 ; 4-byte Folded Reload
	s_mov_b64 s[28:29], 0
	v_accvgpr_read_b32 v30, a39
	v_accvgpr_read_b32 v31, a40
	s_waitcnt lgkmcnt(0)
	v_pk_mov_b32 v[2:3], v[0:1], v[0:1] op_sel:[0,1]
	s_waitcnt vmcnt(0)
	v_accvgpr_read_b32 v33, a49
.LBB6_10435:                            ;   Parent Loop BB6_47 Depth=1
                                        ;     Parent Loop BB6_10307 Depth=2
                                        ;       Parent Loop BB6_10310 Depth=3
                                        ; =>      This Inner Loop Header: Depth=4
	v_add_co_u32_e32 v12, vcc, v32, v2
	v_addc_co_u32_e32 v13, vcc, v33, v3, vcc
	global_load_dwordx4 v[8:11], v[12:13], off glc slc
	global_load_dwordx4 v[18:21], v[12:13], off offset:1024 glc slc
	global_load_dwordx4 v[22:25], v[12:13], off offset:2048 glc slc
	global_load_dwordx4 v[26:29], v[12:13], off offset:3072 glc slc
	v_add_co_u32_e32 v12, vcc, v32, v0
	v_addc_co_u32_e32 v13, vcc, v33, v1, vcc
	v_add_co_u32_e32 v2, vcc, v2, v30
	v_addc_co_u32_e32 v3, vcc, v3, v31, vcc
	v_add_co_u32_e32 v0, vcc, v0, v30
	v_sub_u32_e32 v7, v7, v40
	v_addc_co_u32_e32 v1, vcc, v1, v31, vcc
	v_cmp_gt_i32_e32 vcc, 1, v7
	s_or_b64 s[28:29], vcc, s[28:29]
	s_waitcnt vmcnt(3)
	global_store_dwordx4 v[12:13], v[8:11], off glc slc
	s_waitcnt vmcnt(3)
	global_store_dwordx4 v[12:13], v[18:21], off offset:1024 glc slc
	s_waitcnt vmcnt(3)
	global_store_dwordx4 v[12:13], v[22:25], off offset:2048 glc slc
	;; [unrolled: 2-line block ×3, first 2 shown]
	s_andn2_b64 exec, exec, s[28:29]
	s_cbranch_execnz .LBB6_10435
; %bb.10436:                            ;   in Loop: Header=BB6_10310 Depth=3
	s_or_b64 exec, exec, s[28:29]
	v_accvgpr_read_b32 v25, a17
	v_accvgpr_read_b32 v24, a16
.LBB6_10437:                            ;   in Loop: Header=BB6_10310 Depth=3
	s_or_b64 exec, exec, s[26:27]
	v_lshlrev_b32_e32 v6, 12, v6
	v_cmp_ne_u32_e32 vcc, v5, v6
	s_mov_b64 s[30:31], 0
	v_mov_b32_e32 v10, 0
                                        ; implicit-def: $vgpr11
                                        ; implicit-def: $vgpr12
                                        ; implicit-def: $vgpr2
	s_and_saveexec_b64 s[28:29], vcc
	s_cbranch_execz .LBB6_10445
; %bb.10438:                            ;   in Loop: Header=BB6_10310 Depth=3
	v_lshlrev_b32_e32 v1, 6, v7
	v_accvgpr_read_b32 v2, a46
	v_sub_u32_e32 v1, v2, v1
	v_ashrrev_i32_e32 v2, 31, v1
	v_lshrrev_b32_e32 v2, 26, v2
	v_add_u32_e32 v2, v1, v2
	v_ashrrev_i32_e32 v3, 6, v2
	v_and_b32_e32 v2, 0xffffffc0, v2
	v_sub_u32_e32 v7, v1, v2
	v_sub_u32_e32 v0, v5, v6
	v_lshlrev_b32_e32 v1, 4, v7
	v_lshl_add_u32 v2, v3, 10, v1
	v_ashrrev_i32_e32 v1, 31, v0
	v_lshrrev_b32_e32 v1, 22, v1
	v_add_u32_e32 v1, v0, v1
	v_and_b32_e32 v8, 0xfffffc00, v1
	v_sub_u32_e32 v13, v0, v8
	v_ashrrev_i32_e32 v9, 10, v1
	v_cmp_lt_i32_e32 vcc, 15, v13
	v_sub_u32_e32 v10, v0, v2
	v_addc_co_u32_e64 v0, s[26:27], 0, v9, vcc
	v_sub_u32_e32 v9, v0, v3
	v_cmp_lt_i32_e64 s[26:27], 15, v10
	s_and_saveexec_b64 s[30:31], s[26:27]
	s_cbranch_execz .LBB6_10442
; %bb.10439:                            ;   in Loop: Header=BB6_10310 Depth=3
	s_trap 2
	ds_read_b64 v[0:1], v0
	v_add_u32_e32 v2, v2, v6
	v_ashrrev_i32_e32 v3, 31, v2
	s_mov_b64 s[34:35], 0
	v_accvgpr_read_b32 v11, a34
	v_accvgpr_read_b32 v12, a47
	;; [unrolled: 1-line block ×3, first 2 shown]
.LBB6_10440:                            ;   Parent Loop BB6_47 Depth=1
                                        ;     Parent Loop BB6_10307 Depth=2
                                        ;       Parent Loop BB6_10310 Depth=3
                                        ; =>      This Inner Loop Header: Depth=4
	s_waitcnt lgkmcnt(0)
	v_add_co_u32_e64 v22, s[26:27], v0, v2
	v_addc_co_u32_e64 v23, s[26:27], v1, v3, s[26:27]
	global_load_dwordx4 v[18:21], v[22:23], off glc slc
	v_add_co_u32_e64 v2, s[26:27], v2, v12
	v_sub_u32_e32 v10, v10, v11
	v_addc_co_u32_e64 v3, s[26:27], v3, v26, s[26:27]
	v_cmp_gt_i32_e64 s[26:27], 16, v10
	v_sub_u32_e32 v9, v9, v40
	s_or_b64 s[34:35], s[26:27], s[34:35]
	s_waitcnt vmcnt(0)
	global_store_dwordx4 v[22:23], v[18:21], off glc slc
	s_andn2_b64 exec, exec, s[34:35]
	s_cbranch_execnz .LBB6_10440
; %bb.10441:                            ;   in Loop: Header=BB6_10310 Depth=3
	s_or_b64 exec, exec, s[34:35]
.LBB6_10442:                            ;   in Loop: Header=BB6_10310 Depth=3
	s_or_b64 exec, exec, s[30:31]
	v_and_b32_e32 v0, 15, v5
	v_cndmask_b32_e32 v11, v13, v0, vcc
	v_cmp_ne_u32_e64 s[26:27], 0, v11
	s_mov_b64 s[30:31], 0
	v_mov_b32_e32 v10, 0
                                        ; implicit-def: $vgpr12
                                        ; implicit-def: $vgpr2
	s_and_saveexec_b64 s[34:35], s[26:27]
	s_cbranch_execz .LBB6_10444
; %bb.10443:                            ;   in Loop: Header=BB6_10310 Depth=3
	v_sub_u32_e32 v0, v13, v0
	v_cndmask_b32_e32 v0, 0, v0, vcc
	v_cmp_lt_i32_e32 vcc, 0, v9
	v_add3_u32 v10, v8, v6, v0
	v_cndmask_b32_e32 v0, 0, v40, vcc
	v_sub_u32_e32 v0, v0, v9
	v_lshl_add_u32 v12, v0, 6, v7
	v_ashrrev_i32_e32 v0, 31, v12
	v_lshrrev_b32_e32 v0, 26, v0
	v_add_u32_e32 v0, v12, v0
	s_mov_b64 s[30:31], exec
	v_ashrrev_i32_e32 v2, 6, v0
.LBB6_10444:                            ;   in Loop: Header=BB6_10310 Depth=3
	s_or_b64 exec, exec, s[34:35]
	s_and_b64 s[30:31], s[30:31], exec
.LBB6_10445:                            ;   in Loop: Header=BB6_10310 Depth=3
	s_or_b64 exec, exec, s[28:29]
	s_and_saveexec_b64 s[26:27], s[30:31]
	s_cbranch_execz .LBB6_10428
.LBB6_10446:                            ;   in Loop: Header=BB6_10310 Depth=3
	v_ashrrev_i32_e32 v0, 31, v11
	v_lshrrev_b32_e32 v0, 21, v0
	v_add_u32_e32 v0, v11, v0
	v_ashrrev_i32_e32 v18, 11, v0
	v_sub_u32_e32 v13, v18, v2
	v_cmp_lt_i32_e32 vcc, 0, v13
	s_and_saveexec_b64 s[28:29], vcc
	s_cbranch_execz .LBB6_10450
; %bb.10447:                            ;   in Loop: Header=BB6_10310 Depth=3
	v_ashrrev_i32_e32 v3, 31, v12
	s_trap 2
	ds_read_b64 v[0:1], v0
	v_lshrrev_b32_e32 v3, 26, v3
	v_add_u32_e32 v3, v12, v3
	v_and_b32_e32 v3, 0xffffffc0, v3
	v_sub_u32_e32 v3, v12, v3
	v_lshlrev_b32_e32 v2, 11, v2
	v_add3_u32 v2, v10, v3, v2
	v_ashrrev_i32_e32 v3, 31, v2
	s_mov_b64 s[30:31], 0
	s_waitcnt lgkmcnt(0)
	v_pk_mov_b32 v[6:7], v[0:1], v[0:1] op_sel:[0,1]
	v_mov_b32_e32 v44, v40
	v_accvgpr_read_b32 v47, a42
	v_accvgpr_read_b32 v56, a43
.LBB6_10448:                            ;   Parent Loop BB6_47 Depth=1
                                        ;     Parent Loop BB6_10307 Depth=2
                                        ;       Parent Loop BB6_10310 Depth=3
                                        ; =>      This Inner Loop Header: Depth=4
	v_add_co_u32_e32 v8, vcc, v2, v6
	v_addc_co_u32_e32 v9, vcc, v3, v7, vcc
	flat_load_ubyte v19, v[8:9] glc slc
	flat_load_ubyte v20, v[8:9] offset:64 glc slc
	flat_load_ubyte v21, v[8:9] offset:128 glc slc
	;; [unrolled: 1-line block ×31, first 2 shown]
	v_add_co_u32_e32 v8, vcc, v2, v0
	v_addc_co_u32_e32 v9, vcc, v3, v1, vcc
	v_add_co_u32_e32 v6, vcc, v6, v47
	v_addc_co_u32_e32 v7, vcc, v7, v56, vcc
	v_add_co_u32_e32 v0, vcc, v0, v47
	v_sub_u32_e32 v13, v13, v44
	v_addc_co_u32_e32 v1, vcc, v1, v56, vcc
	v_cmp_gt_i32_e32 vcc, 1, v13
	s_or_b64 s[30:31], vcc, s[30:31]
	s_waitcnt vmcnt(0) lgkmcnt(0)
	flat_store_byte v[8:9], v19 glc slc
	flat_store_byte v[8:9], v20 offset:64 glc slc
	flat_store_byte v[8:9], v21 offset:128 glc slc
	flat_store_byte v[8:9], v22 offset:192 glc slc
	flat_store_byte v[8:9], v23 offset:256 glc slc
	flat_store_byte v[8:9], v24 offset:320 glc slc
	flat_store_byte v[8:9], v25 offset:384 glc slc
	flat_store_byte v[8:9], v26 offset:448 glc slc
	flat_store_byte v[8:9], v27 offset:512 glc slc
	flat_store_byte v[8:9], v28 offset:576 glc slc
	flat_store_byte v[8:9], v29 offset:640 glc slc
	flat_store_byte v[8:9], v30 offset:704 glc slc
	flat_store_byte v[8:9], v31 offset:768 glc slc
	flat_store_byte v[8:9], v32 offset:832 glc slc
	flat_store_byte v[8:9], v33 offset:896 glc slc
	flat_store_byte v[8:9], v34 offset:960 glc slc
	flat_store_byte v[8:9], v35 offset:1024 glc slc
	flat_store_byte v[8:9], v36 offset:1088 glc slc
	flat_store_byte v[8:9], v37 offset:1152 glc slc
	flat_store_byte v[8:9], v38 offset:1216 glc slc
	flat_store_byte v[8:9], v39 offset:1280 glc slc
	flat_store_byte v[8:9], v48 offset:1344 glc slc
	flat_store_byte v[8:9], v49 offset:1408 glc slc
	flat_store_byte v[8:9], v50 offset:1472 glc slc
	flat_store_byte v[8:9], v52 offset:1536 glc slc
	flat_store_byte v[8:9], v53 offset:1600 glc slc
	flat_store_byte v[8:9], v54 offset:1664 glc slc
	flat_store_byte v[8:9], v55 offset:1728 glc slc
	flat_store_byte v[8:9], v40 offset:1792 glc slc
	flat_store_byte v[8:9], v41 offset:1856 glc slc
	flat_store_byte v[8:9], v42 offset:1920 glc slc
	flat_store_byte v[8:9], v43 offset:1984 glc slc
	s_andn2_b64 exec, exec, s[30:31]
	s_cbranch_execnz .LBB6_10448
; %bb.10449:                            ;   in Loop: Header=BB6_10310 Depth=3
	s_or_b64 exec, exec, s[30:31]
	v_accvgpr_read_b32 v25, a17
	v_accvgpr_read_b32 v24, a16
	v_mov_b32_e32 v40, v44
.LBB6_10450:                            ;   in Loop: Header=BB6_10310 Depth=3
	s_or_b64 exec, exec, s[28:29]
	v_lshlrev_b32_e32 v0, 11, v18
	v_cmp_ne_u32_e32 vcc, v11, v0
	s_mov_b64 s[28:29], exec
	s_and_b64 vcc, s[28:29], vcc
	v_accvgpr_read_b32 v18, a31
	v_accvgpr_read_b32 v19, a44
	;; [unrolled: 1-line block ×3, first 2 shown]
	s_mov_b64 exec, vcc
	s_cbranch_execz .LBB6_10454
; %bb.10451:                            ;   in Loop: Header=BB6_10310 Depth=3
	v_ashrrev_i32_e32 v1, 31, v12
	v_lshrrev_b32_e32 v1, 26, v1
	v_add_u32_e32 v1, v12, v1
	v_and_b32_e32 v1, 0xffffffc0, v1
	v_sub_u32_e32 v1, v12, v1
	v_lshlrev_b32_e32 v2, 6, v13
	v_sub_u32_e32 v1, v1, v2
	v_add_u32_e32 v2, v0, v1
	v_sub_u32_e32 v6, v11, v2
	v_cmp_lt_i32_e32 vcc, 0, v6
	s_and_b64 exec, exec, vcc
	s_cbranch_execz .LBB6_10454
; %bb.10452:                            ;   in Loop: Header=BB6_10310 Depth=3
	s_trap 2
	ds_read_b64 v[0:1], v0
	v_add_u32_e32 v2, v2, v10
	v_ashrrev_i32_e32 v3, 31, v2
	s_mov_b64 s[30:31], 0
.LBB6_10453:                            ;   Parent Loop BB6_47 Depth=1
                                        ;     Parent Loop BB6_10307 Depth=2
                                        ;       Parent Loop BB6_10310 Depth=3
                                        ; =>      This Inner Loop Header: Depth=4
	s_waitcnt lgkmcnt(0)
	v_add_co_u32_e32 v8, vcc, v0, v2
	v_addc_co_u32_e32 v9, vcc, v1, v3, vcc
	flat_load_ubyte v7, v[8:9] glc slc
	v_add_co_u32_e32 v2, vcc, v2, v19
	v_sub_u32_e32 v6, v6, v18
	v_addc_co_u32_e32 v3, vcc, v3, v20, vcc
	v_cmp_gt_i32_e32 vcc, 1, v6
	s_or_b64 s[30:31], vcc, s[30:31]
	s_waitcnt vmcnt(0) lgkmcnt(0)
	flat_store_byte v[8:9], v7 glc slc
	s_andn2_b64 exec, exec, s[30:31]
	s_cbranch_execnz .LBB6_10453
.LBB6_10454:                            ;   in Loop: Header=BB6_10310 Depth=3
	s_or_b64 exec, exec, s[28:29]
	s_or_b64 exec, exec, s[26:27]
	s_and_saveexec_b64 s[26:27], s[10:11]
	s_cbranch_execnz .LBB6_10384
	s_branch .LBB6_10429
.LBB6_10455:                            ;   in Loop: Header=BB6_10310 Depth=3
	s_or_b64 exec, exec, s[64:65]
	s_and_saveexec_b64 vcc, s[66:67]
	s_xor_b64 vcc, exec, vcc
	s_cbranch_execz .LBB6_10457
; %bb.10456:                            ;   in Loop: Header=BB6_10310 Depth=3
	v_mov_b32_e32 v0, 1
	ds_write_b32 v0, v0
	s_trap 2
.LBB6_10457:                            ;   in Loop: Header=BB6_10310 Depth=3
	s_or_b64 exec, exec, s[34:35]
	;;#ASMSTART
	s_wakeup
	;;#ASMEND
.LBB6_10458:                            ;   in Loop: Header=BB6_10310 Depth=3
	s_or_b64 exec, exec, s[30:31]
.LBB6_10459:                            ;   in Loop: Header=BB6_10310 Depth=3
	s_andn2_saveexec_b64 s[28:29], s[28:29]
	s_cbranch_execz .LBB6_10461
; %bb.10460:                            ;   in Loop: Header=BB6_10310 Depth=3
	s_waitcnt vmcnt(0) lgkmcnt(0)
	buffer_wbinvl1_vol
	s_barrier
.LBB6_10461:                            ;   in Loop: Header=BB6_10310 Depth=3
	s_or_b64 exec, exec, s[28:29]
	s_or_b64 exec, exec, s[26:27]
                                        ; implicit-def: $vgpr0
	s_and_saveexec_b64 s[26:27], s[24:25]
	s_xor_b64 s[28:29], exec, s[26:27]
	s_cbranch_execnz .LBB6_10430
.LBB6_10462:                            ;   in Loop: Header=BB6_10310 Depth=3
	s_andn2_saveexec_b64 s[26:27], s[28:29]
	s_cbranch_execz .LBB6_10481
.LBB6_10463:                            ;   in Loop: Header=BB6_10310 Depth=3
	s_and_saveexec_b64 s[28:29], s[44:45]
	s_xor_b64 s[28:29], exec, s[28:29]
	s_cbranch_execz .LBB6_10478
; %bb.10464:                            ;   in Loop: Header=BB6_10310 Depth=3
	s_and_saveexec_b64 s[30:31], s[16:17]
	s_cbranch_execz .LBB6_10477
; %bb.10465:                            ;   in Loop: Header=BB6_10310 Depth=3
	s_mov_b64 s[64:65], exec
	v_mbcnt_lo_u32_b32 v0, s64, 0
	v_mbcnt_hi_u32_b32 v0, s65, v0
	v_cmp_eq_u32_e32 vcc, 0, v0
	;;#ASMSTART
	s_waitcnt lgkmcnt(0) vmcnt(0)
	;;#ASMEND
	s_and_saveexec_b64 s[34:35], vcc
	s_cbranch_execz .LBB6_10467
; %bb.10466:                            ;   in Loop: Header=BB6_10310 Depth=3
	s_bcnt1_i32_b64 vcc_lo, s[64:65]
	v_mov_b32_e32 v50, vcc_lo
	ds_add_u64 v0, v[50:51]
	s_trap 2
.LBB6_10467:                            ;   in Loop: Header=BB6_10310 Depth=3
	s_or_b64 exec, exec, s[34:35]
	s_trap 2
	ds_read_b64 v[0:1], v0
	v_accvgpr_read_b32 v2, a28
	v_accvgpr_read_b32 v3, a29
	v_add_co_u32_e32 v2, vcc, v2, v40
	v_addc_co_u32_e32 v3, vcc, 0, v3, vcc
	v_accvgpr_write_b32 a29, v3
	v_accvgpr_write_b32 a28, v2
	s_waitcnt lgkmcnt(0)
	v_cmp_lt_u64_e32 vcc, v[0:1], v[2:3]
	s_and_saveexec_b64 s[34:35], vcc
	s_cbranch_execz .LBB6_10476
; %bb.10468:                            ;   in Loop: Header=BB6_10310 Depth=3
	s_mov_b32 s76, 0
	s_mov_b64 s[64:65], 0
                                        ; implicit-def: $sgpr66_sgpr67
                                        ; implicit-def: $sgpr68_sgpr69
	s_branch .LBB6_10470
.LBB6_10469:                            ;   in Loop: Header=BB6_10470 Depth=4
	s_or_b64 exec, exec, s[72:73]
	s_and_b64 vcc, exec, vcc
	s_or_b64 s[64:65], vcc, s[64:65]
	s_andn2_b64 vcc, s[66:67], exec
	s_and_b64 s[50:51], s[68:69], exec
	s_or_b64 s[66:67], vcc, s[50:51]
	s_andn2_b64 exec, exec, s[64:65]
	s_cbranch_execz .LBB6_10474
.LBB6_10470:                            ;   Parent Loop BB6_47 Depth=1
                                        ;     Parent Loop BB6_10307 Depth=2
                                        ;       Parent Loop BB6_10310 Depth=3
                                        ; =>      This Inner Loop Header: Depth=4
	s_add_i32 s76, s76, 1
	s_cmpk_lg_i32 s76, 0x2710
	s_cselect_b64 s[70:71], -1, 0
	s_and_b64 vcc, exec, s[70:71]
                                        ; implicit-def: $sgpr72_sgpr73
	s_cbranch_vccnz .LBB6_10472
; %bb.10471:                            ;   in Loop: Header=BB6_10470 Depth=4
	s_trap 2
	ds_read_b64 v[0:1], v0
	s_andn2_b64 s[50:51], s[70:71], exec
	s_mov_b32 s76, 0
	s_mov_b64 s[72:73], -1
	s_waitcnt vmcnt(0) lgkmcnt(0)
	flat_load_dword v0, v[0:1] glc
	s_waitcnt vmcnt(0) lgkmcnt(0)
	buffer_invl2
	buffer_wbinvl1_vol
	v_cmp_eq_u32_e32 vcc, 0, v0
	s_and_b64 vcc, vcc, exec
	s_or_b64 s[70:71], s[50:51], vcc
.LBB6_10472:                            ;   in Loop: Header=BB6_10470 Depth=4
	s_andn2_b64 s[50:51], s[68:69], exec
	s_and_b64 s[68:69], s[72:73], exec
	s_mov_b64 vcc, -1
	s_or_b64 s[68:69], s[50:51], s[68:69]
	s_and_saveexec_b64 s[72:73], s[70:71]
	s_cbranch_execz .LBB6_10469
; %bb.10473:                            ;   in Loop: Header=BB6_10470 Depth=4
	s_sleep 1
	s_trap 2
	ds_read_b64 v[0:1], v0
	v_accvgpr_read_b32 v2, a28
	v_accvgpr_read_b32 v3, a29
	s_andn2_b64 s[68:69], s[68:69], exec
	s_waitcnt lgkmcnt(0)
	v_cmp_ge_u64_e32 vcc, v[0:1], v[2:3]
	s_orn2_b64 vcc, vcc, exec
	s_branch .LBB6_10469
.LBB6_10474:                            ;   in Loop: Header=BB6_10310 Depth=3
	s_or_b64 exec, exec, s[64:65]
	s_and_saveexec_b64 vcc, s[66:67]
	s_xor_b64 vcc, exec, vcc
	s_cbranch_execz .LBB6_10476
; %bb.10475:                            ;   in Loop: Header=BB6_10310 Depth=3
	v_mov_b32_e32 v0, 1
	ds_write_b32 v0, v0
	s_trap 2
.LBB6_10476:                            ;   in Loop: Header=BB6_10310 Depth=3
	s_or_b64 exec, exec, s[34:35]
	;;#ASMSTART
	s_wakeup
	;;#ASMEND
.LBB6_10477:                            ;   in Loop: Header=BB6_10310 Depth=3
	s_or_b64 exec, exec, s[30:31]
.LBB6_10478:                            ;   in Loop: Header=BB6_10310 Depth=3
	s_andn2_saveexec_b64 s[28:29], s[28:29]
	s_cbranch_execz .LBB6_10480
; %bb.10479:                            ;   in Loop: Header=BB6_10310 Depth=3
	;;#ASMSTART
	s_waitcnt lgkmcnt(0) vmcnt(0)
	;;#ASMEND
	s_barrier
.LBB6_10480:                            ;   in Loop: Header=BB6_10310 Depth=3
	s_or_b64 exec, exec, s[28:29]
	v_and_b32_e32 v0, 16, v46
.LBB6_10481:                            ;   in Loop: Header=BB6_10310 Depth=3
	s_or_b64 exec, exec, s[26:27]
	v_cmp_ne_u32_e32 vcc, 0, v0
	s_xor_b64 s[26:27], s[12:13], -1
	s_and_b64 s[28:29], vcc, s[26:27]
	s_and_saveexec_b64 s[26:27], s[28:29]
	s_cbranch_execz .LBB6_10483
; %bb.10482:                            ;   in Loop: Header=BB6_10310 Depth=3
	v_accvgpr_read_b32 v0, a24
	v_accvgpr_read_b32 v1, a25
	v_mov_b32_e32 v2, 1
	flat_store_dword v[0:1], v2
.LBB6_10483:                            ;   in Loop: Header=BB6_10310 Depth=3
	s_or_b64 exec, exec, s[26:27]
	v_and_b32_e32 v0, 48, v46
	v_cmp_ne_u32_e32 vcc, 0, v0
	s_and_saveexec_b64 s[26:27], vcc
	s_cbranch_execz .LBB6_10309
; %bb.10484:                            ;   in Loop: Header=BB6_10310 Depth=3
	v_add_co_u32_e32 v58, vcc, 2, v58
	v_accvgpr_read_b32 v0, a18
	v_addc_co_u32_e32 v59, vcc, 0, v59, vcc
	v_accvgpr_read_b32 v1, a19
	flat_store_dwordx2 v[0:1], v[58:59]
	s_branch .LBB6_10309
.LBB6_10485:                            ;   in Loop: Header=BB6_10307 Depth=2
	s_or_b64 exec, exec, s[58:59]
	v_cmp_gt_i32_e32 vcc, 2, v2
	s_and_saveexec_b64 s[28:29], vcc
	s_cbranch_execz .LBB6_10559
.LBB6_10486:                            ;   in Loop: Header=BB6_10307 Depth=2
	v_cmp_eq_u32_e64 s[26:27], 0, v2
	s_mov_b64 s[30:31], 0
	s_branch .LBB6_10488
.LBB6_10487:                            ;   in Loop: Header=BB6_10488 Depth=3
	s_or_b64 exec, exec, s[26:27]
	v_add_u32_e32 v15, v4, v15
	s_mov_b64 s[26:27], 0
	s_andn2_b64 exec, exec, s[30:31]
	s_cbranch_execz .LBB6_10560
.LBB6_10488:                            ;   Parent Loop BB6_47 Depth=1
                                        ;     Parent Loop BB6_10307 Depth=2
                                        ; =>    This Loop Header: Depth=3
                                        ;         Child Loop BB6_10494 Depth 4
                                        ;         Child Loop BB6_10524 Depth 4
                                        ;         Child Loop BB6_10543 Depth 4
	v_and_b32_e32 v0, 12, v46
	s_mov_b64 s[58:59], -1
	v_cmp_ne_u32_e32 vcc, 0, v0
	s_and_saveexec_b64 s[34:35], vcc
	s_cbranch_execz .LBB6_10500
; %bb.10489:                            ;   in Loop: Header=BB6_10488 Depth=3
	v_and_b32_e32 v0, 8, v46
	v_accvgpr_read_b32 v2, a26
	v_accvgpr_read_b32 v3, a27
	v_add_co_u32_e32 v6, vcc, v2, v0
	v_addc_co_u32_e32 v7, vcc, 0, v3, vcc
	v_add_co_u32_e32 v2, vcc, 2, v58
	v_addc_co_u32_e32 v3, vcc, 0, v59, vcc
	v_cmp_lt_u64_e32 vcc, v[6:7], v[2:3]
	v_mov_b32_e32 v1, 1
	s_and_saveexec_b64 s[58:59], vcc
	s_cbranch_execz .LBB6_10499
; %bb.10490:                            ;   in Loop: Header=BB6_10488 Depth=3
	s_mov_b64 s[60:61], 0
	v_mov_b32_e32 v1, 0
                                        ; implicit-def: $sgpr62_sgpr63
	s_branch .LBB6_10494
.LBB6_10491:                            ;   in Loop: Header=BB6_10494 Depth=4
	s_or_b64 exec, exec, s[70:71]
	v_mov_b32_e32 v5, 0
	s_orn2_b64 s[68:69], s[68:69], exec
.LBB6_10492:                            ;   in Loop: Header=BB6_10494 Depth=4
	s_or_b64 exec, exec, s[66:67]
	s_andn2_b64 vcc, s[62:63], exec
	s_and_b64 s[50:51], s[68:69], exec
	s_or_b64 s[62:63], vcc, s[50:51]
	v_mov_b32_e32 v1, v5
.LBB6_10493:                            ;   in Loop: Header=BB6_10494 Depth=4
	s_or_b64 exec, exec, s[64:65]
	s_waitcnt vmcnt(0) lgkmcnt(0)
	v_accvgpr_read_b32 v6, a26
	v_accvgpr_read_b32 v7, a27
	v_add_co_u32_e32 v6, vcc, v6, v0
	v_addc_co_u32_e32 v7, vcc, 0, v7, vcc
	v_cmp_ge_u64_e32 vcc, v[6:7], v[2:3]
	s_xor_b64 s[50:51], s[62:63], -1
	s_or_b64 vcc, s[50:51], vcc
	s_and_b64 vcc, exec, vcc
	s_or_b64 s[60:61], vcc, s[60:61]
	s_andn2_b64 exec, exec, s[60:61]
	s_cbranch_execz .LBB6_10498
.LBB6_10494:                            ;   Parent Loop BB6_47 Depth=1
                                        ;     Parent Loop BB6_10307 Depth=2
                                        ;       Parent Loop BB6_10488 Depth=3
                                        ; =>      This Inner Loop Header: Depth=4
	v_accvgpr_read_b32 v6, a18
	v_accvgpr_read_b32 v7, a19
	s_sleep 1
	flat_load_dwordx2 a[26:27], v[6:7] glc
	v_and_b32_e32 v5, 64, v46
	v_cmp_eq_u32_e32 vcc, 0, v5
	s_andn2_b64 s[62:63], s[62:63], exec
	s_and_saveexec_b64 s[64:65], vcc
	s_cbranch_execz .LBB6_10493
; %bb.10495:                            ;   in Loop: Header=BB6_10494 Depth=4
	v_add_u32_e32 v5, 1, v1
	v_cmp_lt_i32_e32 vcc, s91, v1
	s_mov_b64 s[68:69], -1
	s_and_saveexec_b64 s[66:67], vcc
	s_cbranch_execz .LBB6_10492
; %bb.10496:                            ;   in Loop: Header=BB6_10494 Depth=4
	s_trap 2
	ds_read_b64 v[6:7], v0
	s_waitcnt vmcnt(0) lgkmcnt(0)
	flat_load_dword v1, v[6:7] glc
	s_waitcnt vmcnt(0) lgkmcnt(0)
	buffer_invl2
	buffer_wbinvl1_vol
	v_cmp_ne_u32_e32 vcc, 0, v1
	s_and_saveexec_b64 s[70:71], vcc
	s_cbranch_execz .LBB6_10491
; %bb.10497:                            ;   in Loop: Header=BB6_10494 Depth=4
	v_or_b32_e32 v46, 64, v46
	s_xor_b64 s[68:69], exec, -1
	ds_write_b32 v0, v1
	s_trap 2
	s_branch .LBB6_10491
.LBB6_10498:                            ;   in Loop: Header=BB6_10488 Depth=3
	s_or_b64 exec, exec, s[60:61]
	v_and_b32_e32 v1, 12, v46
.LBB6_10499:                            ;   in Loop: Header=BB6_10488 Depth=3
	s_or_b64 exec, exec, s[58:59]
	v_cmp_eq_u32_e32 vcc, 0, v1
	s_orn2_b64 s[58:59], vcc, exec
	;;#ASMSTART
	s_wakeup
	;;#ASMEND
.LBB6_10500:                            ;   in Loop: Header=BB6_10488 Depth=3
	s_or_b64 exec, exec, s[34:35]
	s_xor_b64 s[26:27], s[26:27], -1
	s_and_b64 s[26:27], exec, s[26:27]
	s_or_b64 s[30:31], s[26:27], s[30:31]
	v_sub_u32_e32 v0, v14, v15
	s_xor_b64 s[26:27], s[58:59], -1
	v_min_i32_e32 v4, v4, v0
	s_and_saveexec_b64 s[34:35], s[26:27]
	s_cbranch_execz .LBB6_10516
; %bb.10501:                            ;   in Loop: Header=BB6_10488 Depth=3
	v_and_b32_e32 v0, 0x108, v46
	v_cmp_ne_u32_e32 vcc, s92, v0
	v_and_b32_e32 v0, 7, v58
	s_and_saveexec_b64 s[26:27], vcc
	s_xor_b64 s[26:27], exec, s[26:27]
	s_andn2_saveexec_b64 s[26:27], s[26:27]
	s_cbranch_execz .LBB6_10503
; %bb.10502:                            ;   in Loop: Header=BB6_10488 Depth=3
	v_mad_u64_u32 v[2:3], vcc, v0, 24, v[24:25]
	v_ashrrev_i32_e32 v5, 31, v4
	flat_store_dwordx2 v[2:3], v[4:5] offset:8
.LBB6_10503:                            ;   in Loop: Header=BB6_10488 Depth=3
	s_or_b64 exec, exec, s[26:27]
	v_and_b32_e32 v1, 0x100, v46
	v_cmp_ne_u32_e32 vcc, 0, v1
	s_mov_b64 s[26:27], -1
                                        ; implicit-def: $vgpr2_vgpr3
	s_and_saveexec_b64 s[58:59], vcc
	s_cbranch_execz .LBB6_10507
; %bb.10504:                            ;   in Loop: Header=BB6_10488 Depth=3
	v_mad_u64_u32 v[6:7], s[26:27], v0, 24, v[24:25]
	v_mov_b32_e32 v2, v7
	v_mad_u64_u32 v[2:3], s[26:27], v51, 24, v[2:3]
	v_mov_b32_e32 v7, v2
	flat_load_dword v1, v[6:7]
                                        ; implicit-def: $vgpr2_vgpr3
	s_waitcnt vmcnt(0) lgkmcnt(0)
	v_cmp_ne_u32_e32 vcc, 1, v1
	v_cmp_eq_u32_e64 s[26:27], 1, v1
	s_and_saveexec_b64 s[60:61], s[26:27]
	s_cbranch_execz .LBB6_10506
; %bb.10505:                            ;   in Loop: Header=BB6_10488 Depth=3
	flat_load_dword v2, v[6:7] offset:4 glc
	s_waitcnt vmcnt(0) lgkmcnt(0)
	v_ashrrev_i32_e32 v3, 31, v2
.LBB6_10506:                            ;   in Loop: Header=BB6_10488 Depth=3
	s_or_b64 exec, exec, s[60:61]
	s_orn2_b64 s[26:27], vcc, exec
.LBB6_10507:                            ;   in Loop: Header=BB6_10488 Depth=3
	s_or_b64 exec, exec, s[58:59]
	s_and_saveexec_b64 vcc, s[26:27]
; %bb.10508:                            ;   in Loop: Header=BB6_10488 Depth=3
	v_accvgpr_read_b32 v2, a20
	v_accvgpr_read_b32 v3, a21
	v_mul_lo_u32 v1, v51, v2
	v_mul_lo_u32 v5, v0, v3
	v_mad_u64_u32 v[2:3], s[26:27], v0, v2, 0
	v_add3_u32 v3, v3, v5, v1
; %bb.10509:                            ;   in Loop: Header=BB6_10488 Depth=3
	s_or_b64 exec, exec, vcc
	v_accvgpr_read_b32 v0, a22
	v_accvgpr_read_b32 v1, a23
	v_add_co_u32_e32 v0, vcc, v0, v2
	v_addc_co_u32_e32 v1, vcc, v1, v3, vcc
	s_trap 2
	ds_write_b64 v0, v[0:1]
	v_and_b32_e32 v0, 0x2000, v46
	v_cmp_ne_u32_e32 vcc, 0, v0
	s_and_saveexec_b64 s[26:27], vcc
	s_cbranch_execz .LBB6_10511
; %bb.10510:                            ;   in Loop: Header=BB6_10488 Depth=3
	ds_read_b64 v[0:1], v0 offset:584
	s_waitcnt lgkmcnt(0)
	v_add_co_u32_e32 v0, vcc, 1, v0
	v_addc_co_u32_e32 v1, vcc, 0, v1, vcc
	ds_write_b64 v0, v[0:1] offset:584
.LBB6_10511:                            ;   in Loop: Header=BB6_10488 Depth=3
	s_or_b64 exec, exec, s[26:27]
	v_add_co_u32_e32 v58, vcc, 2, v58
	v_addc_co_u32_e32 v59, vcc, 0, v59, vcc
	s_or_b64 exec, exec, s[34:35]
	s_and_saveexec_b64 s[26:27], s[10:11]
	s_cbranch_execnz .LBB6_10517
.LBB6_10512:                            ;   in Loop: Header=BB6_10488 Depth=3
	s_or_b64 exec, exec, s[26:27]
                                        ; implicit-def: $vgpr0
	s_and_saveexec_b64 s[26:27], s[24:25]
	s_xor_b64 s[26:27], exec, s[26:27]
	s_cbranch_execz .LBB6_10535
.LBB6_10513:                            ;   in Loop: Header=BB6_10488 Depth=3
	s_trap 2
	ds_read_b32 v1, v0
	v_cmp_lt_i32_e32 vcc, 0, v4
	v_and_b32_e32 v2, 16, v46
	v_and_b32_e32 v0, 16, v46
	s_waitcnt lgkmcnt(0)
	v_readfirstlane_b32 s34, v1
	s_cmp_eq_u32 s34, 0
	s_cselect_b64 s[34:35], -1, 0
	s_and_b64 s[34:35], vcc, s[34:35]
	v_cmp_ne_u32_e32 vcc, 0, v2
	s_and_b64 s[34:35], vcc, s[34:35]
	s_and_saveexec_b64 vcc, s[34:35]
	s_cbranch_execz .LBB6_10515
; %bb.10514:                            ;   in Loop: Header=BB6_10488 Depth=3
	v_mov_b32_e32 v0, 1
	s_waitcnt vmcnt(0)
	buffer_wbinvl1_vol
.LBB6_10515:                            ;   in Loop: Header=BB6_10488 Depth=3
	s_or_b64 exec, exec, vcc
	s_andn2_saveexec_b64 s[26:27], s[26:27]
	s_cbranch_execz .LBB6_10554
	s_branch .LBB6_10536
.LBB6_10516:                            ;   in Loop: Header=BB6_10488 Depth=3
	s_or_b64 exec, exec, s[34:35]
	s_and_saveexec_b64 s[26:27], s[10:11]
	s_cbranch_execz .LBB6_10512
.LBB6_10517:                            ;   in Loop: Header=BB6_10488 Depth=3
	s_and_saveexec_b64 vcc, s[44:45]
	s_xor_b64 s[34:35], exec, vcc
	s_cbranch_execz .LBB6_10532
; %bb.10518:                            ;   in Loop: Header=BB6_10488 Depth=3
	s_and_saveexec_b64 s[58:59], s[16:17]
	s_cbranch_execz .LBB6_10531
; %bb.10519:                            ;   in Loop: Header=BB6_10488 Depth=3
	s_mov_b64 s[62:63], exec
	v_mbcnt_lo_u32_b32 v0, s62, 0
	v_mbcnt_hi_u32_b32 v0, s63, v0
	v_cmp_eq_u32_e32 vcc, 0, v0
	s_waitcnt vmcnt(0) lgkmcnt(0)
	buffer_wbinvl1_vol
	s_and_saveexec_b64 s[60:61], vcc
	s_cbranch_execz .LBB6_10521
; %bb.10520:                            ;   in Loop: Header=BB6_10488 Depth=3
	s_bcnt1_i32_b64 vcc_lo, s[62:63]
	v_mov_b32_e32 v50, vcc_lo
	ds_add_u64 v0, v[50:51]
	s_trap 2
.LBB6_10521:                            ;   in Loop: Header=BB6_10488 Depth=3
	s_or_b64 exec, exec, s[60:61]
	s_trap 2
	ds_read_b64 v[0:1], v0
	v_accvgpr_read_b32 v2, a28
	v_accvgpr_read_b32 v3, a29
	v_add_co_u32_e32 v2, vcc, v2, v40
	v_addc_co_u32_e32 v3, vcc, 0, v3, vcc
	v_accvgpr_write_b32 a29, v3
	v_accvgpr_write_b32 a28, v2
	s_waitcnt lgkmcnt(0)
	v_cmp_lt_u64_e32 vcc, v[0:1], v[2:3]
	s_and_saveexec_b64 s[60:61], vcc
	s_cbranch_execz .LBB6_10530
; %bb.10522:                            ;   in Loop: Header=BB6_10488 Depth=3
	s_mov_b32 s72, 0
	s_mov_b64 s[62:63], 0
                                        ; implicit-def: $sgpr64_sgpr65
                                        ; implicit-def: $sgpr66_sgpr67
	s_branch .LBB6_10524
.LBB6_10523:                            ;   in Loop: Header=BB6_10524 Depth=4
	s_or_b64 exec, exec, s[70:71]
	s_and_b64 vcc, exec, vcc
	s_or_b64 s[62:63], vcc, s[62:63]
	s_andn2_b64 vcc, s[64:65], exec
	s_and_b64 s[50:51], s[66:67], exec
	s_or_b64 s[64:65], vcc, s[50:51]
	s_andn2_b64 exec, exec, s[62:63]
	s_cbranch_execz .LBB6_10528
.LBB6_10524:                            ;   Parent Loop BB6_47 Depth=1
                                        ;     Parent Loop BB6_10307 Depth=2
                                        ;       Parent Loop BB6_10488 Depth=3
                                        ; =>      This Inner Loop Header: Depth=4
	s_add_i32 s72, s72, 1
	s_cmpk_lg_i32 s72, 0x2710
	s_cselect_b64 s[68:69], -1, 0
	s_and_b64 vcc, exec, s[68:69]
                                        ; implicit-def: $sgpr70_sgpr71
	s_cbranch_vccnz .LBB6_10526
; %bb.10525:                            ;   in Loop: Header=BB6_10524 Depth=4
	s_trap 2
	ds_read_b64 v[0:1], v0
	s_andn2_b64 s[50:51], s[68:69], exec
	s_mov_b32 s72, 0
	s_mov_b64 s[70:71], -1
	s_waitcnt lgkmcnt(0)
	flat_load_dword v0, v[0:1] glc
	s_waitcnt vmcnt(0) lgkmcnt(0)
	buffer_invl2
	buffer_wbinvl1_vol
	v_cmp_eq_u32_e32 vcc, 0, v0
	s_and_b64 vcc, vcc, exec
	s_or_b64 s[68:69], s[50:51], vcc
.LBB6_10526:                            ;   in Loop: Header=BB6_10524 Depth=4
	s_andn2_b64 s[50:51], s[66:67], exec
	s_and_b64 s[66:67], s[70:71], exec
	s_mov_b64 vcc, -1
	s_or_b64 s[66:67], s[50:51], s[66:67]
	s_and_saveexec_b64 s[70:71], s[68:69]
	s_cbranch_execz .LBB6_10523
; %bb.10527:                            ;   in Loop: Header=BB6_10524 Depth=4
	s_sleep 1
	s_trap 2
	ds_read_b64 v[0:1], v0
	v_accvgpr_read_b32 v2, a28
	v_accvgpr_read_b32 v3, a29
	s_andn2_b64 s[66:67], s[66:67], exec
	s_waitcnt lgkmcnt(0)
	v_cmp_ge_u64_e32 vcc, v[0:1], v[2:3]
	s_orn2_b64 vcc, vcc, exec
	s_branch .LBB6_10523
.LBB6_10528:                            ;   in Loop: Header=BB6_10488 Depth=3
	s_or_b64 exec, exec, s[62:63]
	s_and_saveexec_b64 vcc, s[64:65]
	s_xor_b64 vcc, exec, vcc
	s_cbranch_execz .LBB6_10530
; %bb.10529:                            ;   in Loop: Header=BB6_10488 Depth=3
	v_mov_b32_e32 v0, 1
	ds_write_b32 v0, v0
	s_trap 2
.LBB6_10530:                            ;   in Loop: Header=BB6_10488 Depth=3
	s_or_b64 exec, exec, s[60:61]
	;;#ASMSTART
	s_wakeup
	;;#ASMEND
.LBB6_10531:                            ;   in Loop: Header=BB6_10488 Depth=3
	s_or_b64 exec, exec, s[58:59]
.LBB6_10532:                            ;   in Loop: Header=BB6_10488 Depth=3
	s_andn2_saveexec_b64 vcc, s[34:35]
	s_cbranch_execz .LBB6_10534
; %bb.10533:                            ;   in Loop: Header=BB6_10488 Depth=3
	s_waitcnt vmcnt(0) lgkmcnt(0)
	buffer_wbinvl1_vol
	s_barrier
.LBB6_10534:                            ;   in Loop: Header=BB6_10488 Depth=3
	s_or_b64 exec, exec, vcc
	s_or_b64 exec, exec, s[26:27]
                                        ; implicit-def: $vgpr0
	s_and_saveexec_b64 s[26:27], s[24:25]
	s_xor_b64 s[26:27], exec, s[26:27]
	s_cbranch_execnz .LBB6_10513
.LBB6_10535:                            ;   in Loop: Header=BB6_10488 Depth=3
	s_andn2_saveexec_b64 s[26:27], s[26:27]
	s_cbranch_execz .LBB6_10554
.LBB6_10536:                            ;   in Loop: Header=BB6_10488 Depth=3
	s_and_saveexec_b64 vcc, s[44:45]
	s_xor_b64 s[34:35], exec, vcc
	s_cbranch_execz .LBB6_10551
; %bb.10537:                            ;   in Loop: Header=BB6_10488 Depth=3
	s_and_saveexec_b64 s[58:59], s[16:17]
	s_cbranch_execz .LBB6_10550
; %bb.10538:                            ;   in Loop: Header=BB6_10488 Depth=3
	s_mov_b64 s[62:63], exec
	v_mbcnt_lo_u32_b32 v0, s62, 0
	v_mbcnt_hi_u32_b32 v0, s63, v0
	v_cmp_eq_u32_e32 vcc, 0, v0
	;;#ASMSTART
	s_waitcnt lgkmcnt(0) vmcnt(0)
	;;#ASMEND
	s_and_saveexec_b64 s[60:61], vcc
	s_cbranch_execz .LBB6_10540
; %bb.10539:                            ;   in Loop: Header=BB6_10488 Depth=3
	s_bcnt1_i32_b64 vcc_lo, s[62:63]
	v_mov_b32_e32 v50, vcc_lo
	ds_add_u64 v0, v[50:51]
	s_trap 2
.LBB6_10540:                            ;   in Loop: Header=BB6_10488 Depth=3
	s_or_b64 exec, exec, s[60:61]
	s_trap 2
	ds_read_b64 v[0:1], v0
	v_accvgpr_read_b32 v2, a28
	v_accvgpr_read_b32 v3, a29
	v_add_co_u32_e32 v2, vcc, v2, v40
	v_addc_co_u32_e32 v3, vcc, 0, v3, vcc
	v_accvgpr_write_b32 a29, v3
	v_accvgpr_write_b32 a28, v2
	s_waitcnt lgkmcnt(0)
	v_cmp_lt_u64_e32 vcc, v[0:1], v[2:3]
	s_and_saveexec_b64 s[60:61], vcc
	s_cbranch_execz .LBB6_10549
; %bb.10541:                            ;   in Loop: Header=BB6_10488 Depth=3
	s_mov_b32 s72, 0
	s_mov_b64 s[62:63], 0
                                        ; implicit-def: $sgpr64_sgpr65
                                        ; implicit-def: $sgpr66_sgpr67
	s_branch .LBB6_10543
.LBB6_10542:                            ;   in Loop: Header=BB6_10543 Depth=4
	s_or_b64 exec, exec, s[70:71]
	s_and_b64 vcc, exec, vcc
	s_or_b64 s[62:63], vcc, s[62:63]
	s_andn2_b64 vcc, s[64:65], exec
	s_and_b64 s[50:51], s[66:67], exec
	s_or_b64 s[64:65], vcc, s[50:51]
	s_andn2_b64 exec, exec, s[62:63]
	s_cbranch_execz .LBB6_10547
.LBB6_10543:                            ;   Parent Loop BB6_47 Depth=1
                                        ;     Parent Loop BB6_10307 Depth=2
                                        ;       Parent Loop BB6_10488 Depth=3
                                        ; =>      This Inner Loop Header: Depth=4
	s_add_i32 s72, s72, 1
	s_cmpk_lg_i32 s72, 0x2710
	s_cselect_b64 s[68:69], -1, 0
	s_and_b64 vcc, exec, s[68:69]
                                        ; implicit-def: $sgpr70_sgpr71
	s_cbranch_vccnz .LBB6_10545
; %bb.10544:                            ;   in Loop: Header=BB6_10543 Depth=4
	s_trap 2
	ds_read_b64 v[0:1], v0
	s_andn2_b64 s[50:51], s[68:69], exec
	s_mov_b32 s72, 0
	s_mov_b64 s[70:71], -1
	s_waitcnt vmcnt(0) lgkmcnt(0)
	flat_load_dword v0, v[0:1] glc
	s_waitcnt vmcnt(0) lgkmcnt(0)
	buffer_invl2
	buffer_wbinvl1_vol
	v_cmp_eq_u32_e32 vcc, 0, v0
	s_and_b64 vcc, vcc, exec
	s_or_b64 s[68:69], s[50:51], vcc
.LBB6_10545:                            ;   in Loop: Header=BB6_10543 Depth=4
	s_andn2_b64 s[50:51], s[66:67], exec
	s_and_b64 s[66:67], s[70:71], exec
	s_mov_b64 vcc, -1
	s_or_b64 s[66:67], s[50:51], s[66:67]
	s_and_saveexec_b64 s[70:71], s[68:69]
	s_cbranch_execz .LBB6_10542
; %bb.10546:                            ;   in Loop: Header=BB6_10543 Depth=4
	s_sleep 1
	s_trap 2
	ds_read_b64 v[0:1], v0
	v_accvgpr_read_b32 v2, a28
	v_accvgpr_read_b32 v3, a29
	s_andn2_b64 s[66:67], s[66:67], exec
	s_waitcnt lgkmcnt(0)
	v_cmp_ge_u64_e32 vcc, v[0:1], v[2:3]
	s_orn2_b64 vcc, vcc, exec
	s_branch .LBB6_10542
.LBB6_10547:                            ;   in Loop: Header=BB6_10488 Depth=3
	s_or_b64 exec, exec, s[62:63]
	s_and_saveexec_b64 vcc, s[64:65]
	s_xor_b64 vcc, exec, vcc
	s_cbranch_execz .LBB6_10549
; %bb.10548:                            ;   in Loop: Header=BB6_10488 Depth=3
	v_mov_b32_e32 v0, 1
	ds_write_b32 v0, v0
	s_trap 2
.LBB6_10549:                            ;   in Loop: Header=BB6_10488 Depth=3
	s_or_b64 exec, exec, s[60:61]
	;;#ASMSTART
	s_wakeup
	;;#ASMEND
.LBB6_10550:                            ;   in Loop: Header=BB6_10488 Depth=3
	s_or_b64 exec, exec, s[58:59]
.LBB6_10551:                            ;   in Loop: Header=BB6_10488 Depth=3
	s_andn2_saveexec_b64 vcc, s[34:35]
	s_cbranch_execz .LBB6_10553
; %bb.10552:                            ;   in Loop: Header=BB6_10488 Depth=3
	;;#ASMSTART
	s_waitcnt lgkmcnt(0) vmcnt(0)
	;;#ASMEND
	s_barrier
.LBB6_10553:                            ;   in Loop: Header=BB6_10488 Depth=3
	s_or_b64 exec, exec, vcc
	v_and_b32_e32 v0, 16, v46
.LBB6_10554:                            ;   in Loop: Header=BB6_10488 Depth=3
	s_or_b64 exec, exec, s[26:27]
	v_cmp_ne_u32_e32 vcc, 0, v0
	s_xor_b64 s[26:27], s[12:13], -1
	s_and_b64 vcc, vcc, s[26:27]
	s_and_saveexec_b64 s[26:27], vcc
	s_cbranch_execz .LBB6_10556
; %bb.10555:                            ;   in Loop: Header=BB6_10488 Depth=3
	v_accvgpr_read_b32 v0, a24
	v_accvgpr_read_b32 v1, a25
	v_mov_b32_e32 v2, 1
	flat_store_dword v[0:1], v2
.LBB6_10556:                            ;   in Loop: Header=BB6_10488 Depth=3
	s_or_b64 exec, exec, s[26:27]
	v_and_b32_e32 v0, 48, v46
	v_cmp_ne_u32_e32 vcc, 0, v0
	s_and_saveexec_b64 s[26:27], vcc
	s_cbranch_execz .LBB6_10487
; %bb.10557:                            ;   in Loop: Header=BB6_10488 Depth=3
	v_add_co_u32_e32 v58, vcc, 2, v58
	v_accvgpr_read_b32 v0, a18
	v_addc_co_u32_e32 v59, vcc, 0, v59, vcc
	v_accvgpr_read_b32 v1, a19
	flat_store_dwordx2 v[0:1], v[58:59]
	s_branch .LBB6_10487
.LBB6_10558:                            ;   in Loop: Header=BB6_10307 Depth=2
	s_or_b64 exec, exec, s[60:61]
	s_or_b64 exec, exec, s[58:59]
	v_cmp_gt_i32_e32 vcc, 2, v2
	s_and_saveexec_b64 s[28:29], vcc
	s_cbranch_execnz .LBB6_10486
.LBB6_10559:                            ;   in Loop: Header=BB6_10307 Depth=2
	s_or_b64 exec, exec, s[28:29]
	s_add_i32 s26, s74, 1
	s_cmp_eq_u32 s74, s90
	s_cbranch_scc0 .LBB6_10561
	s_branch .LBB6_10562
.LBB6_10560:                            ;   in Loop: Header=BB6_10307 Depth=2
	s_or_b64 exec, exec, s[30:31]
	s_or_b64 exec, exec, s[28:29]
	s_add_i32 s26, s74, 1
	s_cmp_eq_u32 s74, s90
	s_cbranch_scc1 .LBB6_10562
.LBB6_10561:                            ;   in Loop: Header=BB6_10307 Depth=2
	s_mov_b32 s74, s26
	s_branch .LBB6_10307
.LBB6_10562:                            ;   in Loop: Header=BB6_47 Depth=1
	buffer_load_dword v4, off, s[0:3], s33 offset:180 ; 4-byte Folded Reload
	buffer_load_dword v5, off, s[0:3], s33 offset:184 ; 4-byte Folded Reload
	v_readlane_b32 s26, v61, 17
	v_readlane_b32 s27, v61, 18
	v_mov_b32_e32 v10, 0
	s_waitcnt vmcnt(0)
	v_mul_lo_u32 v2, v5, s26
	v_mul_lo_u32 v3, v4, s27
	v_mad_u64_u32 v[0:1], s[26:27], v4, s26, 0
	v_add3_u32 v1, v1, v3, v2
	buffer_load_dword v2, off, s[0:3], s33 offset:172 ; 4-byte Folded Reload
	buffer_load_dword v3, off, s[0:3], s33 offset:176 ; 4-byte Folded Reload
	v_readlane_b32 s26, v61, 19
	v_readlane_b32 s27, v61, 20
	s_waitcnt vmcnt(0)
	v_sub_co_u32_e32 v2, vcc, v2, v0
	v_subb_co_u32_e32 v3, vcc, v3, v1, vcc
	v_cmp_lt_i64_e32 vcc, v[4:5], v[2:3]
	v_cndmask_b32_e32 v2, v2, v4, vcc
	v_max_i32_e32 v8, 0, v2
	v_add_u32_e32 v3, 31, v8
	v_lshrrev_b32_e32 v3, 1, v3
	v_and_b32_e32 v3, 0x3ffffff0, v3
	v_cmp_lt_i32_e32 vcc, 0, v2
	v_max_i32_e32 v9, s87, v3
	s_and_b64 s[26:27], s[26:27], vcc
	v_mov_b32_e32 v2, 0
	s_and_saveexec_b64 s[28:29], s[26:27]
	s_cbranch_execz .LBB6_10702
; %bb.10563:                            ;   in Loop: Header=BB6_47 Depth=1
	v_accvgpr_read_b32 v2, a53
	v_add_co_u32_e32 v11, vcc, v0, v2
	v_accvgpr_read_b32 v0, a60
	v_addc_co_u32_e32 v12, vcc, v1, v0, vcc
	s_mov_b32 s74, 1
	s_mov_b64 s[34:35], -1
	s_mov_b64 s[30:31], 0
	v_mov_b32_e32 v10, 0
	s_branch .LBB6_10565
.LBB6_10564:                            ;   in Loop: Header=BB6_10565 Depth=2
	s_or_b64 exec, exec, s[26:27]
	v_add_u32_e32 v10, v9, v10
	v_cmp_ge_i32_e32 vcc, v10, v8
	s_xor_b64 s[26:27], s[34:35], -1
	s_or_b64 s[26:27], s[26:27], vcc
	s_and_b64 s[26:27], exec, s[26:27]
	s_or_b64 s[30:31], s[26:27], s[30:31]
	s_mov_b64 s[34:35], 0
	v_mov_b32_e32 v2, s74
	s_mov_b32 s74, 2
	s_andn2_b64 exec, exec, s[30:31]
	s_cbranch_execz .LBB6_10701
.LBB6_10565:                            ;   Parent Loop BB6_47 Depth=1
                                        ; =>  This Loop Header: Depth=2
                                        ;       Child Loop BB6_10573 Depth 3
                                        ;       Child Loop BB6_10597 Depth 3
	;; [unrolled: 1-line block ×9, first 2 shown]
	s_and_saveexec_b64 s[26:27], s[4:5]
	s_cbranch_execz .LBB6_10567
; %bb.10566:                            ;   in Loop: Header=BB6_10565 Depth=2
	s_trap 2
	ds_read_b128 v[0:3], v0
	v_ashrrev_i32_e32 v4, 31, v10
	s_waitcnt lgkmcnt(0)
	v_add_co_u32_e32 v0, vcc, v0, v11
	v_addc_co_u32_e32 v1, vcc, v1, v12, vcc
	v_add_co_u32_e32 v0, vcc, v0, v10
	v_addc_co_u32_e32 v1, vcc, v1, v4, vcc
	ds_write_b64 v0, v[0:1]
	v_add_co_u32_e32 v0, vcc, v2, v11
	v_addc_co_u32_e32 v1, vcc, v3, v12, vcc
	v_add_co_u32_e32 v0, vcc, v0, v10
	v_addc_co_u32_e32 v1, vcc, v1, v4, vcc
	v_cmp_ne_u64_e32 vcc, 0, v[2:3]
	v_cndmask_b32_e32 v1, 0, v1, vcc
	v_cndmask_b32_e32 v0, 0, v0, vcc
	ds_write_b64 v0, v[0:1]
.LBB6_10567:                            ;   in Loop: Header=BB6_10565 Depth=2
	s_or_b64 exec, exec, s[26:27]
	v_and_b32_e32 v0, 4, v46
	v_cmp_ne_u32_e32 vcc, 0, v0
	s_mov_b64 s[58:59], -1
	s_and_saveexec_b64 s[26:27], vcc
	s_cbranch_execz .LBB6_10577
; %bb.10568:                            ;   in Loop: Header=BB6_10565 Depth=2
	v_add_co_u32_e32 v0, vcc, 2, v58
	v_accvgpr_read_b32 v2, a26
	v_addc_co_u32_e32 v1, vcc, 0, v59, vcc
	v_accvgpr_read_b32 v3, a27
	v_cmp_lt_u64_e32 vcc, v[2:3], v[0:1]
	v_mov_b32_e32 v2, 1
	s_and_saveexec_b64 s[58:59], vcc
	s_cbranch_execz .LBB6_10588
; %bb.10569:                            ;   in Loop: Header=BB6_10565 Depth=2
	s_mov_b64 s[60:61], 0
	v_mov_b32_e32 v2, 0
                                        ; implicit-def: $sgpr62_sgpr63
	s_branch .LBB6_10573
.LBB6_10570:                            ;   in Loop: Header=BB6_10573 Depth=3
	s_or_b64 exec, exec, s[70:71]
	v_mov_b32_e32 v3, 0
	s_orn2_b64 s[68:69], s[68:69], exec
.LBB6_10571:                            ;   in Loop: Header=BB6_10573 Depth=3
	s_or_b64 exec, exec, s[66:67]
	s_andn2_b64 vcc, s[62:63], exec
	s_and_b64 s[50:51], s[68:69], exec
	s_or_b64 s[62:63], vcc, s[50:51]
	v_mov_b32_e32 v2, v3
.LBB6_10572:                            ;   in Loop: Header=BB6_10573 Depth=3
	s_or_b64 exec, exec, s[64:65]
	s_waitcnt vmcnt(0) lgkmcnt(0)
	v_accvgpr_read_b32 v4, a26
	v_accvgpr_read_b32 v5, a27
	v_cmp_ge_u64_e32 vcc, v[4:5], v[0:1]
	s_xor_b64 s[50:51], s[62:63], -1
	s_or_b64 vcc, s[50:51], vcc
	s_and_b64 vcc, exec, vcc
	s_or_b64 s[60:61], vcc, s[60:61]
	s_andn2_b64 exec, exec, s[60:61]
	s_cbranch_execz .LBB6_10587
.LBB6_10573:                            ;   Parent Loop BB6_47 Depth=1
                                        ;     Parent Loop BB6_10565 Depth=2
                                        ; =>    This Inner Loop Header: Depth=3
	v_accvgpr_read_b32 v4, a18
	v_accvgpr_read_b32 v5, a19
	s_sleep 1
	flat_load_dwordx2 a[26:27], v[4:5] glc
	v_and_b32_e32 v3, 64, v46
	v_cmp_eq_u32_e32 vcc, 0, v3
	s_andn2_b64 s[62:63], s[62:63], exec
	s_and_saveexec_b64 s[64:65], vcc
	s_cbranch_execz .LBB6_10572
; %bb.10574:                            ;   in Loop: Header=BB6_10573 Depth=3
	v_add_u32_e32 v3, 1, v2
	v_cmp_lt_i32_e32 vcc, s91, v2
	s_mov_b64 s[68:69], -1
	s_and_saveexec_b64 s[66:67], vcc
	s_cbranch_execz .LBB6_10571
; %bb.10575:                            ;   in Loop: Header=BB6_10573 Depth=3
	s_trap 2
	ds_read_b64 v[2:3], v0
	s_waitcnt vmcnt(0) lgkmcnt(0)
	flat_load_dword v2, v[2:3] glc
	s_waitcnt vmcnt(0) lgkmcnt(0)
	buffer_invl2
	buffer_wbinvl1_vol
	v_cmp_ne_u32_e32 vcc, 0, v2
	s_and_saveexec_b64 s[70:71], vcc
	s_cbranch_execz .LBB6_10570
; %bb.10576:                            ;   in Loop: Header=BB6_10573 Depth=3
	v_or_b32_e32 v46, 64, v46
	s_xor_b64 s[68:69], exec, -1
	ds_write_b32 v0, v2
	s_trap 2
	s_branch .LBB6_10570
.LBB6_10577:                            ;   in Loop: Header=BB6_10565 Depth=2
	s_or_b64 exec, exec, s[26:27]
	s_xor_b64 s[26:27], s[58:59], -1
	s_and_saveexec_b64 s[58:59], s[26:27]
	s_cbranch_execz .LBB6_10589
.LBB6_10578:                            ;   in Loop: Header=BB6_10565 Depth=2
	v_and_b32_e32 v0, 0x100, v46
	v_cmp_ne_u32_e32 vcc, 0, v0
	v_and_b32_e32 v4, 7, v58
	s_mov_b64 s[26:27], -1
                                        ; implicit-def: $vgpr0_vgpr1
	s_and_saveexec_b64 s[60:61], vcc
	s_cbranch_execz .LBB6_10582
; %bb.10579:                            ;   in Loop: Header=BB6_10565 Depth=2
	v_mad_u64_u32 v[2:3], s[26:27], v4, 24, v[24:25]
	flat_load_dword v0, v[2:3]
	s_waitcnt vmcnt(0) lgkmcnt(0)
	v_cmp_ne_u32_e32 vcc, 1, v0
	v_cmp_eq_u32_e64 s[26:27], 1, v0
                                        ; implicit-def: $vgpr0_vgpr1
	s_and_saveexec_b64 s[62:63], s[26:27]
	s_cbranch_execz .LBB6_10581
; %bb.10580:                            ;   in Loop: Header=BB6_10565 Depth=2
	flat_load_dword v0, v[2:3] offset:4 glc
	s_waitcnt vmcnt(0) lgkmcnt(0)
	v_ashrrev_i32_e32 v1, 31, v0
.LBB6_10581:                            ;   in Loop: Header=BB6_10565 Depth=2
	s_or_b64 exec, exec, s[62:63]
	s_orn2_b64 s[26:27], vcc, exec
.LBB6_10582:                            ;   in Loop: Header=BB6_10565 Depth=2
	s_or_b64 exec, exec, s[60:61]
	s_and_saveexec_b64 vcc, s[26:27]
; %bb.10583:                            ;   in Loop: Header=BB6_10565 Depth=2
	v_accvgpr_read_b32 v0, a20
	v_mad_i64_i32 v[0:1], s[26:27], v4, v0, 0
; %bb.10584:                            ;   in Loop: Header=BB6_10565 Depth=2
	s_or_b64 exec, exec, vcc
	v_accvgpr_read_b32 v2, a22
	v_accvgpr_read_b32 v3, a23
	v_add_co_u32_e32 v0, vcc, v2, v0
	v_addc_co_u32_e32 v1, vcc, v3, v1, vcc
	ds_write_b64 v0, v[0:1] offset:720
	v_and_b32_e32 v0, 0x2000, v46
	v_cmp_ne_u32_e32 vcc, 0, v0
	s_and_saveexec_b64 s[26:27], vcc
	s_cbranch_execz .LBB6_10586
; %bb.10585:                            ;   in Loop: Header=BB6_10565 Depth=2
	ds_read_b64 v[0:1], v0 offset:584
	s_waitcnt lgkmcnt(0)
	v_add_co_u32_e32 v0, vcc, 1, v0
	v_addc_co_u32_e32 v1, vcc, 0, v1, vcc
	ds_write_b64 v0, v[0:1] offset:584
.LBB6_10586:                            ;   in Loop: Header=BB6_10565 Depth=2
	s_or_b64 exec, exec, s[26:27]
	v_add_co_u32_e32 v58, vcc, 2, v58
	v_addc_co_u32_e32 v59, vcc, 0, v59, vcc
	s_or_b64 exec, exec, s[58:59]
	s_and_saveexec_b64 s[26:27], s[10:11]
	s_cbranch_execz .LBB6_10608
	s_branch .LBB6_10590
.LBB6_10587:                            ;   in Loop: Header=BB6_10565 Depth=2
	s_or_b64 exec, exec, s[60:61]
	v_and_b32_e32 v2, 4, v46
.LBB6_10588:                            ;   in Loop: Header=BB6_10565 Depth=2
	s_or_b64 exec, exec, s[58:59]
	v_cmp_eq_u32_e32 vcc, 0, v2
	s_orn2_b64 s[58:59], vcc, exec
	;;#ASMSTART
	s_wakeup
	;;#ASMEND
	s_or_b64 exec, exec, s[26:27]
	s_xor_b64 s[26:27], s[58:59], -1
	s_and_saveexec_b64 s[58:59], s[26:27]
	s_cbranch_execnz .LBB6_10578
.LBB6_10589:                            ;   in Loop: Header=BB6_10565 Depth=2
	s_or_b64 exec, exec, s[58:59]
	s_and_saveexec_b64 s[26:27], s[10:11]
	s_cbranch_execz .LBB6_10608
.LBB6_10590:                            ;   in Loop: Header=BB6_10565 Depth=2
	s_and_saveexec_b64 vcc, s[44:45]
	s_xor_b64 s[58:59], exec, vcc
	s_cbranch_execz .LBB6_10605
; %bb.10591:                            ;   in Loop: Header=BB6_10565 Depth=2
	s_and_saveexec_b64 s[60:61], s[16:17]
	s_cbranch_execz .LBB6_10604
; %bb.10592:                            ;   in Loop: Header=BB6_10565 Depth=2
	s_mov_b64 s[64:65], exec
	v_mbcnt_lo_u32_b32 v0, s64, 0
	v_mbcnt_hi_u32_b32 v0, s65, v0
	v_cmp_eq_u32_e32 vcc, 0, v0
	s_waitcnt vmcnt(0) lgkmcnt(0)
	buffer_wbinvl1_vol
	s_and_saveexec_b64 s[62:63], vcc
	s_cbranch_execz .LBB6_10594
; %bb.10593:                            ;   in Loop: Header=BB6_10565 Depth=2
	s_bcnt1_i32_b64 vcc_lo, s[64:65]
	v_mov_b32_e32 v50, vcc_lo
	ds_add_u64 v0, v[50:51]
	s_trap 2
.LBB6_10594:                            ;   in Loop: Header=BB6_10565 Depth=2
	s_or_b64 exec, exec, s[62:63]
	s_trap 2
	ds_read_b64 v[0:1], v0
	v_accvgpr_read_b32 v2, a28
	v_accvgpr_read_b32 v3, a29
	v_add_co_u32_e32 v2, vcc, v2, v40
	v_addc_co_u32_e32 v3, vcc, 0, v3, vcc
	v_accvgpr_write_b32 a29, v3
	v_accvgpr_write_b32 a28, v2
	s_waitcnt lgkmcnt(0)
	v_cmp_lt_u64_e32 vcc, v[0:1], v[2:3]
	s_and_saveexec_b64 s[62:63], vcc
	s_cbranch_execz .LBB6_10603
; %bb.10595:                            ;   in Loop: Header=BB6_10565 Depth=2
	s_mov_b32 s75, 0
	s_mov_b64 s[64:65], 0
                                        ; implicit-def: $sgpr66_sgpr67
                                        ; implicit-def: $sgpr68_sgpr69
	s_branch .LBB6_10597
.LBB6_10596:                            ;   in Loop: Header=BB6_10597 Depth=3
	s_or_b64 exec, exec, s[72:73]
	s_and_b64 vcc, exec, vcc
	s_or_b64 s[64:65], vcc, s[64:65]
	s_andn2_b64 vcc, s[66:67], exec
	s_and_b64 s[50:51], s[68:69], exec
	s_or_b64 s[66:67], vcc, s[50:51]
	s_andn2_b64 exec, exec, s[64:65]
	s_cbranch_execz .LBB6_10601
.LBB6_10597:                            ;   Parent Loop BB6_47 Depth=1
                                        ;     Parent Loop BB6_10565 Depth=2
                                        ; =>    This Inner Loop Header: Depth=3
	s_add_i32 s75, s75, 1
	s_cmpk_lg_i32 s75, 0x2710
	s_cselect_b64 s[70:71], -1, 0
	s_and_b64 vcc, exec, s[70:71]
                                        ; implicit-def: $sgpr72_sgpr73
	s_cbranch_vccnz .LBB6_10599
; %bb.10598:                            ;   in Loop: Header=BB6_10597 Depth=3
	s_trap 2
	ds_read_b64 v[0:1], v0
	s_andn2_b64 s[50:51], s[70:71], exec
	s_mov_b32 s75, 0
	s_mov_b64 s[72:73], -1
	s_waitcnt lgkmcnt(0)
	flat_load_dword v0, v[0:1] glc
	s_waitcnt vmcnt(0) lgkmcnt(0)
	buffer_invl2
	buffer_wbinvl1_vol
	v_cmp_eq_u32_e32 vcc, 0, v0
	s_and_b64 vcc, vcc, exec
	s_or_b64 s[70:71], s[50:51], vcc
.LBB6_10599:                            ;   in Loop: Header=BB6_10597 Depth=3
	s_andn2_b64 s[50:51], s[68:69], exec
	s_and_b64 s[68:69], s[72:73], exec
	s_mov_b64 vcc, -1
	s_or_b64 s[68:69], s[50:51], s[68:69]
	s_and_saveexec_b64 s[72:73], s[70:71]
	s_cbranch_execz .LBB6_10596
; %bb.10600:                            ;   in Loop: Header=BB6_10597 Depth=3
	s_sleep 1
	s_trap 2
	ds_read_b64 v[0:1], v0
	v_accvgpr_read_b32 v2, a28
	v_accvgpr_read_b32 v3, a29
	s_andn2_b64 s[68:69], s[68:69], exec
	s_waitcnt lgkmcnt(0)
	v_cmp_ge_u64_e32 vcc, v[0:1], v[2:3]
	s_orn2_b64 vcc, vcc, exec
	s_branch .LBB6_10596
.LBB6_10601:                            ;   in Loop: Header=BB6_10565 Depth=2
	s_or_b64 exec, exec, s[64:65]
	s_and_saveexec_b64 vcc, s[66:67]
	s_xor_b64 vcc, exec, vcc
	s_cbranch_execz .LBB6_10603
; %bb.10602:                            ;   in Loop: Header=BB6_10565 Depth=2
	v_mov_b32_e32 v0, 1
	ds_write_b32 v0, v0
	s_trap 2
.LBB6_10603:                            ;   in Loop: Header=BB6_10565 Depth=2
	s_or_b64 exec, exec, s[62:63]
	;;#ASMSTART
	s_wakeup
	;;#ASMEND
.LBB6_10604:                            ;   in Loop: Header=BB6_10565 Depth=2
	s_or_b64 exec, exec, s[60:61]
.LBB6_10605:                            ;   in Loop: Header=BB6_10565 Depth=2
	s_andn2_saveexec_b64 vcc, s[58:59]
	s_cbranch_execz .LBB6_10607
; %bb.10606:                            ;   in Loop: Header=BB6_10565 Depth=2
	s_waitcnt vmcnt(0) lgkmcnt(0)
	buffer_wbinvl1_vol
	s_barrier
.LBB6_10607:                            ;   in Loop: Header=BB6_10565 Depth=2
	s_or_b64 exec, exec, vcc
.LBB6_10608:                            ;   in Loop: Header=BB6_10565 Depth=2
	s_or_b64 exec, exec, s[26:27]
	s_trap 2
	ds_read_b32 v0, v0
	v_and_b32_e32 v1, 0x4000, v46
	v_cmp_ne_u32_e32 vcc, 0, v1
	s_xor_b64 s[26:27], s[6:7], -1
	s_and_b64 vcc, s[26:27], vcc
	s_and_saveexec_b64 s[26:27], vcc
	s_cbranch_execz .LBB6_10627
; %bb.10609:                            ;   in Loop: Header=BB6_10565 Depth=2
	s_and_saveexec_b64 vcc, s[44:45]
	s_xor_b64 s[58:59], exec, vcc
	s_cbranch_execz .LBB6_10624
; %bb.10610:                            ;   in Loop: Header=BB6_10565 Depth=2
	s_and_saveexec_b64 s[60:61], s[16:17]
	s_cbranch_execz .LBB6_10623
; %bb.10611:                            ;   in Loop: Header=BB6_10565 Depth=2
	s_mov_b64 s[64:65], exec
	v_mbcnt_lo_u32_b32 v1, s64, 0
	v_mbcnt_hi_u32_b32 v1, s65, v1
	v_cmp_eq_u32_e32 vcc, 0, v1
	s_waitcnt vmcnt(0) lgkmcnt(0)
	buffer_wbinvl1_vol
	s_and_saveexec_b64 s[62:63], vcc
	s_cbranch_execz .LBB6_10613
; %bb.10612:                            ;   in Loop: Header=BB6_10565 Depth=2
	s_bcnt1_i32_b64 vcc_lo, s[64:65]
	v_mov_b32_e32 v50, vcc_lo
	ds_add_u64 v0, v[50:51]
	s_trap 2
.LBB6_10613:                            ;   in Loop: Header=BB6_10565 Depth=2
	s_or_b64 exec, exec, s[62:63]
	s_trap 2
	ds_read_b64 v[2:3], v0
	v_accvgpr_read_b32 v4, a28
	v_accvgpr_read_b32 v5, a29
	v_add_co_u32_e32 v4, vcc, v4, v40
	v_addc_co_u32_e32 v5, vcc, 0, v5, vcc
	v_accvgpr_write_b32 a29, v5
	v_accvgpr_write_b32 a28, v4
	s_waitcnt lgkmcnt(0)
	v_cmp_lt_u64_e32 vcc, v[2:3], v[4:5]
	s_and_saveexec_b64 s[62:63], vcc
	s_cbranch_execz .LBB6_10622
; %bb.10614:                            ;   in Loop: Header=BB6_10565 Depth=2
	s_mov_b32 s75, 0
	s_mov_b64 s[64:65], 0
                                        ; implicit-def: $sgpr66_sgpr67
                                        ; implicit-def: $sgpr68_sgpr69
	s_branch .LBB6_10616
.LBB6_10615:                            ;   in Loop: Header=BB6_10616 Depth=3
	s_or_b64 exec, exec, s[72:73]
	s_and_b64 vcc, exec, vcc
	s_or_b64 s[64:65], vcc, s[64:65]
	s_andn2_b64 vcc, s[66:67], exec
	s_and_b64 s[50:51], s[68:69], exec
	s_or_b64 s[66:67], vcc, s[50:51]
	s_andn2_b64 exec, exec, s[64:65]
	s_cbranch_execz .LBB6_10620
.LBB6_10616:                            ;   Parent Loop BB6_47 Depth=1
                                        ;     Parent Loop BB6_10565 Depth=2
                                        ; =>    This Inner Loop Header: Depth=3
	s_add_i32 s75, s75, 1
	s_cmpk_lg_i32 s75, 0x2710
	s_cselect_b64 s[70:71], -1, 0
	s_and_b64 vcc, exec, s[70:71]
                                        ; implicit-def: $sgpr72_sgpr73
	s_cbranch_vccnz .LBB6_10618
; %bb.10617:                            ;   in Loop: Header=BB6_10616 Depth=3
	s_trap 2
	ds_read_b64 v[2:3], v0
	s_andn2_b64 s[50:51], s[70:71], exec
	s_mov_b32 s75, 0
	s_mov_b64 s[72:73], -1
	s_waitcnt lgkmcnt(0)
	flat_load_dword v1, v[2:3] glc
	s_waitcnt vmcnt(0) lgkmcnt(0)
	buffer_invl2
	buffer_wbinvl1_vol
	v_cmp_eq_u32_e32 vcc, 0, v1
	s_and_b64 vcc, vcc, exec
	s_or_b64 s[70:71], s[50:51], vcc
.LBB6_10618:                            ;   in Loop: Header=BB6_10616 Depth=3
	s_andn2_b64 s[50:51], s[68:69], exec
	s_and_b64 s[68:69], s[72:73], exec
	s_mov_b64 vcc, -1
	s_or_b64 s[68:69], s[50:51], s[68:69]
	s_and_saveexec_b64 s[72:73], s[70:71]
	s_cbranch_execz .LBB6_10615
; %bb.10619:                            ;   in Loop: Header=BB6_10616 Depth=3
	s_sleep 1
	s_trap 2
	ds_read_b64 v[2:3], v0
	v_accvgpr_read_b32 v4, a28
	v_accvgpr_read_b32 v5, a29
	s_andn2_b64 s[68:69], s[68:69], exec
	s_waitcnt lgkmcnt(0)
	v_cmp_ge_u64_e32 vcc, v[2:3], v[4:5]
	s_orn2_b64 vcc, vcc, exec
	s_branch .LBB6_10615
.LBB6_10620:                            ;   in Loop: Header=BB6_10565 Depth=2
	s_or_b64 exec, exec, s[64:65]
	s_and_saveexec_b64 vcc, s[66:67]
	s_xor_b64 vcc, exec, vcc
	s_cbranch_execz .LBB6_10622
; %bb.10621:                            ;   in Loop: Header=BB6_10565 Depth=2
	v_mov_b32_e32 v1, 1
	ds_write_b32 v0, v1
	s_trap 2
.LBB6_10622:                            ;   in Loop: Header=BB6_10565 Depth=2
	s_or_b64 exec, exec, s[62:63]
	;;#ASMSTART
	s_wakeup
	;;#ASMEND
.LBB6_10623:                            ;   in Loop: Header=BB6_10565 Depth=2
	s_or_b64 exec, exec, s[60:61]
.LBB6_10624:                            ;   in Loop: Header=BB6_10565 Depth=2
	s_andn2_saveexec_b64 vcc, s[58:59]
	s_cbranch_execz .LBB6_10626
; %bb.10625:                            ;   in Loop: Header=BB6_10565 Depth=2
	s_waitcnt vmcnt(0) lgkmcnt(0)
	buffer_wbinvl1_vol
	s_barrier
.LBB6_10626:                            ;   in Loop: Header=BB6_10565 Depth=2
	s_or_b64 exec, exec, vcc
.LBB6_10627:                            ;   in Loop: Header=BB6_10565 Depth=2
	s_or_b64 exec, exec, s[26:27]
	s_trap 2
	s_waitcnt lgkmcnt(0)
	ds_read_b64 v[2:3], v0
	v_sub_u32_e32 v1, v8, v10
	v_min_i32_e32 v9, v9, v1
	v_mov_b32_e32 v13, 0
	s_waitcnt lgkmcnt(0)
	v_readfirstlane_b32 s26, v2
	v_readfirstlane_b32 s27, v3
	s_cmp_eq_u64 s[26:27], 0
	s_cselect_b64 s[26:27], -1, 0
	s_or_b64 s[26:27], s[26:27], s[26:27]
	s_and_b64 vcc, exec, s[26:27]
	s_cbranch_vccnz .LBB6_10643
; %bb.10628:                            ;   in Loop: Header=BB6_10565 Depth=2
	s_mov_b64 s[26:27], -1
	s_and_saveexec_b64 s[58:59], s[20:21]
	s_cbranch_execz .LBB6_10630
; %bb.10629:                            ;   in Loop: Header=BB6_10565 Depth=2
	ds_read_b32 v1, v0 offset:720
	s_waitcnt lgkmcnt(0)
	v_and_b32_e32 v1, 15, v1
	v_cmp_eq_u32_e32 vcc, 0, v1
	s_orn2_b64 s[26:27], vcc, exec
.LBB6_10630:                            ;   in Loop: Header=BB6_10565 Depth=2
	s_or_b64 exec, exec, s[58:59]
	s_and_saveexec_b64 s[58:59], s[18:19]
	s_cbranch_execz .LBB6_10632
; %bb.10631:                            ;   in Loop: Header=BB6_10565 Depth=2
	ds_read_b32 v1, v0 offset:784
	s_waitcnt lgkmcnt(0)
	v_and_b32_e32 v1, 15, v1
	v_cmp_eq_u32_e32 vcc, 0, v1
	s_and_b64 vcc, s[26:27], vcc
	s_andn2_b64 s[26:27], s[26:27], exec
	s_and_b64 vcc, vcc, exec
	s_or_b64 s[26:27], s[26:27], vcc
.LBB6_10632:                            ;   in Loop: Header=BB6_10565 Depth=2
	s_or_b64 exec, exec, s[58:59]
	v_cmp_eq_u32_e32 vcc, 0, v0
	s_xor_b64 s[26:27], s[26:27], -1
	v_cndmask_b32_e32 v13, 0, v9, vcc
	v_cndmask_b32_e64 v0, 0, 1, s[26:27]
	v_mov_b32_e32 v14, 0
	s_mov_b64 s[60:61], -1
	;;#ASMSTART
	;;#ASMEND
	v_cmp_ne_u32_e32 vcc, 0, v0
	v_mov_b32_e32 v15, v13
	v_mov_b32_e32 v16, v45
	v_accvgpr_read_b32 v2, a37
	s_cbranch_vccz .LBB6_10655
; %bb.10633:                            ;   in Loop: Header=BB6_10565 Depth=2
	s_and_saveexec_b64 s[26:27], s[60:61]
	s_cbranch_execz .LBB6_10668
.LBB6_10634:                            ;   in Loop: Header=BB6_10565 Depth=2
	v_ashrrev_i32_e32 v0, 31, v15
	v_lshrrev_b32_e32 v0, 21, v0
	v_add_u32_e32 v0, v15, v0
	v_ashrrev_i32_e32 v19, 11, v0
	v_sub_u32_e32 v17, v19, v2
	v_ashrrev_i32_e32 v0, 31, v16
	v_cmp_lt_i32_e32 vcc, 0, v17
	v_lshrrev_b32_e32 v18, 26, v0
	s_and_saveexec_b64 s[58:59], vcc
	s_cbranch_execz .LBB6_10638
; %bb.10635:                            ;   in Loop: Header=BB6_10565 Depth=2
	s_trap 2
	ds_read_b64 v[0:1], v0
	v_add_u32_e32 v3, v16, v18
	v_and_b32_e32 v3, 0xffffffc0, v3
	v_sub_u32_e32 v3, v16, v3
	v_lshlrev_b32_e32 v2, 11, v2
	v_add3_u32 v2, v14, v3, v2
	v_ashrrev_i32_e32 v3, 31, v2
	s_mov_b64 s[60:61], 0
	s_waitcnt lgkmcnt(0)
	v_pk_mov_b32 v[4:5], v[0:1], v[0:1] op_sel:[0,1]
	v_mov_b32_e32 v56, v40
	v_accvgpr_read_b32 v47, a42
	v_accvgpr_read_b32 v57, a43
.LBB6_10636:                            ;   Parent Loop BB6_47 Depth=1
                                        ;     Parent Loop BB6_10565 Depth=2
                                        ; =>    This Inner Loop Header: Depth=3
	v_add_co_u32_e32 v6, vcc, v2, v4
	v_addc_co_u32_e32 v7, vcc, v3, v5, vcc
	flat_load_ubyte v20, v[6:7] glc slc
	flat_load_ubyte v21, v[6:7] offset:64 glc slc
	flat_load_ubyte v22, v[6:7] offset:128 glc slc
	;; [unrolled: 1-line block ×31, first 2 shown]
	v_add_co_u32_e32 v6, vcc, v2, v0
	v_addc_co_u32_e32 v7, vcc, v3, v1, vcc
	v_add_co_u32_e32 v4, vcc, v4, v47
	v_addc_co_u32_e32 v5, vcc, v5, v57, vcc
	v_add_co_u32_e32 v0, vcc, v0, v47
	v_sub_u32_e32 v17, v17, v56
	v_addc_co_u32_e32 v1, vcc, v1, v57, vcc
	v_cmp_gt_i32_e32 vcc, 1, v17
	s_or_b64 s[60:61], vcc, s[60:61]
	s_waitcnt vmcnt(0) lgkmcnt(0)
	flat_store_byte v[6:7], v20 glc slc
	flat_store_byte v[6:7], v21 offset:64 glc slc
	flat_store_byte v[6:7], v22 offset:128 glc slc
	;; [unrolled: 1-line block ×31, first 2 shown]
	s_andn2_b64 exec, exec, s[60:61]
	s_cbranch_execnz .LBB6_10636
; %bb.10637:                            ;   in Loop: Header=BB6_10565 Depth=2
	s_or_b64 exec, exec, s[60:61]
	v_accvgpr_read_b32 v25, a17
	v_accvgpr_read_b32 v24, a16
	v_mov_b32_e32 v40, v56
.LBB6_10638:                            ;   in Loop: Header=BB6_10565 Depth=2
	s_or_b64 exec, exec, s[58:59]
	v_lshlrev_b32_e32 v0, 11, v19
	v_cmp_ne_u32_e32 vcc, v15, v0
	s_mov_b64 s[58:59], exec
	s_and_b64 vcc, s[58:59], vcc
	v_accvgpr_read_b32 v19, a31
	v_accvgpr_read_b32 v20, a44
	;; [unrolled: 1-line block ×3, first 2 shown]
	s_mov_b64 exec, vcc
	s_cbranch_execz .LBB6_10642
; %bb.10639:                            ;   in Loop: Header=BB6_10565 Depth=2
	v_add_u32_e32 v1, v16, v18
	v_and_b32_e32 v1, 0xffffffc0, v1
	v_sub_u32_e32 v1, v16, v1
	v_lshlrev_b32_e32 v2, 6, v17
	v_sub_u32_e32 v1, v1, v2
	v_add_u32_e32 v2, v0, v1
	v_sub_u32_e32 v4, v15, v2
	v_cmp_lt_i32_e32 vcc, 0, v4
	s_and_b64 exec, exec, vcc
	s_cbranch_execz .LBB6_10642
; %bb.10640:                            ;   in Loop: Header=BB6_10565 Depth=2
	s_trap 2
	ds_read_b64 v[0:1], v0
	v_add_u32_e32 v2, v2, v14
	v_ashrrev_i32_e32 v3, 31, v2
	s_mov_b64 s[60:61], 0
.LBB6_10641:                            ;   Parent Loop BB6_47 Depth=1
                                        ;     Parent Loop BB6_10565 Depth=2
                                        ; =>    This Inner Loop Header: Depth=3
	s_waitcnt lgkmcnt(0)
	v_add_co_u32_e32 v6, vcc, v0, v2
	v_addc_co_u32_e32 v7, vcc, v1, v3, vcc
	flat_load_ubyte v5, v[6:7] glc slc
	v_add_co_u32_e32 v2, vcc, v2, v20
	v_sub_u32_e32 v4, v4, v19
	v_addc_co_u32_e32 v3, vcc, v3, v21, vcc
	v_cmp_gt_i32_e32 vcc, 1, v4
	s_or_b64 s[60:61], vcc, s[60:61]
	s_waitcnt vmcnt(0) lgkmcnt(0)
	flat_store_byte v[6:7], v5 glc slc
	s_andn2_b64 exec, exec, s[60:61]
	s_cbranch_execnz .LBB6_10641
.LBB6_10642:                            ;   in Loop: Header=BB6_10565 Depth=2
	s_or_b64 exec, exec, s[58:59]
	s_or_b64 exec, exec, s[26:27]
	s_and_saveexec_b64 s[26:27], s[10:11]
	s_cbranch_execz .LBB6_10669
	s_branch .LBB6_10644
.LBB6_10643:                            ;   in Loop: Header=BB6_10565 Depth=2
	s_and_saveexec_b64 s[26:27], s[10:11]
	s_cbranch_execz .LBB6_10669
.LBB6_10644:                            ;   in Loop: Header=BB6_10565 Depth=2
	s_and_saveexec_b64 vcc, s[44:45]
	s_xor_b64 s[58:59], exec, vcc
	s_cbranch_execz .LBB6_10677
; %bb.10645:                            ;   in Loop: Header=BB6_10565 Depth=2
	s_and_saveexec_b64 s[60:61], s[16:17]
	s_cbranch_execz .LBB6_10676
; %bb.10646:                            ;   in Loop: Header=BB6_10565 Depth=2
	s_mov_b64 s[64:65], exec
	v_mbcnt_lo_u32_b32 v0, s64, 0
	v_mbcnt_hi_u32_b32 v0, s65, v0
	v_cmp_eq_u32_e32 vcc, 0, v0
	s_waitcnt vmcnt(0) lgkmcnt(0)
	buffer_wbinvl1_vol
	s_and_saveexec_b64 s[62:63], vcc
	s_cbranch_execz .LBB6_10648
; %bb.10647:                            ;   in Loop: Header=BB6_10565 Depth=2
	s_bcnt1_i32_b64 vcc_lo, s[64:65]
	v_mov_b32_e32 v50, vcc_lo
	ds_add_u64 v0, v[50:51]
	s_trap 2
.LBB6_10648:                            ;   in Loop: Header=BB6_10565 Depth=2
	s_or_b64 exec, exec, s[62:63]
	s_trap 2
	ds_read_b64 v[0:1], v0
	v_accvgpr_read_b32 v2, a28
	v_accvgpr_read_b32 v3, a29
	v_add_co_u32_e32 v2, vcc, v2, v40
	v_addc_co_u32_e32 v3, vcc, 0, v3, vcc
	v_accvgpr_write_b32 a29, v3
	v_accvgpr_write_b32 a28, v2
	s_waitcnt lgkmcnt(0)
	v_cmp_lt_u64_e32 vcc, v[0:1], v[2:3]
	s_and_saveexec_b64 s[62:63], vcc
	s_cbranch_execz .LBB6_10675
; %bb.10649:                            ;   in Loop: Header=BB6_10565 Depth=2
	s_mov_b32 s75, 0
	s_mov_b64 s[64:65], 0
                                        ; implicit-def: $sgpr66_sgpr67
                                        ; implicit-def: $sgpr68_sgpr69
	s_branch .LBB6_10651
.LBB6_10650:                            ;   in Loop: Header=BB6_10651 Depth=3
	s_or_b64 exec, exec, s[72:73]
	s_and_b64 vcc, exec, vcc
	s_or_b64 s[64:65], vcc, s[64:65]
	s_andn2_b64 vcc, s[66:67], exec
	s_and_b64 s[50:51], s[68:69], exec
	s_or_b64 s[66:67], vcc, s[50:51]
	s_andn2_b64 exec, exec, s[64:65]
	s_cbranch_execz .LBB6_10673
.LBB6_10651:                            ;   Parent Loop BB6_47 Depth=1
                                        ;     Parent Loop BB6_10565 Depth=2
                                        ; =>    This Inner Loop Header: Depth=3
	s_add_i32 s75, s75, 1
	s_cmpk_lg_i32 s75, 0x2710
	s_cselect_b64 s[70:71], -1, 0
	s_and_b64 vcc, exec, s[70:71]
                                        ; implicit-def: $sgpr72_sgpr73
	s_cbranch_vccnz .LBB6_10653
; %bb.10652:                            ;   in Loop: Header=BB6_10651 Depth=3
	s_trap 2
	ds_read_b64 v[0:1], v0
	s_andn2_b64 s[50:51], s[70:71], exec
	s_mov_b32 s75, 0
	s_mov_b64 s[72:73], -1
	s_waitcnt lgkmcnt(0)
	flat_load_dword v0, v[0:1] glc
	s_waitcnt vmcnt(0) lgkmcnt(0)
	buffer_invl2
	buffer_wbinvl1_vol
	v_cmp_eq_u32_e32 vcc, 0, v0
	s_and_b64 vcc, vcc, exec
	s_or_b64 s[70:71], s[50:51], vcc
.LBB6_10653:                            ;   in Loop: Header=BB6_10651 Depth=3
	s_andn2_b64 s[50:51], s[68:69], exec
	s_and_b64 s[68:69], s[72:73], exec
	s_mov_b64 vcc, -1
	s_or_b64 s[68:69], s[50:51], s[68:69]
	s_and_saveexec_b64 s[72:73], s[70:71]
	s_cbranch_execz .LBB6_10650
; %bb.10654:                            ;   in Loop: Header=BB6_10651 Depth=3
	s_sleep 1
	s_trap 2
	ds_read_b64 v[0:1], v0
	v_accvgpr_read_b32 v2, a28
	v_accvgpr_read_b32 v3, a29
	s_andn2_b64 s[68:69], s[68:69], exec
	s_waitcnt lgkmcnt(0)
	v_cmp_ge_u64_e32 vcc, v[0:1], v[2:3]
	s_orn2_b64 vcc, vcc, exec
	s_branch .LBB6_10650
.LBB6_10655:                            ;   in Loop: Header=BB6_10565 Depth=2
	v_ashrrev_i32_e32 v0, 31, v13
	v_lshrrev_b32_e32 v0, 20, v0
	v_add_u32_e32 v0, v13, v0
	v_ashrrev_i32_e32 v4, 12, v0
	v_accvgpr_read_b32 v0, a37
	v_sub_u32_e32 v5, v4, v0
	v_cmp_lt_i32_e32 vcc, 0, v5
	s_and_saveexec_b64 s[26:27], vcc
	s_cbranch_execz .LBB6_10659
; %bb.10656:                            ;   in Loop: Header=BB6_10565 Depth=2
	s_trap 2
	ds_read_b64 v[0:1], v0
	buffer_load_dword v32, off, s[0:3], s33 offset:188 ; 4-byte Folded Reload
	buffer_load_dword v33, off, s[0:3], s33 offset:192 ; 4-byte Folded Reload
	s_mov_b64 s[58:59], 0
	v_accvgpr_read_b32 v30, a39
	v_accvgpr_read_b32 v31, a40
	s_waitcnt lgkmcnt(0)
	v_pk_mov_b32 v[2:3], v[0:1], v[0:1] op_sel:[0,1]
	s_waitcnt vmcnt(0)
	v_accvgpr_read_b32 v33, a49
.LBB6_10657:                            ;   Parent Loop BB6_47 Depth=1
                                        ;     Parent Loop BB6_10565 Depth=2
                                        ; =>    This Inner Loop Header: Depth=3
	v_add_co_u32_e32 v6, vcc, v32, v2
	v_addc_co_u32_e32 v7, vcc, v33, v3, vcc
	global_load_dwordx4 v[14:17], v[6:7], off glc slc
	global_load_dwordx4 v[18:21], v[6:7], off offset:1024 glc slc
	global_load_dwordx4 v[22:25], v[6:7], off offset:2048 glc slc
	;; [unrolled: 1-line block ×3, first 2 shown]
	v_add_co_u32_e32 v6, vcc, v32, v0
	v_addc_co_u32_e32 v7, vcc, v33, v1, vcc
	v_add_co_u32_e32 v2, vcc, v2, v30
	v_addc_co_u32_e32 v3, vcc, v3, v31, vcc
	v_add_co_u32_e32 v0, vcc, v0, v30
	v_sub_u32_e32 v5, v5, v40
	v_addc_co_u32_e32 v1, vcc, v1, v31, vcc
	v_cmp_gt_i32_e32 vcc, 1, v5
	s_or_b64 s[58:59], vcc, s[58:59]
	s_waitcnt vmcnt(3)
	global_store_dwordx4 v[6:7], v[14:17], off glc slc
	s_waitcnt vmcnt(3)
	global_store_dwordx4 v[6:7], v[18:21], off offset:1024 glc slc
	s_waitcnt vmcnt(3)
	global_store_dwordx4 v[6:7], v[22:25], off offset:2048 glc slc
	;; [unrolled: 2-line block ×3, first 2 shown]
	s_andn2_b64 exec, exec, s[58:59]
	s_cbranch_execnz .LBB6_10657
; %bb.10658:                            ;   in Loop: Header=BB6_10565 Depth=2
	s_or_b64 exec, exec, s[58:59]
	v_accvgpr_read_b32 v25, a17
	v_accvgpr_read_b32 v24, a16
.LBB6_10659:                            ;   in Loop: Header=BB6_10565 Depth=2
	s_or_b64 exec, exec, s[26:27]
	v_lshlrev_b32_e32 v4, 12, v4
	v_cmp_ne_u32_e32 vcc, v13, v4
	s_mov_b64 s[60:61], 0
	v_mov_b32_e32 v14, 0
                                        ; implicit-def: $vgpr15
                                        ; implicit-def: $vgpr16
                                        ; implicit-def: $vgpr2
	s_and_saveexec_b64 s[58:59], vcc
	s_cbranch_execz .LBB6_10667
; %bb.10660:                            ;   in Loop: Header=BB6_10565 Depth=2
	v_lshlrev_b32_e32 v1, 6, v5
	v_accvgpr_read_b32 v2, a46
	v_sub_u32_e32 v1, v2, v1
	v_ashrrev_i32_e32 v2, 31, v1
	v_lshrrev_b32_e32 v2, 26, v2
	v_add_u32_e32 v2, v1, v2
	v_ashrrev_i32_e32 v3, 6, v2
	v_and_b32_e32 v2, 0xffffffc0, v2
	v_sub_u32_e32 v5, v1, v2
	v_sub_u32_e32 v0, v13, v4
	v_lshlrev_b32_e32 v1, 4, v5
	v_lshl_add_u32 v2, v3, 10, v1
	v_ashrrev_i32_e32 v1, 31, v0
	v_lshrrev_b32_e32 v1, 22, v1
	v_add_u32_e32 v1, v0, v1
	v_and_b32_e32 v6, 0xfffffc00, v1
	v_sub_u32_e32 v17, v0, v6
	v_ashrrev_i32_e32 v7, 10, v1
	v_cmp_lt_i32_e32 vcc, 15, v17
	v_sub_u32_e32 v14, v0, v2
	v_addc_co_u32_e64 v0, s[26:27], 0, v7, vcc
	v_sub_u32_e32 v7, v0, v3
	v_cmp_lt_i32_e64 s[26:27], 15, v14
	s_and_saveexec_b64 s[60:61], s[26:27]
	s_cbranch_execz .LBB6_10664
; %bb.10661:                            ;   in Loop: Header=BB6_10565 Depth=2
	s_trap 2
	ds_read_b64 v[0:1], v0
	v_add_u32_e32 v2, v2, v4
	v_ashrrev_i32_e32 v3, 31, v2
	s_mov_b64 s[62:63], 0
	v_accvgpr_read_b32 v15, a34
	v_accvgpr_read_b32 v16, a47
	;; [unrolled: 1-line block ×3, first 2 shown]
.LBB6_10662:                            ;   Parent Loop BB6_47 Depth=1
                                        ;     Parent Loop BB6_10565 Depth=2
                                        ; =>    This Inner Loop Header: Depth=3
	s_waitcnt lgkmcnt(0)
	v_add_co_u32_e64 v22, s[26:27], v0, v2
	v_addc_co_u32_e64 v23, s[26:27], v1, v3, s[26:27]
	global_load_dwordx4 v[18:21], v[22:23], off glc slc
	v_add_co_u32_e64 v2, s[26:27], v2, v16
	v_sub_u32_e32 v14, v14, v15
	v_addc_co_u32_e64 v3, s[26:27], v3, v26, s[26:27]
	v_cmp_gt_i32_e64 s[26:27], 16, v14
	v_sub_u32_e32 v7, v7, v40
	s_or_b64 s[62:63], s[26:27], s[62:63]
	s_waitcnt vmcnt(0)
	global_store_dwordx4 v[22:23], v[18:21], off glc slc
	s_andn2_b64 exec, exec, s[62:63]
	s_cbranch_execnz .LBB6_10662
; %bb.10663:                            ;   in Loop: Header=BB6_10565 Depth=2
	s_or_b64 exec, exec, s[62:63]
.LBB6_10664:                            ;   in Loop: Header=BB6_10565 Depth=2
	s_or_b64 exec, exec, s[60:61]
	v_and_b32_e32 v0, 15, v13
	v_cndmask_b32_e32 v15, v17, v0, vcc
	v_cmp_ne_u32_e64 s[26:27], 0, v15
	s_mov_b64 s[60:61], 0
	v_mov_b32_e32 v14, 0
                                        ; implicit-def: $vgpr16
                                        ; implicit-def: $vgpr2
	s_and_saveexec_b64 s[62:63], s[26:27]
	s_cbranch_execz .LBB6_10666
; %bb.10665:                            ;   in Loop: Header=BB6_10565 Depth=2
	v_sub_u32_e32 v0, v17, v0
	v_cndmask_b32_e32 v0, 0, v0, vcc
	v_cmp_lt_i32_e32 vcc, 0, v7
	v_add3_u32 v14, v6, v4, v0
	v_cndmask_b32_e32 v0, 0, v40, vcc
	v_sub_u32_e32 v0, v0, v7
	v_lshl_add_u32 v16, v0, 6, v5
	v_ashrrev_i32_e32 v0, 31, v16
	v_lshrrev_b32_e32 v0, 26, v0
	v_add_u32_e32 v0, v16, v0
	s_mov_b64 s[60:61], exec
	v_ashrrev_i32_e32 v2, 6, v0
.LBB6_10666:                            ;   in Loop: Header=BB6_10565 Depth=2
	s_or_b64 exec, exec, s[62:63]
	s_and_b64 s[60:61], s[60:61], exec
.LBB6_10667:                            ;   in Loop: Header=BB6_10565 Depth=2
	s_or_b64 exec, exec, s[58:59]
	s_and_saveexec_b64 s[26:27], s[60:61]
	s_cbranch_execnz .LBB6_10634
.LBB6_10668:                            ;   in Loop: Header=BB6_10565 Depth=2
	s_or_b64 exec, exec, s[26:27]
	s_and_saveexec_b64 s[26:27], s[10:11]
	s_cbranch_execnz .LBB6_10644
.LBB6_10669:                            ;   in Loop: Header=BB6_10565 Depth=2
	s_or_b64 exec, exec, s[26:27]
	s_and_saveexec_b64 s[26:27], s[24:25]
	s_xor_b64 s[58:59], exec, s[26:27]
	s_cbranch_execz .LBB6_10680
.LBB6_10670:                            ;   in Loop: Header=BB6_10565 Depth=2
	v_and_b32_e32 v0, 16, v46
	v_cmp_lt_i32_e32 vcc, 0, v13
	v_cmp_ne_u32_e64 s[26:27], 0, v0
	s_and_b64 vcc, s[26:27], vcc
	s_and_saveexec_b64 s[26:27], vcc
	s_cbranch_execz .LBB6_10672
; %bb.10671:                            ;   in Loop: Header=BB6_10565 Depth=2
	s_waitcnt vmcnt(0) lgkmcnt(0)
	buffer_wbinvl1_vol
.LBB6_10672:                            ;   in Loop: Header=BB6_10565 Depth=2
	s_or_b64 exec, exec, s[26:27]
	s_andn2_saveexec_b64 s[26:27], s[58:59]
	s_cbranch_execz .LBB6_10699
	s_branch .LBB6_10681
.LBB6_10673:                            ;   in Loop: Header=BB6_10565 Depth=2
	s_or_b64 exec, exec, s[64:65]
	s_and_saveexec_b64 vcc, s[66:67]
	s_xor_b64 vcc, exec, vcc
	s_cbranch_execz .LBB6_10675
; %bb.10674:                            ;   in Loop: Header=BB6_10565 Depth=2
	v_mov_b32_e32 v0, 1
	ds_write_b32 v0, v0
	s_trap 2
.LBB6_10675:                            ;   in Loop: Header=BB6_10565 Depth=2
	s_or_b64 exec, exec, s[62:63]
	;;#ASMSTART
	s_wakeup
	;;#ASMEND
.LBB6_10676:                            ;   in Loop: Header=BB6_10565 Depth=2
	s_or_b64 exec, exec, s[60:61]
.LBB6_10677:                            ;   in Loop: Header=BB6_10565 Depth=2
	s_andn2_saveexec_b64 vcc, s[58:59]
	s_cbranch_execz .LBB6_10679
; %bb.10678:                            ;   in Loop: Header=BB6_10565 Depth=2
	s_waitcnt vmcnt(0) lgkmcnt(0)
	buffer_wbinvl1_vol
	s_barrier
.LBB6_10679:                            ;   in Loop: Header=BB6_10565 Depth=2
	s_or_b64 exec, exec, vcc
	s_or_b64 exec, exec, s[26:27]
	s_and_saveexec_b64 s[26:27], s[24:25]
	s_xor_b64 s[58:59], exec, s[26:27]
	s_cbranch_execnz .LBB6_10670
.LBB6_10680:                            ;   in Loop: Header=BB6_10565 Depth=2
	s_andn2_saveexec_b64 s[26:27], s[58:59]
	s_cbranch_execz .LBB6_10699
.LBB6_10681:                            ;   in Loop: Header=BB6_10565 Depth=2
	s_and_saveexec_b64 vcc, s[44:45]
	s_xor_b64 s[58:59], exec, vcc
	s_cbranch_execz .LBB6_10696
; %bb.10682:                            ;   in Loop: Header=BB6_10565 Depth=2
	s_and_saveexec_b64 s[60:61], s[16:17]
	s_cbranch_execz .LBB6_10695
; %bb.10683:                            ;   in Loop: Header=BB6_10565 Depth=2
	s_mov_b64 s[64:65], exec
	v_mbcnt_lo_u32_b32 v0, s64, 0
	v_mbcnt_hi_u32_b32 v0, s65, v0
	v_cmp_eq_u32_e32 vcc, 0, v0
	;;#ASMSTART
	s_waitcnt lgkmcnt(0) vmcnt(0)
	;;#ASMEND
	s_and_saveexec_b64 s[62:63], vcc
	s_cbranch_execz .LBB6_10685
; %bb.10684:                            ;   in Loop: Header=BB6_10565 Depth=2
	s_bcnt1_i32_b64 vcc_lo, s[64:65]
	v_mov_b32_e32 v50, vcc_lo
	ds_add_u64 v0, v[50:51]
	s_trap 2
.LBB6_10685:                            ;   in Loop: Header=BB6_10565 Depth=2
	s_or_b64 exec, exec, s[62:63]
	s_trap 2
	ds_read_b64 v[0:1], v0
	v_accvgpr_read_b32 v2, a28
	v_accvgpr_read_b32 v3, a29
	v_add_co_u32_e32 v2, vcc, v2, v40
	v_addc_co_u32_e32 v3, vcc, 0, v3, vcc
	v_accvgpr_write_b32 a29, v3
	v_accvgpr_write_b32 a28, v2
	s_waitcnt lgkmcnt(0)
	v_cmp_lt_u64_e32 vcc, v[0:1], v[2:3]
	s_and_saveexec_b64 s[62:63], vcc
	s_cbranch_execz .LBB6_10694
; %bb.10686:                            ;   in Loop: Header=BB6_10565 Depth=2
	s_mov_b32 s75, 0
	s_mov_b64 s[64:65], 0
                                        ; implicit-def: $sgpr66_sgpr67
                                        ; implicit-def: $sgpr68_sgpr69
	s_branch .LBB6_10688
.LBB6_10687:                            ;   in Loop: Header=BB6_10688 Depth=3
	s_or_b64 exec, exec, s[72:73]
	s_and_b64 vcc, exec, vcc
	s_or_b64 s[64:65], vcc, s[64:65]
	s_andn2_b64 vcc, s[66:67], exec
	s_and_b64 s[50:51], s[68:69], exec
	s_or_b64 s[66:67], vcc, s[50:51]
	s_andn2_b64 exec, exec, s[64:65]
	s_cbranch_execz .LBB6_10692
.LBB6_10688:                            ;   Parent Loop BB6_47 Depth=1
                                        ;     Parent Loop BB6_10565 Depth=2
                                        ; =>    This Inner Loop Header: Depth=3
	s_add_i32 s75, s75, 1
	s_cmpk_lg_i32 s75, 0x2710
	s_cselect_b64 s[70:71], -1, 0
	s_and_b64 vcc, exec, s[70:71]
                                        ; implicit-def: $sgpr72_sgpr73
	s_cbranch_vccnz .LBB6_10690
; %bb.10689:                            ;   in Loop: Header=BB6_10688 Depth=3
	s_trap 2
	ds_read_b64 v[0:1], v0
	s_andn2_b64 s[50:51], s[70:71], exec
	s_mov_b32 s75, 0
	s_mov_b64 s[72:73], -1
	s_waitcnt vmcnt(0) lgkmcnt(0)
	flat_load_dword v0, v[0:1] glc
	s_waitcnt vmcnt(0) lgkmcnt(0)
	buffer_invl2
	buffer_wbinvl1_vol
	v_cmp_eq_u32_e32 vcc, 0, v0
	s_and_b64 vcc, vcc, exec
	s_or_b64 s[70:71], s[50:51], vcc
.LBB6_10690:                            ;   in Loop: Header=BB6_10688 Depth=3
	s_andn2_b64 s[50:51], s[68:69], exec
	s_and_b64 s[68:69], s[72:73], exec
	s_mov_b64 vcc, -1
	s_or_b64 s[68:69], s[50:51], s[68:69]
	s_and_saveexec_b64 s[72:73], s[70:71]
	s_cbranch_execz .LBB6_10687
; %bb.10691:                            ;   in Loop: Header=BB6_10688 Depth=3
	s_sleep 1
	s_trap 2
	ds_read_b64 v[0:1], v0
	v_accvgpr_read_b32 v2, a28
	v_accvgpr_read_b32 v3, a29
	s_andn2_b64 s[68:69], s[68:69], exec
	s_waitcnt lgkmcnt(0)
	v_cmp_ge_u64_e32 vcc, v[0:1], v[2:3]
	s_orn2_b64 vcc, vcc, exec
	s_branch .LBB6_10687
.LBB6_10692:                            ;   in Loop: Header=BB6_10565 Depth=2
	s_or_b64 exec, exec, s[64:65]
	s_and_saveexec_b64 vcc, s[66:67]
	s_xor_b64 vcc, exec, vcc
	s_cbranch_execz .LBB6_10694
; %bb.10693:                            ;   in Loop: Header=BB6_10565 Depth=2
	v_mov_b32_e32 v0, 1
	ds_write_b32 v0, v0
	s_trap 2
.LBB6_10694:                            ;   in Loop: Header=BB6_10565 Depth=2
	s_or_b64 exec, exec, s[62:63]
	;;#ASMSTART
	s_wakeup
	;;#ASMEND
.LBB6_10695:                            ;   in Loop: Header=BB6_10565 Depth=2
	s_or_b64 exec, exec, s[60:61]
.LBB6_10696:                            ;   in Loop: Header=BB6_10565 Depth=2
	s_andn2_saveexec_b64 vcc, s[58:59]
	s_cbranch_execz .LBB6_10698
; %bb.10697:                            ;   in Loop: Header=BB6_10565 Depth=2
	;;#ASMSTART
	s_waitcnt lgkmcnt(0) vmcnt(0)
	;;#ASMEND
	s_barrier
.LBB6_10698:                            ;   in Loop: Header=BB6_10565 Depth=2
	s_or_b64 exec, exec, vcc
.LBB6_10699:                            ;   in Loop: Header=BB6_10565 Depth=2
	s_or_b64 exec, exec, s[26:27]
	v_and_b32_e32 v0, 32, v46
	v_cmp_ne_u32_e32 vcc, 0, v0
	s_and_saveexec_b64 s[26:27], vcc
	s_cbranch_execz .LBB6_10564
; %bb.10700:                            ;   in Loop: Header=BB6_10565 Depth=2
	v_add_co_u32_e32 v58, vcc, 2, v58
	v_accvgpr_read_b32 v0, a18
	v_addc_co_u32_e32 v59, vcc, 0, v59, vcc
	v_accvgpr_read_b32 v1, a19
	flat_store_dwordx2 v[0:1], v[58:59]
	s_branch .LBB6_10564
.LBB6_10701:                            ;   in Loop: Header=BB6_47 Depth=1
	s_or_b64 exec, exec, s[30:31]
.LBB6_10702:                            ;   in Loop: Header=BB6_47 Depth=1
	s_or_b64 exec, exec, s[28:29]
	v_cmp_gt_i32_e32 vcc, 2, v2
	s_and_saveexec_b64 s[28:29], vcc
	s_cbranch_execnz .LBB6_10703
; %bb.10825:                            ;   in Loop: Header=BB6_47 Depth=1
	s_getpc_b64 s[98:99]
.Lpost_getpc23:
	s_add_u32 s98, s98, (.LBB6_46-.Lpost_getpc23)&4294967295
	s_addc_u32 s99, s99, (.LBB6_46-.Lpost_getpc23)>>32
	s_setpc_b64 s[98:99]
.LBB6_10703:                            ;   in Loop: Header=BB6_47 Depth=1
	v_cmp_eq_u32_e64 s[26:27], 0, v2
	s_mov_b64 s[30:31], 0
	s_branch .LBB6_10705
.LBB6_10704:                            ;   in Loop: Header=BB6_10705 Depth=2
	s_or_b64 exec, exec, s[26:27]
	v_add_u32_e32 v10, v9, v10
	s_mov_b64 s[26:27], 0
	s_andn2_b64 exec, exec, s[30:31]
	s_cbranch_execnz .LBB6_10705
; %bb.10827:                            ;   in Loop: Header=BB6_47 Depth=1
	s_getpc_b64 s[98:99]
.Lpost_getpc24:
	s_add_u32 s98, s98, (.LBB6_45-.Lpost_getpc24)&4294967295
	s_addc_u32 s99, s99, (.LBB6_45-.Lpost_getpc24)>>32
	s_setpc_b64 s[98:99]
.LBB6_10705:                            ;   Parent Loop BB6_47 Depth=1
                                        ; =>  This Loop Header: Depth=2
                                        ;       Child Loop BB6_10711 Depth 3
                                        ;       Child Loop BB6_10735 Depth 3
                                        ;       Child Loop BB6_10758 Depth 3
	v_and_b32_e32 v0, 4, v46
	s_mov_b64 s[58:59], -1
	v_cmp_ne_u32_e32 vcc, 0, v0
	s_and_saveexec_b64 s[34:35], vcc
	s_cbranch_execz .LBB6_10717
; %bb.10706:                            ;   in Loop: Header=BB6_10705 Depth=2
	v_add_co_u32_e32 v0, vcc, 2, v58
	v_accvgpr_read_b32 v2, a26
	v_addc_co_u32_e32 v1, vcc, 0, v59, vcc
	v_accvgpr_read_b32 v3, a27
	v_cmp_lt_u64_e32 vcc, v[2:3], v[0:1]
	v_mov_b32_e32 v2, 1
	s_and_saveexec_b64 s[58:59], vcc
	s_cbranch_execz .LBB6_10716
; %bb.10707:                            ;   in Loop: Header=BB6_10705 Depth=2
	s_mov_b64 s[60:61], 0
	v_mov_b32_e32 v2, 0
                                        ; implicit-def: $sgpr62_sgpr63
	s_branch .LBB6_10711
.LBB6_10708:                            ;   in Loop: Header=BB6_10711 Depth=3
	s_or_b64 exec, exec, s[70:71]
	v_mov_b32_e32 v3, 0
	s_orn2_b64 s[68:69], s[68:69], exec
.LBB6_10709:                            ;   in Loop: Header=BB6_10711 Depth=3
	s_or_b64 exec, exec, s[66:67]
	s_andn2_b64 vcc, s[62:63], exec
	s_and_b64 s[50:51], s[68:69], exec
	s_or_b64 s[62:63], vcc, s[50:51]
	v_mov_b32_e32 v2, v3
.LBB6_10710:                            ;   in Loop: Header=BB6_10711 Depth=3
	s_or_b64 exec, exec, s[64:65]
	s_waitcnt vmcnt(0) lgkmcnt(0)
	v_accvgpr_read_b32 v4, a26
	v_accvgpr_read_b32 v5, a27
	v_cmp_ge_u64_e32 vcc, v[4:5], v[0:1]
	s_xor_b64 s[50:51], s[62:63], -1
	s_or_b64 vcc, s[50:51], vcc
	s_and_b64 vcc, exec, vcc
	s_or_b64 s[60:61], vcc, s[60:61]
	s_andn2_b64 exec, exec, s[60:61]
	s_cbranch_execz .LBB6_10715
.LBB6_10711:                            ;   Parent Loop BB6_47 Depth=1
                                        ;     Parent Loop BB6_10705 Depth=2
                                        ; =>    This Inner Loop Header: Depth=3
	v_accvgpr_read_b32 v4, a18
	v_accvgpr_read_b32 v5, a19
	s_sleep 1
	flat_load_dwordx2 a[26:27], v[4:5] glc
	v_and_b32_e32 v3, 64, v46
	v_cmp_eq_u32_e32 vcc, 0, v3
	s_andn2_b64 s[62:63], s[62:63], exec
	s_and_saveexec_b64 s[64:65], vcc
	s_cbranch_execz .LBB6_10710
; %bb.10712:                            ;   in Loop: Header=BB6_10711 Depth=3
	v_add_u32_e32 v3, 1, v2
	v_cmp_lt_i32_e32 vcc, s91, v2
	s_mov_b64 s[68:69], -1
	s_and_saveexec_b64 s[66:67], vcc
	s_cbranch_execz .LBB6_10709
; %bb.10713:                            ;   in Loop: Header=BB6_10711 Depth=3
	s_trap 2
	ds_read_b64 v[2:3], v0
	s_waitcnt vmcnt(0) lgkmcnt(0)
	flat_load_dword v2, v[2:3] glc
	s_waitcnt vmcnt(0) lgkmcnt(0)
	buffer_invl2
	buffer_wbinvl1_vol
	v_cmp_ne_u32_e32 vcc, 0, v2
	s_and_saveexec_b64 s[70:71], vcc
	s_cbranch_execz .LBB6_10708
; %bb.10714:                            ;   in Loop: Header=BB6_10711 Depth=3
	v_or_b32_e32 v46, 64, v46
	s_xor_b64 s[68:69], exec, -1
	ds_write_b32 v0, v2
	s_trap 2
	s_branch .LBB6_10708
.LBB6_10715:                            ;   in Loop: Header=BB6_10705 Depth=2
	s_or_b64 exec, exec, s[60:61]
	v_and_b32_e32 v2, 4, v46
.LBB6_10716:                            ;   in Loop: Header=BB6_10705 Depth=2
	s_or_b64 exec, exec, s[58:59]
	v_cmp_eq_u32_e32 vcc, 0, v2
	s_orn2_b64 s[58:59], vcc, exec
	;;#ASMSTART
	s_wakeup
	;;#ASMEND
.LBB6_10717:                            ;   in Loop: Header=BB6_10705 Depth=2
	s_or_b64 exec, exec, s[34:35]
	s_xor_b64 s[26:27], s[26:27], -1
	s_and_b64 s[26:27], exec, s[26:27]
	s_or_b64 s[30:31], s[26:27], s[30:31]
	s_xor_b64 s[26:27], s[58:59], -1
	s_and_saveexec_b64 s[34:35], s[26:27]
	s_cbranch_execz .LBB6_10727
; %bb.10718:                            ;   in Loop: Header=BB6_10705 Depth=2
	v_and_b32_e32 v0, 0x100, v46
	v_cmp_ne_u32_e32 vcc, 0, v0
	v_and_b32_e32 v4, 7, v58
	s_mov_b64 s[26:27], -1
                                        ; implicit-def: $vgpr0_vgpr1
	s_and_saveexec_b64 s[58:59], vcc
	s_cbranch_execz .LBB6_10722
; %bb.10719:                            ;   in Loop: Header=BB6_10705 Depth=2
	v_mad_u64_u32 v[2:3], s[26:27], v4, 24, v[24:25]
	flat_load_dword v0, v[2:3]
	s_waitcnt vmcnt(0) lgkmcnt(0)
	v_cmp_ne_u32_e32 vcc, 1, v0
	v_cmp_eq_u32_e64 s[26:27], 1, v0
                                        ; implicit-def: $vgpr0_vgpr1
	s_and_saveexec_b64 s[60:61], s[26:27]
	s_cbranch_execz .LBB6_10721
; %bb.10720:                            ;   in Loop: Header=BB6_10705 Depth=2
	flat_load_dword v0, v[2:3] offset:4 glc
	s_waitcnt vmcnt(0) lgkmcnt(0)
	v_ashrrev_i32_e32 v1, 31, v0
.LBB6_10721:                            ;   in Loop: Header=BB6_10705 Depth=2
	s_or_b64 exec, exec, s[60:61]
	s_orn2_b64 s[26:27], vcc, exec
.LBB6_10722:                            ;   in Loop: Header=BB6_10705 Depth=2
	s_or_b64 exec, exec, s[58:59]
	s_and_saveexec_b64 vcc, s[26:27]
; %bb.10723:                            ;   in Loop: Header=BB6_10705 Depth=2
	v_accvgpr_read_b32 v0, a20
	v_mad_i64_i32 v[0:1], s[26:27], v4, v0, 0
; %bb.10724:                            ;   in Loop: Header=BB6_10705 Depth=2
	s_or_b64 exec, exec, vcc
	v_accvgpr_read_b32 v2, a22
	v_accvgpr_read_b32 v3, a23
	v_add_co_u32_e32 v0, vcc, v2, v0
	v_addc_co_u32_e32 v1, vcc, v3, v1, vcc
	ds_write_b64 v0, v[0:1] offset:720
	v_and_b32_e32 v0, 0x2000, v46
	v_cmp_ne_u32_e32 vcc, 0, v0
	s_and_saveexec_b64 s[26:27], vcc
	s_cbranch_execz .LBB6_10726
; %bb.10725:                            ;   in Loop: Header=BB6_10705 Depth=2
	ds_read_b64 v[0:1], v0 offset:584
	s_waitcnt lgkmcnt(0)
	v_add_co_u32_e32 v0, vcc, 1, v0
	v_addc_co_u32_e32 v1, vcc, 0, v1, vcc
	ds_write_b64 v0, v[0:1] offset:584
.LBB6_10726:                            ;   in Loop: Header=BB6_10705 Depth=2
	s_or_b64 exec, exec, s[26:27]
	v_add_co_u32_e32 v58, vcc, 2, v58
	v_addc_co_u32_e32 v59, vcc, 0, v59, vcc
.LBB6_10727:                            ;   in Loop: Header=BB6_10705 Depth=2
	s_or_b64 exec, exec, s[34:35]
	s_and_saveexec_b64 s[26:27], s[10:11]
	s_cbranch_execz .LBB6_10746
; %bb.10728:                            ;   in Loop: Header=BB6_10705 Depth=2
	s_and_saveexec_b64 vcc, s[44:45]
	s_xor_b64 s[34:35], exec, vcc
	s_cbranch_execz .LBB6_10743
; %bb.10729:                            ;   in Loop: Header=BB6_10705 Depth=2
	s_and_saveexec_b64 s[58:59], s[16:17]
	s_cbranch_execz .LBB6_10742
; %bb.10730:                            ;   in Loop: Header=BB6_10705 Depth=2
	s_mov_b64 s[62:63], exec
	v_mbcnt_lo_u32_b32 v0, s62, 0
	v_mbcnt_hi_u32_b32 v0, s63, v0
	v_cmp_eq_u32_e32 vcc, 0, v0
	s_waitcnt vmcnt(0) lgkmcnt(0)
	buffer_wbinvl1_vol
	s_and_saveexec_b64 s[60:61], vcc
	s_cbranch_execz .LBB6_10732
; %bb.10731:                            ;   in Loop: Header=BB6_10705 Depth=2
	s_bcnt1_i32_b64 vcc_lo, s[62:63]
	v_mov_b32_e32 v50, vcc_lo
	ds_add_u64 v0, v[50:51]
	s_trap 2
.LBB6_10732:                            ;   in Loop: Header=BB6_10705 Depth=2
	s_or_b64 exec, exec, s[60:61]
	s_trap 2
	ds_read_b64 v[0:1], v0
	v_accvgpr_read_b32 v2, a28
	v_accvgpr_read_b32 v3, a29
	v_add_co_u32_e32 v2, vcc, v2, v40
	v_addc_co_u32_e32 v3, vcc, 0, v3, vcc
	v_accvgpr_write_b32 a29, v3
	v_accvgpr_write_b32 a28, v2
	s_waitcnt lgkmcnt(0)
	v_cmp_lt_u64_e32 vcc, v[0:1], v[2:3]
	s_and_saveexec_b64 s[60:61], vcc
	s_cbranch_execz .LBB6_10741
; %bb.10733:                            ;   in Loop: Header=BB6_10705 Depth=2
	s_mov_b32 s72, 0
	s_mov_b64 s[62:63], 0
                                        ; implicit-def: $sgpr64_sgpr65
                                        ; implicit-def: $sgpr66_sgpr67
	s_branch .LBB6_10735
.LBB6_10734:                            ;   in Loop: Header=BB6_10735 Depth=3
	s_or_b64 exec, exec, s[70:71]
	s_and_b64 vcc, exec, vcc
	s_or_b64 s[62:63], vcc, s[62:63]
	s_andn2_b64 vcc, s[64:65], exec
	s_and_b64 s[50:51], s[66:67], exec
	s_or_b64 s[64:65], vcc, s[50:51]
	s_andn2_b64 exec, exec, s[62:63]
	s_cbranch_execz .LBB6_10739
.LBB6_10735:                            ;   Parent Loop BB6_47 Depth=1
                                        ;     Parent Loop BB6_10705 Depth=2
                                        ; =>    This Inner Loop Header: Depth=3
	s_add_i32 s72, s72, 1
	s_cmpk_lg_i32 s72, 0x2710
	s_cselect_b64 s[68:69], -1, 0
	s_and_b64 vcc, exec, s[68:69]
                                        ; implicit-def: $sgpr70_sgpr71
	s_cbranch_vccnz .LBB6_10737
; %bb.10736:                            ;   in Loop: Header=BB6_10735 Depth=3
	s_trap 2
	ds_read_b64 v[0:1], v0
	s_andn2_b64 s[50:51], s[68:69], exec
	s_mov_b32 s72, 0
	s_mov_b64 s[70:71], -1
	s_waitcnt lgkmcnt(0)
	flat_load_dword v0, v[0:1] glc
	s_waitcnt vmcnt(0) lgkmcnt(0)
	buffer_invl2
	buffer_wbinvl1_vol
	v_cmp_eq_u32_e32 vcc, 0, v0
	s_and_b64 vcc, vcc, exec
	s_or_b64 s[68:69], s[50:51], vcc
.LBB6_10737:                            ;   in Loop: Header=BB6_10735 Depth=3
	s_andn2_b64 s[50:51], s[66:67], exec
	s_and_b64 s[66:67], s[70:71], exec
	s_mov_b64 vcc, -1
	s_or_b64 s[66:67], s[50:51], s[66:67]
	s_and_saveexec_b64 s[70:71], s[68:69]
	s_cbranch_execz .LBB6_10734
; %bb.10738:                            ;   in Loop: Header=BB6_10735 Depth=3
	s_sleep 1
	s_trap 2
	ds_read_b64 v[0:1], v0
	v_accvgpr_read_b32 v2, a28
	v_accvgpr_read_b32 v3, a29
	s_andn2_b64 s[66:67], s[66:67], exec
	s_waitcnt lgkmcnt(0)
	v_cmp_ge_u64_e32 vcc, v[0:1], v[2:3]
	s_orn2_b64 vcc, vcc, exec
	s_branch .LBB6_10734
.LBB6_10739:                            ;   in Loop: Header=BB6_10705 Depth=2
	s_or_b64 exec, exec, s[62:63]
	s_and_saveexec_b64 vcc, s[64:65]
	s_xor_b64 vcc, exec, vcc
	s_cbranch_execz .LBB6_10741
; %bb.10740:                            ;   in Loop: Header=BB6_10705 Depth=2
	v_mov_b32_e32 v0, 1
	ds_write_b32 v0, v0
	s_trap 2
.LBB6_10741:                            ;   in Loop: Header=BB6_10705 Depth=2
	s_or_b64 exec, exec, s[60:61]
	;;#ASMSTART
	s_wakeup
	;;#ASMEND
.LBB6_10742:                            ;   in Loop: Header=BB6_10705 Depth=2
	s_or_b64 exec, exec, s[58:59]
.LBB6_10743:                            ;   in Loop: Header=BB6_10705 Depth=2
	s_andn2_saveexec_b64 vcc, s[34:35]
	s_cbranch_execz .LBB6_10745
; %bb.10744:                            ;   in Loop: Header=BB6_10705 Depth=2
	s_waitcnt vmcnt(0) lgkmcnt(0)
	buffer_wbinvl1_vol
	s_barrier
.LBB6_10745:                            ;   in Loop: Header=BB6_10705 Depth=2
	s_or_b64 exec, exec, vcc
.LBB6_10746:                            ;   in Loop: Header=BB6_10705 Depth=2
	s_or_b64 exec, exec, s[26:27]
	v_sub_u32_e32 v0, v8, v10
	v_min_i32_e32 v9, v9, v0
	s_and_saveexec_b64 s[26:27], s[24:25]
	s_xor_b64 s[26:27], exec, s[26:27]
	s_cbranch_execz .LBB6_10750
; %bb.10747:                            ;   in Loop: Header=BB6_10705 Depth=2
	s_trap 2
	ds_read_b32 v0, v0
	v_cmp_lt_i32_e32 vcc, 0, v9
	v_and_b32_e32 v1, 16, v46
	s_waitcnt lgkmcnt(0)
	v_readfirstlane_b32 s34, v0
	s_cmp_eq_u32 s34, 0
	s_cselect_b64 s[34:35], -1, 0
	s_and_b64 s[34:35], vcc, s[34:35]
	v_cmp_ne_u32_e32 vcc, 0, v1
	s_and_b64 s[34:35], vcc, s[34:35]
	s_and_saveexec_b64 vcc, s[34:35]
	s_cbranch_execz .LBB6_10749
; %bb.10748:                            ;   in Loop: Header=BB6_10705 Depth=2
	s_waitcnt vmcnt(0)
	buffer_wbinvl1_vol
.LBB6_10749:                            ;   in Loop: Header=BB6_10705 Depth=2
	s_or_b64 exec, exec, vcc
.LBB6_10750:                            ;   in Loop: Header=BB6_10705 Depth=2
	s_andn2_saveexec_b64 s[26:27], s[26:27]
	s_cbranch_execz .LBB6_10769
; %bb.10751:                            ;   in Loop: Header=BB6_10705 Depth=2
	s_and_saveexec_b64 vcc, s[44:45]
	s_xor_b64 s[34:35], exec, vcc
	s_cbranch_execz .LBB6_10766
; %bb.10752:                            ;   in Loop: Header=BB6_10705 Depth=2
	s_and_saveexec_b64 s[58:59], s[16:17]
	s_cbranch_execz .LBB6_10765
; %bb.10753:                            ;   in Loop: Header=BB6_10705 Depth=2
	s_mov_b64 s[62:63], exec
	v_mbcnt_lo_u32_b32 v0, s62, 0
	v_mbcnt_hi_u32_b32 v0, s63, v0
	v_cmp_eq_u32_e32 vcc, 0, v0
	;;#ASMSTART
	s_waitcnt lgkmcnt(0) vmcnt(0)
	;;#ASMEND
	s_and_saveexec_b64 s[60:61], vcc
	s_cbranch_execz .LBB6_10755
; %bb.10754:                            ;   in Loop: Header=BB6_10705 Depth=2
	s_bcnt1_i32_b64 vcc_lo, s[62:63]
	v_mov_b32_e32 v50, vcc_lo
	ds_add_u64 v0, v[50:51]
	s_trap 2
.LBB6_10755:                            ;   in Loop: Header=BB6_10705 Depth=2
	s_or_b64 exec, exec, s[60:61]
	s_trap 2
	ds_read_b64 v[0:1], v0
	v_accvgpr_read_b32 v2, a28
	v_accvgpr_read_b32 v3, a29
	v_add_co_u32_e32 v2, vcc, v2, v40
	v_addc_co_u32_e32 v3, vcc, 0, v3, vcc
	v_accvgpr_write_b32 a29, v3
	v_accvgpr_write_b32 a28, v2
	s_waitcnt lgkmcnt(0)
	v_cmp_lt_u64_e32 vcc, v[0:1], v[2:3]
	s_and_saveexec_b64 s[60:61], vcc
	s_cbranch_execz .LBB6_10764
; %bb.10756:                            ;   in Loop: Header=BB6_10705 Depth=2
	s_mov_b32 s72, 0
	s_mov_b64 s[62:63], 0
                                        ; implicit-def: $sgpr64_sgpr65
                                        ; implicit-def: $sgpr66_sgpr67
	s_branch .LBB6_10758
.LBB6_10757:                            ;   in Loop: Header=BB6_10758 Depth=3
	s_or_b64 exec, exec, s[70:71]
	s_and_b64 vcc, exec, vcc
	s_or_b64 s[62:63], vcc, s[62:63]
	s_andn2_b64 vcc, s[64:65], exec
	s_and_b64 s[50:51], s[66:67], exec
	s_or_b64 s[64:65], vcc, s[50:51]
	s_andn2_b64 exec, exec, s[62:63]
	s_cbranch_execz .LBB6_10762
.LBB6_10758:                            ;   Parent Loop BB6_47 Depth=1
                                        ;     Parent Loop BB6_10705 Depth=2
                                        ; =>    This Inner Loop Header: Depth=3
	s_add_i32 s72, s72, 1
	s_cmpk_lg_i32 s72, 0x2710
	s_cselect_b64 s[68:69], -1, 0
	s_and_b64 vcc, exec, s[68:69]
                                        ; implicit-def: $sgpr70_sgpr71
	s_cbranch_vccnz .LBB6_10760
; %bb.10759:                            ;   in Loop: Header=BB6_10758 Depth=3
	s_trap 2
	ds_read_b64 v[0:1], v0
	s_andn2_b64 s[50:51], s[68:69], exec
	s_mov_b32 s72, 0
	s_mov_b64 s[70:71], -1
	s_waitcnt vmcnt(0) lgkmcnt(0)
	flat_load_dword v0, v[0:1] glc
	s_waitcnt vmcnt(0) lgkmcnt(0)
	buffer_invl2
	buffer_wbinvl1_vol
	v_cmp_eq_u32_e32 vcc, 0, v0
	s_and_b64 vcc, vcc, exec
	s_or_b64 s[68:69], s[50:51], vcc
.LBB6_10760:                            ;   in Loop: Header=BB6_10758 Depth=3
	s_andn2_b64 s[50:51], s[66:67], exec
	s_and_b64 s[66:67], s[70:71], exec
	s_mov_b64 vcc, -1
	s_or_b64 s[66:67], s[50:51], s[66:67]
	s_and_saveexec_b64 s[70:71], s[68:69]
	s_cbranch_execz .LBB6_10757
; %bb.10761:                            ;   in Loop: Header=BB6_10758 Depth=3
	s_sleep 1
	s_trap 2
	ds_read_b64 v[0:1], v0
	v_accvgpr_read_b32 v2, a28
	v_accvgpr_read_b32 v3, a29
	s_andn2_b64 s[66:67], s[66:67], exec
	s_waitcnt lgkmcnt(0)
	v_cmp_ge_u64_e32 vcc, v[0:1], v[2:3]
	s_orn2_b64 vcc, vcc, exec
	s_branch .LBB6_10757
.LBB6_10762:                            ;   in Loop: Header=BB6_10705 Depth=2
	s_or_b64 exec, exec, s[62:63]
	s_and_saveexec_b64 vcc, s[64:65]
	s_xor_b64 vcc, exec, vcc
	s_cbranch_execz .LBB6_10764
; %bb.10763:                            ;   in Loop: Header=BB6_10705 Depth=2
	v_mov_b32_e32 v0, 1
	ds_write_b32 v0, v0
	s_trap 2
.LBB6_10764:                            ;   in Loop: Header=BB6_10705 Depth=2
	s_or_b64 exec, exec, s[60:61]
	;;#ASMSTART
	s_wakeup
	;;#ASMEND
.LBB6_10765:                            ;   in Loop: Header=BB6_10705 Depth=2
	s_or_b64 exec, exec, s[58:59]
.LBB6_10766:                            ;   in Loop: Header=BB6_10705 Depth=2
	s_andn2_saveexec_b64 vcc, s[34:35]
	s_cbranch_execz .LBB6_10768
; %bb.10767:                            ;   in Loop: Header=BB6_10705 Depth=2
	;;#ASMSTART
	s_waitcnt lgkmcnt(0) vmcnt(0)
	;;#ASMEND
	s_barrier
.LBB6_10768:                            ;   in Loop: Header=BB6_10705 Depth=2
	s_or_b64 exec, exec, vcc
.LBB6_10769:                            ;   in Loop: Header=BB6_10705 Depth=2
	s_or_b64 exec, exec, s[26:27]
	v_and_b32_e32 v0, 32, v46
	v_cmp_ne_u32_e32 vcc, 0, v0
	s_and_saveexec_b64 s[26:27], vcc
	s_cbranch_execz .LBB6_10704
; %bb.10770:                            ;   in Loop: Header=BB6_10705 Depth=2
	v_add_co_u32_e32 v58, vcc, 2, v58
	v_accvgpr_read_b32 v0, a18
	v_addc_co_u32_e32 v59, vcc, 0, v59, vcc
	v_accvgpr_read_b32 v1, a19
	flat_store_dwordx2 v[0:1], v[58:59]
	s_branch .LBB6_10704
.LBB6_10771:
	v_readlane_b32 s4, v61, 0
	v_readlane_b32 s5, v61, 1
	s_or_b64 exec, exec, s[4:5]
	buffer_load_dword v18, off, s[0:3], s33 offset:240 ; 4-byte Folded Reload
	buffer_load_dword v31, off, s[0:3], s33 offset:236 ; 4-byte Folded Reload
	v_readlane_b32 s28, v61, 6
	v_readlane_b32 s26, v61, 4
	v_accvgpr_read_b32 v21, a13
	v_readlane_b32 s29, v61, 7
	v_readlane_b32 s27, v61, 5
	v_accvgpr_read_b32 v20, a12
.LBB6_10772:
	v_readlane_b32 s4, v61, 2
	v_readlane_b32 s5, v61, 3
	s_or_b64 exec, exec, s[4:5]
	v_and_b32_e32 v0, 0x800, v46
	v_cmp_eq_u32_e32 vcc, 0, v0
	s_and_saveexec_b64 s[4:5], vcc
	s_cbranch_execz .LBB6_10807
; %bb.10773:
	v_and_b32_e32 v0, 48, v46
	v_cmp_ne_u32_e32 vcc, 0, v0
	s_and_saveexec_b64 s[6:7], vcc
	s_cbranch_execz .LBB6_10775
; %bb.10774:
	flat_store_dwordx2 v[20:21], v[58:59] offset:104
.LBB6_10775:
	s_or_b64 exec, exec, s[6:7]
	s_movk_i32 s6, 0x88
	v_and_b32_e32 v0, 0x88, v46
	v_cmp_eq_u32_e32 vcc, s6, v0
	s_and_saveexec_b64 s[6:7], vcc
	s_cbranch_execz .LBB6_10787
; %bb.10776:
	v_add_u32_e32 v0, 6, v58
	v_and_b32_e32 v0, 7, v0
	v_mad_u64_u32 v[0:1], s[8:9], v0, 24, v[24:25]
	v_add_co_u32_e32 v0, vcc, 8, v0
	v_addc_co_u32_e32 v1, vcc, 0, v1, vcc
	s_mov_b64 s[10:11], 0
	v_mov_b32_e32 v2, 0
	s_movk_i32 s8, 0x270e
                                        ; implicit-def: $sgpr12_sgpr13
	s_branch .LBB6_10781
.LBB6_10777:                            ;   in Loop: Header=BB6_10781 Depth=1
	s_or_b64 exec, exec, s[22:23]
	v_mov_b32_e32 v3, 0
	s_orn2_b64 s[20:21], s[20:21], exec
.LBB6_10778:                            ;   in Loop: Header=BB6_10781 Depth=1
	s_or_b64 exec, exec, s[18:19]
	s_and_b64 s[18:19], s[20:21], exec
	v_mov_b32_e32 v2, v3
.LBB6_10779:                            ;   in Loop: Header=BB6_10781 Depth=1
	s_or_b64 exec, exec, s[16:17]
	s_xor_b64 s[16:17], s[18:19], -1
	s_andn2_b64 s[12:13], s[12:13], exec
	s_and_b64 s[16:17], s[16:17], exec
	s_or_b64 s[12:13], s[12:13], s[16:17]
.LBB6_10780:                            ;   in Loop: Header=BB6_10781 Depth=1
	s_or_b64 exec, exec, s[14:15]
	s_and_b64 s[14:15], exec, s[12:13]
	s_or_b64 s[10:11], s[14:15], s[10:11]
	s_andn2_b64 exec, exec, s[10:11]
	s_cbranch_execz .LBB6_10786
.LBB6_10781:                            ; =>This Inner Loop Header: Depth=1
	flat_load_dwordx2 v[4:5], v[0:1] glc
	s_waitcnt vmcnt(0)
	s_or_b64 s[12:13], s[12:13], exec
	s_waitcnt lgkmcnt(0)
	v_cmp_ne_u64_e32 vcc, -1, v[4:5]
	s_and_saveexec_b64 s[14:15], vcc
	s_cbranch_execz .LBB6_10780
; %bb.10782:                            ;   in Loop: Header=BB6_10781 Depth=1
	v_and_b32_e32 v3, 64, v46
	v_cmp_eq_u32_e32 vcc, 0, v3
	s_mov_b64 s[18:19], 0
	s_and_saveexec_b64 s[16:17], vcc
	s_cbranch_execz .LBB6_10779
; %bb.10783:                            ;   in Loop: Header=BB6_10781 Depth=1
	v_add_u32_e32 v3, 1, v2
	v_cmp_lt_i32_e32 vcc, s8, v2
	s_mov_b64 s[20:21], -1
	s_and_saveexec_b64 s[18:19], vcc
	s_cbranch_execz .LBB6_10778
; %bb.10784:                            ;   in Loop: Header=BB6_10781 Depth=1
	s_trap 2
	ds_read_b64 v[2:3], v0
	s_waitcnt lgkmcnt(0)
	flat_load_dword v2, v[2:3] glc
	s_waitcnt vmcnt(0) lgkmcnt(0)
	buffer_invl2
	buffer_wbinvl1_vol
	v_cmp_ne_u32_e32 vcc, 0, v2
	s_and_saveexec_b64 s[22:23], vcc
	s_cbranch_execz .LBB6_10777
; %bb.10785:                            ;   in Loop: Header=BB6_10781 Depth=1
	v_or_b32_e32 v46, 64, v46
	s_xor_b64 s[20:21], exec, -1
	ds_write_b32 v0, v2
	s_trap 2
	s_branch .LBB6_10777
.LBB6_10786:
	s_or_b64 exec, exec, s[10:11]
.LBB6_10787:
	s_or_b64 exec, exec, s[6:7]
	v_and_b32_e32 v0, 0x2000, v46
	v_cmp_ne_u32_e32 vcc, 0, v0
	s_and_saveexec_b64 s[6:7], vcc
	s_cbranch_execz .LBB6_10789
; %bb.10788:
	s_trap 2
	ds_read_b64 v[0:1], v0
	buffer_load_dword v2, off, s[0:3], s33 offset:244 ; 4-byte Folded Reload
	buffer_load_dword v3, off, s[0:3], s33 offset:248 ; 4-byte Folded Reload
	s_waitcnt vmcnt(0) lgkmcnt(0)
	flat_store_dwordx2 v[2:3], v[0:1] offset:16
.LBB6_10789:
	s_or_b64 exec, exec, s[6:7]
	s_waitcnt vmcnt(0)
	v_cmp_ne_u32_e32 vcc, 64, v18
	s_and_b64 exec, exec, vcc
	s_cbranch_execz .LBB6_10807
; %bb.10790:
	v_accvgpr_read_b32 v0, a1
	v_cmp_ne_u32_sdwa s[6:7], v0, v18 src0_sel:WORD_0 src1_sel:DWORD
	s_and_saveexec_b64 s[8:9], s[6:7]
	s_xor_b64 s[6:7], exec, s[8:9]
	s_cbranch_execz .LBB6_10805
; %bb.10791:
	v_and_b32_e32 v0, 63, v31
	v_cmp_eq_u32_e32 vcc, 0, v0
	s_and_saveexec_b64 s[10:11], vcc
	s_cbranch_execz .LBB6_10804
; %bb.10792:
	s_mov_b64 s[14:15], exec
	v_mbcnt_lo_u32_b32 v0, s14, 0
	v_mbcnt_hi_u32_b32 v0, s15, v0
	v_cmp_eq_u32_e32 vcc, 0, v0
	s_waitcnt lgkmcnt(0)
	buffer_wbinvl1_vol
	s_and_saveexec_b64 s[12:13], vcc
	s_cbranch_execz .LBB6_10794
; %bb.10793:
	s_bcnt1_i32_b64 s8, s[14:15]
	v_mov_b32_e32 v0, s8
	v_mov_b32_e32 v1, 0
	ds_add_u64 v0, v[0:1]
	s_trap 2
.LBB6_10794:
	s_or_b64 exec, exec, s[12:13]
	v_ashrrev_i32_e32 v0, 31, v18
	v_lshrrev_b32_e32 v0, 26, v0
	v_add_u32_e32 v0, v18, v0
	v_ashrrev_i32_e32 v0, 6, v0
	s_trap 2
	ds_read_b64 v[2:3], v0
	v_accvgpr_read_b32 v4, a28
	v_ashrrev_i32_e32 v1, 31, v0
	v_accvgpr_read_b32 v5, a29
	v_add_co_u32_e32 v0, vcc, v4, v0
	v_addc_co_u32_e32 v1, vcc, v5, v1, vcc
	s_waitcnt lgkmcnt(0)
	v_cmp_lt_u64_e32 vcc, v[2:3], v[0:1]
	s_and_saveexec_b64 s[12:13], vcc
	s_cbranch_execz .LBB6_10803
; %bb.10795:
	s_mov_b32 s8, 0
	s_mov_b64 s[14:15], 0
                                        ; implicit-def: $sgpr16_sgpr17
                                        ; implicit-def: $sgpr18_sgpr19
	s_branch .LBB6_10797
.LBB6_10796:                            ;   in Loop: Header=BB6_10797 Depth=1
	s_or_b64 exec, exec, s[24:25]
	s_and_b64 s[20:21], exec, s[22:23]
	s_or_b64 s[14:15], s[20:21], s[14:15]
	s_andn2_b64 s[16:17], s[16:17], exec
	s_and_b64 s[20:21], s[18:19], exec
	s_or_b64 s[16:17], s[16:17], s[20:21]
	s_andn2_b64 exec, exec, s[14:15]
	s_cbranch_execz .LBB6_10801
.LBB6_10797:                            ; =>This Inner Loop Header: Depth=1
	s_add_i32 s8, s8, 1
	s_cmpk_lg_i32 s8, 0x2710
	s_cselect_b64 s[20:21], -1, 0
	s_and_b64 vcc, exec, s[20:21]
                                        ; implicit-def: $sgpr24_sgpr25
	s_cbranch_vccnz .LBB6_10799
; %bb.10798:                            ;   in Loop: Header=BB6_10797 Depth=1
	s_trap 2
	ds_read_b64 v[2:3], v0
	s_andn2_b64 s[20:21], s[20:21], exec
	s_mov_b32 s8, 0
	s_mov_b64 s[24:25], -1
	s_waitcnt lgkmcnt(0)
	flat_load_dword v2, v[2:3] glc
	s_waitcnt vmcnt(0) lgkmcnt(0)
	buffer_invl2
	buffer_wbinvl1_vol
	v_cmp_eq_u32_e32 vcc, 0, v2
	s_and_b64 s[22:23], vcc, exec
	s_or_b64 s[20:21], s[20:21], s[22:23]
.LBB6_10799:                            ;   in Loop: Header=BB6_10797 Depth=1
	s_andn2_b64 s[18:19], s[18:19], exec
	s_and_b64 s[24:25], s[24:25], exec
	s_mov_b64 s[22:23], -1
	s_or_b64 s[18:19], s[18:19], s[24:25]
	s_and_saveexec_b64 s[24:25], s[20:21]
	s_cbranch_execz .LBB6_10796
; %bb.10800:                            ;   in Loop: Header=BB6_10797 Depth=1
	s_sleep 1
	s_trap 2
	ds_read_b64 v[2:3], v0
	s_andn2_b64 s[18:19], s[18:19], exec
	s_waitcnt lgkmcnt(0)
	v_cmp_ge_u64_e32 vcc, v[2:3], v[0:1]
	s_orn2_b64 s[22:23], vcc, exec
	s_branch .LBB6_10796
.LBB6_10801:
	s_or_b64 exec, exec, s[14:15]
	s_and_saveexec_b64 s[8:9], s[16:17]
	s_xor_b64 s[8:9], exec, s[8:9]
	s_cbranch_execz .LBB6_10803
; %bb.10802:
	v_mov_b32_e32 v0, 1
	ds_write_b32 v0, v0
	s_trap 2
.LBB6_10803:
	s_or_b64 exec, exec, s[12:13]
	;;#ASMSTART
	s_wakeup
	;;#ASMEND
.LBB6_10804:
	s_or_b64 exec, exec, s[10:11]
.LBB6_10805:
	s_andn2_saveexec_b64 s[6:7], s[6:7]
	s_cbranch_execz .LBB6_10807
; %bb.10806:
	s_waitcnt lgkmcnt(0)
	buffer_wbinvl1_vol
	s_barrier
.LBB6_10807:
	s_or_b64 exec, exec, s[4:5]
.LBB6_10808:
	s_andn2_saveexec_b64 s[26:27], s[26:27]
	s_cbranch_execz .LBB6_10810
; %bb.10809:
	s_getpc_b64 s[4:5]
	s_add_u32 s4, s4, __PRETTY_FUNCTION__._ZN10PrimitivesI14__hip_fp8_e5m210FuncMinMaxIS0_E12FanSymmetricILi1EELi0E11ProtoSimpleILi2ELi2ELi0ELi4ELi0ELi0EELi0ELb0ELi0ELi0ELi0EEC2EiiPKiS9_PKvPvmhhhP15ncclDevWorkCollP14ncclDevWorkP2pii@rel32@lo+4
	s_addc_u32 s5, s5, __PRETTY_FUNCTION__._ZN10PrimitivesI14__hip_fp8_e5m210FuncMinMaxIS0_E12FanSymmetricILi1EELi0E11ProtoSimpleILi2ELi2ELi0ELi4ELi0ELi0EELi0ELb0ELi0ELi0ELi0EEC2EiiPKiS9_PKvPvmhhhP15ncclDevWorkCollP14ncclDevWorkP2pii@rel32@hi+12
	s_mov_b64 s[8:9], s[28:29]
	v_mov_b32_e32 v0, s4
	v_mov_b32_e32 v1, s5
	s_getpc_b64 s[6:7]
	s_add_u32 s6, s6, __assert_fail@rel32@lo+4
	s_addc_u32 s7, s7, __assert_fail@rel32@hi+12
	s_swappc_b64 s[30:31], s[6:7]
	; divergent unreachable
.LBB6_10810:
	s_or_b64 exec, exec, s[26:27]
	buffer_load_dword a63, off, s[0:3], s33 ; 4-byte Folded Reload
	buffer_load_dword a62, off, s[0:3], s33 offset:4 ; 4-byte Folded Reload
	buffer_load_dword a61, off, s[0:3], s33 offset:8 ; 4-byte Folded Reload
	;; [unrolled: 1-line block ×42, first 2 shown]
	v_readlane_b32 s30, v62, 0
	v_readlane_b32 s31, v62, 1
	;; [unrolled: 1-line block ×67, first 2 shown]
	s_or_saveexec_b64 s[6:7], -1
	buffer_load_dword v63, off, s[0:3], s33 offset:252 ; 4-byte Folded Reload
	buffer_load_dword v62, off, s[0:3], s33 offset:256 ; 4-byte Folded Reload
	;; [unrolled: 1-line block ×3, first 2 shown]
	s_mov_b64 exec, s[6:7]
	s_addk_i32 s32, 0xbc00
	s_mov_b32 s33, s4
	s_waitcnt vmcnt(0) lgkmcnt(0)
	s_setpc_b64 s[30:31]
.Lfunc_end6:
	.size	_ZN12_GLOBAL__N_17runRingI14__hip_fp8_e5m210FuncMinMaxIS1_E11ProtoSimpleILi2ELi2ELi0ELi4ELi0ELi0EELi0ELi0ELi4ELi0EEEviiP15ncclDevWorkColl, .Lfunc_end6-_ZN12_GLOBAL__N_17runRingI14__hip_fp8_e5m210FuncMinMaxIS1_E11ProtoSimpleILi2ELi2ELi0ELi4ELi0ELi0EELi0ELi0ELi4ELi0EEEviiP15ncclDevWorkColl
                                        ; -- End function
	.section	.AMDGPU.csdata,"",@progbits
; Function info:
; codeLenInByte = 303084
; NumSgprs: 104
; NumVgprs: 64
; NumAgprs: 64
; TotalNumVgprs: 128
; ScratchSize: 336
; MemoryBound: 1
	.text
	.p2align	2                               ; -- Begin function _Z53ncclDevFunc_AllReduce_RING_SIMPLE_MinMax_f8e5m2_0_0_4v
	.type	_Z53ncclDevFunc_AllReduce_RING_SIMPLE_MinMax_f8e5m2_0_0_4v,@function
_Z53ncclDevFunc_AllReduce_RING_SIMPLE_MinMax_f8e5m2_0_0_4v: ; @_Z53ncclDevFunc_AllReduce_RING_SIMPLE_MinMax_f8e5m2_0_0_4v
; %bb.0:
	s_waitcnt vmcnt(0) expcnt(0) lgkmcnt(0)
	s_mov_b32 s4, s33
	s_mov_b32 s33, s32
	s_or_saveexec_b64 s[6:7], -1
	buffer_store_dword a32, off, s[0:3], s33 offset:20 ; 4-byte Folded Spill
	buffer_store_dword v63, off, s[0:3], s33 offset:24 ; 4-byte Folded Spill
	;; [unrolled: 1-line block ×5, first 2 shown]
	s_mov_b64 exec, s[6:7]
	v_writelane_b32 v45, s4, 6
	v_writelane_b32 v45, s100, 4
	;; [unrolled: 1-line block ×3, first 2 shown]
	s_addk_i32 s32, 0xc00
	buffer_store_dword v40, off, s[0:3], s33 offset:16 ; 4-byte Folded Spill
	buffer_store_dword v41, off, s[0:3], s33 offset:12 ; 4-byte Folded Spill
	;; [unrolled: 1-line block ×4, first 2 shown]
	buffer_store_dword v62, off, s[0:3], s33 ; 4-byte Folded Spill
	v_writelane_b32 v44, s34, 0
	v_writelane_b32 v44, s35, 1
	;; [unrolled: 1-line block ×68, first 2 shown]
	s_trap 2
	ds_read_b32 v0, v0
	v_mov_b32_e32 v40, v31
                                        ; implicit-def: $vgpr43 : SGPR spill to VGPR lane
	v_and_b32_e32 v41, 0x3ff, v40
	v_writelane_b32 v43, s12, 0
	v_writelane_b32 v43, s8, 1
	s_waitcnt lgkmcnt(0)
	v_cmp_lt_i32_e32 vcc, v41, v0
	v_writelane_b32 v43, s9, 2
	s_and_saveexec_b64 s[4:5], vcc
	s_cbranch_execz .LBB7_5
; %bb.1:
	v_readlane_b32 s8, v43, 1
	v_readlane_b32 s9, v43, 2
	s_load_dword s6, s[8:9], 0x0
	v_readlane_b32 s7, v43, 0
	v_mov_b32_e32 v1, 0
	s_mov_b32 s10, 0
	v_mov_b32_e32 v4, v41
	s_waitcnt lgkmcnt(0)
	s_cmp_lt_u32 s7, s6
	s_cselect_b32 s6, 12, 18
	s_add_u32 s6, s8, s6
	s_addc_u32 s7, s9, 0
	global_load_ushort v1, v1, s[6:7]
	s_trap 2
	ds_read_b32 v3, v0
	s_mov_b64 s[6:7], 0
                                        ; implicit-def: $vgpr2
	s_waitcnt vmcnt(0) lgkmcnt(0)
	v_mul_lo_u32 v3, v3, v1
	s_branch .LBB7_3
.LBB7_2:                                ;   in Loop: Header=BB7_3 Depth=1
	s_or_b64 exec, exec, s[8:9]
	v_add_u32_e32 v4, v4, v1
	v_cmp_ge_i32_e32 vcc, v4, v0
	s_or_b64 s[6:7], vcc, s[6:7]
	v_add_u32_e32 v2, v2, v3
	s_andn2_b64 exec, exec, s[6:7]
	s_cbranch_execz .LBB7_5
.LBB7_3:                                ; =>This Inner Loop Header: Depth=1
	ds_read_b32 v5, v2
	s_waitcnt lgkmcnt(0)
	v_and_b32_e32 v5, 0x1000000, v5
	v_cmp_ne_u32_e32 vcc, 0, v5
	s_and_saveexec_b64 s[8:9], vcc
	s_cbranch_execz .LBB7_2
; %bb.4:                                ;   in Loop: Header=BB7_3 Depth=1
	ds_read_b64 v[6:7], v2 offset:104
	s_waitcnt lgkmcnt(0)
	flat_load_ubyte v5, v[6:7]
	v_mov_b32_e32 v7, s10
	s_waitcnt vmcnt(0) lgkmcnt(0)
	v_and_b32_e32 v6, 0xffff, v5
	ds_write_b64 v2, v[6:7] offset:104
	s_branch .LBB7_2
.LBB7_5:
	s_or_b64 exec, exec, s[4:5]
	s_waitcnt lgkmcnt(0)
	s_barrier
	s_trap 2
	ds_read_b32 v0, v0
	s_waitcnt lgkmcnt(0)
	v_cmp_gt_i32_e32 vcc, 1, v0
	s_cbranch_vccnz .LBB7_13
; %bb.6:
	s_mov_b32 s6, 0
	v_mov_b32_e32 v42, 6
	s_branch .LBB7_8
.LBB7_7:                                ;   in Loop: Header=BB7_8 Depth=1
	s_or_b64 exec, exec, s[8:9]
	s_trap 2
	ds_read_b32 v0, v0
	s_add_i32 s6, s6, 1
	s_waitcnt lgkmcnt(0)
	v_cmp_lt_i32_e32 vcc, s6, v0
	s_cbranch_vccz .LBB7_13
.LBB7_8:                                ; =>This Inner Loop Header: Depth=1
	s_trap 2
	ds_read_b32 v0, v0
	s_cmp_eq_u32 s6, 0
	s_cbranch_scc1 .LBB7_11
; %bb.9:                                ;   in Loop: Header=BB7_8 Depth=1
	s_trap 2
	s_waitcnt lgkmcnt(0)
	ds_read_b32 v1, v0
	s_waitcnt lgkmcnt(0)
	v_xor_b32_e32 v1, v1, v0
	v_and_b32_e32 v1, 0xff0000, v1
	v_cmp_eq_u32_e32 vcc, 0, v1
	s_cbranch_vccnz .LBB7_11
; %bb.10:                               ;   in Loop: Header=BB7_8 Depth=1
	s_barrier
	ds_read_b32 v0, v0
.LBB7_11:                               ;   in Loop: Header=BB7_8 Depth=1
	s_waitcnt lgkmcnt(0)
	v_lshlrev_b32_sdwa v1, v42, v0 dst_sel:DWORD dst_unused:UNUSED_PAD src0_sel:DWORD src1_sel:BYTE_2
	v_cmp_lt_u32_e32 vcc, v41, v1
	s_and_saveexec_b64 s[8:9], vcc
	s_cbranch_execz .LBB7_7
; %bb.12:                               ;   in Loop: Header=BB7_8 Depth=1
	v_writelane_b32 v43, s8, 3
	v_writelane_b32 v43, s9, 4
	v_readlane_b32 s8, v43, 1
	v_readlane_b32 s9, v43, 2
	s_mov_b64 s[10:11], src_shared_base
	s_getpc_b64 s[4:5]
	s_add_u32 s4, s4, _ZN12_GLOBAL__N_17runRingI14__hip_fp8_e5m210FuncMinMaxIS1_E11ProtoSimpleILi2ELi2ELi0ELi4ELi0ELi0EELi0ELi0ELi4ELi0EEEviiP15ncclDevWorkColl@rel32@lo+4
	s_addc_u32 s5, s5, _ZN12_GLOBAL__N_17runRingI14__hip_fp8_e5m210FuncMinMaxIS1_E11ProtoSimpleILi2ELi2ELi0ELi4ELi0ELi0EELi0ELi0ELi4ELi0EEEviiP15ncclDevWorkColl@rel32@hi+12
	v_readlane_b32 s12, v43, 0
	v_mov_b32_e32 v31, v40
	v_mov_b32_e32 v0, v41
	;; [unrolled: 1-line block ×3, first 2 shown]
	v_writelane_b32 v43, s6, 5
	s_or_saveexec_b64 s[100:101], -1
	v_accvgpr_write_b32 a32, v43
	s_mov_b64 exec, s[100:101]
	s_swappc_b64 s[30:31], s[4:5]
	s_or_saveexec_b64 s[100:101], -1
	v_accvgpr_read_b32 v43, a32
	s_mov_b64 exec, s[100:101]
	v_readlane_b32 s8, v43, 3
	v_readlane_b32 s9, v43, 4
	;; [unrolled: 1-line block ×3, first 2 shown]
	s_branch .LBB7_7
.LBB7_13:
	buffer_load_dword v62, off, s[0:3], s33 ; 4-byte Folded Reload
	buffer_load_dword v61, off, s[0:3], s33 offset:4 ; 4-byte Folded Reload
	buffer_load_dword v42, off, s[0:3], s33 offset:8 ; 4-byte Folded Reload
	;; [unrolled: 1-line block ×4, first 2 shown]
	v_readlane_b32 s30, v45, 2
	v_readlane_b32 s31, v45, 3
	;; [unrolled: 1-line block ×71, first 2 shown]
	s_or_saveexec_b64 s[6:7], -1
	buffer_load_dword a32, off, s[0:3], s33 offset:20 ; 4-byte Folded Reload
	buffer_load_dword v63, off, s[0:3], s33 offset:24 ; 4-byte Folded Reload
	;; [unrolled: 1-line block ×5, first 2 shown]
	s_mov_b64 exec, s[6:7]
	s_addk_i32 s32, 0xf400
	s_mov_b32 s33, s4
	s_waitcnt vmcnt(0)
	s_setpc_b64 s[30:31]
.Lfunc_end7:
	.size	_Z53ncclDevFunc_AllReduce_RING_SIMPLE_MinMax_f8e5m2_0_0_4v, .Lfunc_end7-_Z53ncclDevFunc_AllReduce_RING_SIMPLE_MinMax_f8e5m2_0_0_4v
                                        ; -- End function
	.section	.AMDGPU.csdata,"",@progbits
; Function info:
; codeLenInByte = 1944
; NumSgprs: 106
; NumVgprs: 64
; NumAgprs: 64
; TotalNumVgprs: 128
; ScratchSize: 384
; MemoryBound: 0
	.text
	.p2alignl 6, 3212836864
	.fill 256, 4, 3212836864
	.type	__const.__assert_fail.fmt,@object ; @__const.__assert_fail.fmt
	.section	.rodata.str1.16,"aMS",@progbits,1
	.p2align	4, 0x0
__const.__assert_fail.fmt:
	.asciz	"%s:%u: %s: Device-side assertion `%s' failed.\n"
	.size	__const.__assert_fail.fmt, 47

	.type	.str.1,@object                  ; @.str.1
	.section	.rodata.str1.1,"aMS",@progbits,1
.str.1:
	.asciz	"2*(nrecv+nsend) <= nthreads"
	.size	.str.1, 28

	.type	.str.2,@object                  ; @.str.2
.str.2:
	.asciz	"/root/src/amdgpu-assembly/repos/ROCm__rccl/hipify/src/device/prims_simple.h"
	.size	.str.2, 76

	.type	__PRETTY_FUNCTION__._ZN10PrimitivesI14__hip_fp8_e5m210FuncMinMaxIS0_E12FanSymmetricILi1EELi0E11ProtoSimpleILi2ELi2ELi0ELi1ELi0ELi0EELi0ELb0ELi0ELi0ELi0EEC2EiiPKiS9_PKvPvmhhhP15ncclDevWorkCollP14ncclDevWorkP2pii,@object ; @__PRETTY_FUNCTION__._ZN10PrimitivesI14__hip_fp8_e5m210FuncMinMaxIS0_E12FanSymmetricILi1EELi0E11ProtoSimpleILi2ELi2ELi0ELi1ELi0ELi0EELi0ELb0ELi0ELi0ELi0EEC2EiiPKiS9_PKvPvmhhhP15ncclDevWorkCollP14ncclDevWorkP2pii
__PRETTY_FUNCTION__._ZN10PrimitivesI14__hip_fp8_e5m210FuncMinMaxIS0_E12FanSymmetricILi1EELi0E11ProtoSimpleILi2ELi2ELi0ELi1ELi0ELi0EELi0ELb0ELi0ELi0ELi0EEC2EiiPKiS9_PKvPvmhhhP15ncclDevWorkCollP14ncclDevWorkP2pii:
	.asciz	"Primitives<__hip_fp8_e5m2, FuncMinMax<__hip_fp8_e5m2>, FanSymmetric<1>, 0, ProtoSimple<2, 2, 0, 1>, 0>::Primitives(int, int, const int *, const int *, const void *, void *, uint64_t, uint8_t, uint8_t, uint8_t, struct ncclDevWorkColl *, struct ncclDevWorkP2p *, int, int) [T = __hip_fp8_e5m2, RedOp = FuncMinMax<__hip_fp8_e5m2>, Fan = FanSymmetric<1>, Direct = 0, Proto = ProtoSimple<2, 2, 0, 1>, P2p = 0, isNetOffload = false, Metadata = 0, Pipeline = 0, useAcc = 0]"
	.size	__PRETTY_FUNCTION__._ZN10PrimitivesI14__hip_fp8_e5m210FuncMinMaxIS0_E12FanSymmetricILi1EELi0E11ProtoSimpleILi2ELi2ELi0ELi1ELi0ELi0EELi0ELb0ELi0ELi0ELi0EEC2EiiPKiS9_PKvPvmhhhP15ncclDevWorkCollP14ncclDevWorkP2pii, 467

	.type	__PRETTY_FUNCTION__._ZN10PrimitivesI14__hip_fp8_e5m210FuncMinMaxIS0_E12FanSymmetricILi1EELi0E11ProtoSimpleILi2ELi2ELi0ELi2ELi0ELi0EELi0ELb0ELi0ELi0ELi0EEC2EiiPKiS9_PKvPvmhhhP15ncclDevWorkCollP14ncclDevWorkP2pii,@object ; @__PRETTY_FUNCTION__._ZN10PrimitivesI14__hip_fp8_e5m210FuncMinMaxIS0_E12FanSymmetricILi1EELi0E11ProtoSimpleILi2ELi2ELi0ELi2ELi0ELi0EELi0ELb0ELi0ELi0ELi0EEC2EiiPKiS9_PKvPvmhhhP15ncclDevWorkCollP14ncclDevWorkP2pii
__PRETTY_FUNCTION__._ZN10PrimitivesI14__hip_fp8_e5m210FuncMinMaxIS0_E12FanSymmetricILi1EELi0E11ProtoSimpleILi2ELi2ELi0ELi2ELi0ELi0EELi0ELb0ELi0ELi0ELi0EEC2EiiPKiS9_PKvPvmhhhP15ncclDevWorkCollP14ncclDevWorkP2pii:
	.asciz	"Primitives<__hip_fp8_e5m2, FuncMinMax<__hip_fp8_e5m2>, FanSymmetric<1>, 0, ProtoSimple<2, 2, 0, 2>, 0>::Primitives(int, int, const int *, const int *, const void *, void *, uint64_t, uint8_t, uint8_t, uint8_t, struct ncclDevWorkColl *, struct ncclDevWorkP2p *, int, int) [T = __hip_fp8_e5m2, RedOp = FuncMinMax<__hip_fp8_e5m2>, Fan = FanSymmetric<1>, Direct = 0, Proto = ProtoSimple<2, 2, 0, 2>, P2p = 0, isNetOffload = false, Metadata = 0, Pipeline = 0, useAcc = 0]"
	.size	__PRETTY_FUNCTION__._ZN10PrimitivesI14__hip_fp8_e5m210FuncMinMaxIS0_E12FanSymmetricILi1EELi0E11ProtoSimpleILi2ELi2ELi0ELi2ELi0ELi0EELi0ELb0ELi0ELi0ELi0EEC2EiiPKiS9_PKvPvmhhhP15ncclDevWorkCollP14ncclDevWorkP2pii, 467

	.type	__PRETTY_FUNCTION__._ZN10PrimitivesI14__hip_fp8_e5m210FuncMinMaxIS0_E12FanSymmetricILi1EELi0E11ProtoSimpleILi2ELi2ELi0ELi4ELi0ELi0EELi0ELb0ELi0ELi0ELi0EEC2EiiPKiS9_PKvPvmhhhP15ncclDevWorkCollP14ncclDevWorkP2pii,@object ; @__PRETTY_FUNCTION__._ZN10PrimitivesI14__hip_fp8_e5m210FuncMinMaxIS0_E12FanSymmetricILi1EELi0E11ProtoSimpleILi2ELi2ELi0ELi4ELi0ELi0EELi0ELb0ELi0ELi0ELi0EEC2EiiPKiS9_PKvPvmhhhP15ncclDevWorkCollP14ncclDevWorkP2pii
__PRETTY_FUNCTION__._ZN10PrimitivesI14__hip_fp8_e5m210FuncMinMaxIS0_E12FanSymmetricILi1EELi0E11ProtoSimpleILi2ELi2ELi0ELi4ELi0ELi0EELi0ELb0ELi0ELi0ELi0EEC2EiiPKiS9_PKvPvmhhhP15ncclDevWorkCollP14ncclDevWorkP2pii:
	.asciz	"Primitives<__hip_fp8_e5m2, FuncMinMax<__hip_fp8_e5m2>, FanSymmetric<1>, 0, ProtoSimple<2, 2, 0, 4>, 0>::Primitives(int, int, const int *, const int *, const void *, void *, uint64_t, uint8_t, uint8_t, uint8_t, struct ncclDevWorkColl *, struct ncclDevWorkP2p *, int, int) [T = __hip_fp8_e5m2, RedOp = FuncMinMax<__hip_fp8_e5m2>, Fan = FanSymmetric<1>, Direct = 0, Proto = ProtoSimple<2, 2, 0, 4>, P2p = 0, isNetOffload = false, Metadata = 0, Pipeline = 0, useAcc = 0]"
	.size	__PRETTY_FUNCTION__._ZN10PrimitivesI14__hip_fp8_e5m210FuncMinMaxIS0_E12FanSymmetricILi1EELi0E11ProtoSimpleILi2ELi2ELi0ELi4ELi0ELi0EELi0ELb0ELi0ELi0ELi0EEC2EiiPKiS9_PKvPvmhhhP15ncclDevWorkCollP14ncclDevWorkP2pii, 467

	.type	__hip_cuid_99d5863538fb1422,@object ; @__hip_cuid_99d5863538fb1422
	.section	.bss,"aw",@nobits
	.globl	__hip_cuid_99d5863538fb1422
__hip_cuid_99d5863538fb1422:
	.byte	0                               ; 0x0
	.size	__hip_cuid_99d5863538fb1422, 1

	.ident	"AMD clang version 19.0.0git (https://github.com/RadeonOpenCompute/llvm-project roc-6.4.0 25133 c7fe45cf4b819c5991fe208aaa96edf142730f1d)"
	.section	".note.GNU-stack","",@progbits
	.addrsig
	.addrsig_sym _Z53ncclDevFunc_AllReduce_RING_SIMPLE_MinMax_f8e5m2_0_0_1v
	.addrsig_sym _Z53ncclDevFunc_AllReduce_RING_SIMPLE_MinMax_f8e5m2_0_0_2v
	.addrsig_sym _Z53ncclDevFunc_AllReduce_RING_SIMPLE_MinMax_f8e5m2_0_0_4v
	.addrsig_sym ncclShmem
	.addrsig_sym __hip_cuid_99d5863538fb1422
	.amdgpu_metadata
---
amdhsa.kernels:  []
amdhsa.target:   amdgcn-amd-amdhsa--gfx90a
amdhsa.version:
  - 1
  - 2
...

	.end_amdgpu_metadata
